;; amdgpu-corpus repo=pytorch/pytorch kind=compiled arch=gfx90a opt=O3
	.text
	.amdgcn_target "amdgcn-amd-amdhsa--gfx90a"
	.amdhsa_code_object_version 6
	.section	.text._ZN7rocprim17ROCPRIM_304000_NS6detail28radix_sort_block_sort_kernelINS1_36wrapped_radix_sort_block_sort_configINS0_13kernel_configILj256ELj4ELj4294967295EEEhN2at4cuda3cub6detail10OpaqueTypeILi8EEEEELb1EPKhPhPKSB_PSB_NS0_19identity_decomposerEEEvT1_T2_T3_T4_jT5_jj,"axG",@progbits,_ZN7rocprim17ROCPRIM_304000_NS6detail28radix_sort_block_sort_kernelINS1_36wrapped_radix_sort_block_sort_configINS0_13kernel_configILj256ELj4ELj4294967295EEEhN2at4cuda3cub6detail10OpaqueTypeILi8EEEEELb1EPKhPhPKSB_PSB_NS0_19identity_decomposerEEEvT1_T2_T3_T4_jT5_jj,comdat
	.protected	_ZN7rocprim17ROCPRIM_304000_NS6detail28radix_sort_block_sort_kernelINS1_36wrapped_radix_sort_block_sort_configINS0_13kernel_configILj256ELj4ELj4294967295EEEhN2at4cuda3cub6detail10OpaqueTypeILi8EEEEELb1EPKhPhPKSB_PSB_NS0_19identity_decomposerEEEvT1_T2_T3_T4_jT5_jj ; -- Begin function _ZN7rocprim17ROCPRIM_304000_NS6detail28radix_sort_block_sort_kernelINS1_36wrapped_radix_sort_block_sort_configINS0_13kernel_configILj256ELj4ELj4294967295EEEhN2at4cuda3cub6detail10OpaqueTypeILi8EEEEELb1EPKhPhPKSB_PSB_NS0_19identity_decomposerEEEvT1_T2_T3_T4_jT5_jj
	.globl	_ZN7rocprim17ROCPRIM_304000_NS6detail28radix_sort_block_sort_kernelINS1_36wrapped_radix_sort_block_sort_configINS0_13kernel_configILj256ELj4ELj4294967295EEEhN2at4cuda3cub6detail10OpaqueTypeILi8EEEEELb1EPKhPhPKSB_PSB_NS0_19identity_decomposerEEEvT1_T2_T3_T4_jT5_jj
	.p2align	8
	.type	_ZN7rocprim17ROCPRIM_304000_NS6detail28radix_sort_block_sort_kernelINS1_36wrapped_radix_sort_block_sort_configINS0_13kernel_configILj256ELj4ELj4294967295EEEhN2at4cuda3cub6detail10OpaqueTypeILi8EEEEELb1EPKhPhPKSB_PSB_NS0_19identity_decomposerEEEvT1_T2_T3_T4_jT5_jj,@function
_ZN7rocprim17ROCPRIM_304000_NS6detail28radix_sort_block_sort_kernelINS1_36wrapped_radix_sort_block_sort_configINS0_13kernel_configILj256ELj4ELj4294967295EEEhN2at4cuda3cub6detail10OpaqueTypeILi8EEEEELb1EPKhPhPKSB_PSB_NS0_19identity_decomposerEEEvT1_T2_T3_T4_jT5_jj: ; @_ZN7rocprim17ROCPRIM_304000_NS6detail28radix_sort_block_sort_kernelINS1_36wrapped_radix_sort_block_sort_configINS0_13kernel_configILj256ELj4ELj4294967295EEEhN2at4cuda3cub6detail10OpaqueTypeILi8EEEEELb1EPKhPhPKSB_PSB_NS0_19identity_decomposerEEEvT1_T2_T3_T4_jT5_jj
; %bb.0:
	s_load_dword s2, s[4:5], 0x20
	s_load_dwordx8 s[36:43], s[4:5], 0x0
	s_lshl_b32 s28, s6, 10
	v_mbcnt_lo_u32_b32 v1, -1, 0
	v_and_b32_e32 v8, 0x3ff, v0
	s_waitcnt lgkmcnt(0)
	s_lshr_b32 s0, s2, 10
	s_cmp_lg_u32 s6, s0
	s_cselect_b64 s[30:31], -1, 0
	s_add_u32 s1, s36, s28
	s_addc_u32 s3, s37, 0
	v_mbcnt_hi_u32_b32 v2, -1, v1
	v_lshlrev_b32_e32 v1, 2, v8
	v_mov_b32_e32 v3, s3
	v_add_co_u32_e32 v4, vcc, s1, v2
	v_and_b32_e32 v6, 0x300, v1
	v_addc_co_u32_e32 v3, vcc, 0, v3, vcc
	v_add_co_u32_e32 v4, vcc, v4, v6
	s_mov_b32 s29, 0
	s_cmp_eq_u32 s6, s0
	v_addc_co_u32_e32 v5, vcc, 0, v3, vcc
	v_lshlrev_b32_e32 v10, 3, v2
	v_lshlrev_b32_e32 v7, 3, v6
	v_add_u32_e32 v3, v2, v6
	s_cbranch_scc1 .LBB0_2
; %bb.1:
	s_lshl_b64 s[0:1], s[28:29], 3
	s_add_u32 s0, s40, s0
	s_addc_u32 s1, s41, s1
	v_mov_b32_e32 v12, s1
	v_add_co_u32_e32 v13, vcc, s0, v10
	v_addc_co_u32_e32 v16, vcc, 0, v12, vcc
	v_add_co_u32_e32 v12, vcc, v13, v7
	global_load_ubyte v9, v[4:5], off
	global_load_ubyte v11, v[4:5], off offset:64
	global_load_ubyte v14, v[4:5], off offset:128
	;; [unrolled: 1-line block ×3, first 2 shown]
	v_addc_co_u32_e32 v13, vcc, 0, v16, vcc
	global_load_dwordx2 v[20:21], v[12:13], off
	global_load_dwordx2 v[22:23], v[12:13], off offset:512
	global_load_dwordx2 v[24:25], v[12:13], off offset:1024
	;; [unrolled: 1-line block ×3, first 2 shown]
	v_add_u32_e32 v32, v2, v6
	v_add_u32_e32 v29, 0x80, v32
	;; [unrolled: 1-line block ×3, first 2 shown]
	s_waitcnt vmcnt(6)
	v_lshlrev_b16_e32 v6, 8, v11
	v_or_b32_e32 v6, v9, v6
	s_waitcnt vmcnt(4)
	v_lshlrev_b16_e32 v11, 8, v15
	v_or_b32_sdwa v9, v14, v11 dst_sel:WORD_1 dst_unused:UNUSED_PAD src0_sel:DWORD src1_sel:DWORD
	v_or_b32_sdwa v6, v6, v9 dst_sel:DWORD dst_unused:UNUSED_PAD src0_sel:WORD_0 src1_sel:DWORD
	v_add_u32_e32 v9, 64, v32
	s_sub_i32 s33, s2, s28
	s_cbranch_execz .LBB0_3
	s_branch .LBB0_17
.LBB0_2:
                                        ; implicit-def: $vgpr6
                                        ; implicit-def: $vgpr20_vgpr21
                                        ; implicit-def: $vgpr22_vgpr23
                                        ; implicit-def: $vgpr24_vgpr25
                                        ; implicit-def: $vgpr26_vgpr27
                                        ; implicit-def: $vgpr32
                                        ; implicit-def: $vgpr9
                                        ; implicit-def: $vgpr29
                                        ; implicit-def: $vgpr31
	s_sub_i32 s33, s2, s28
.LBB0_3:
	v_cmp_gt_u32_e32 vcc, s33, v3
	v_mov_b32_e32 v6, 0
	s_and_saveexec_b64 s[0:1], vcc
	s_cbranch_execz .LBB0_5
; %bb.4:
	global_load_ubyte v6, v[4:5], off
.LBB0_5:
	s_or_b64 exec, exec, s[0:1]
	v_add_u32_e32 v9, 64, v3
	v_cmp_gt_u32_e64 s[0:1], s33, v9
	s_and_saveexec_b64 s[2:3], s[0:1]
	s_cbranch_execz .LBB0_7
; %bb.6:
	global_load_ubyte v11, v[4:5], off offset:64
	s_waitcnt vmcnt(0)
	v_lshlrev_b16_e32 v11, 8, v11
	v_or_b32_e32 v6, v6, v11
	v_and_b32_e32 v6, 0xffff, v6
.LBB0_7:
	s_or_b64 exec, exec, s[2:3]
	v_add_u32_e32 v29, 0x80, v3
	v_cmp_gt_u32_e64 s[2:3], s33, v29
	s_and_saveexec_b64 s[6:7], s[2:3]
	s_cbranch_execz .LBB0_9
; %bb.8:
	global_load_ubyte v11, v[4:5], off offset:128
	s_waitcnt vmcnt(0)
	v_lshl_or_b32 v6, v11, 16, v6
.LBB0_9:
	s_or_b64 exec, exec, s[6:7]
	v_add_u32_e32 v31, 0xc0, v3
	v_cmp_gt_u32_e64 s[6:7], s33, v31
	s_and_saveexec_b64 s[8:9], s[6:7]
	s_cbranch_execz .LBB0_11
; %bb.10:
	global_load_ubyte v4, v[4:5], off offset:192
	s_mov_b32 s10, 0xffff
	s_waitcnt vmcnt(0)
	v_lshlrev_b16_e32 v4, 8, v4
	v_or_b32_sdwa v4, v6, v4 dst_sel:WORD_1 dst_unused:UNUSED_PAD src0_sel:WORD_1 src1_sel:DWORD
	v_and_or_b32 v6, v6, s10, v4
.LBB0_11:
	s_or_b64 exec, exec, s[8:9]
	s_lshl_b64 s[8:9], s[28:29], 3
	s_add_u32 s8, s40, s8
	s_addc_u32 s9, s41, s9
	v_mov_b32_e32 v4, s9
	v_add_co_u32_e64 v5, s[8:9], s8, v10
	v_addc_co_u32_e64 v10, s[8:9], 0, v4, s[8:9]
	v_add_co_u32_e64 v4, s[8:9], v5, v7
	v_addc_co_u32_e64 v5, s[8:9], 0, v10, s[8:9]
                                        ; implicit-def: $vgpr20_vgpr21
	s_and_saveexec_b64 s[8:9], vcc
	s_cbranch_execnz .LBB0_54
; %bb.12:
	s_or_b64 exec, exec, s[8:9]
                                        ; implicit-def: $vgpr22_vgpr23
	s_and_saveexec_b64 s[8:9], s[0:1]
	s_cbranch_execnz .LBB0_55
.LBB0_13:
	s_or_b64 exec, exec, s[8:9]
                                        ; implicit-def: $vgpr24_vgpr25
	s_and_saveexec_b64 s[0:1], s[2:3]
	s_cbranch_execnz .LBB0_56
.LBB0_14:
	s_or_b64 exec, exec, s[0:1]
                                        ; implicit-def: $vgpr26_vgpr27
	s_and_saveexec_b64 s[0:1], s[6:7]
	s_cbranch_execz .LBB0_16
.LBB0_15:
	global_load_dwordx2 v[26:27], v[4:5], off offset:1536
.LBB0_16:
	s_or_b64 exec, exec, s[0:1]
	v_mov_b32_e32 v32, v3
.LBB0_17:
	s_load_dwordx2 s[34:35], s[4:5], 0x28
	s_load_dword s0, s[4:5], 0x3c
	s_waitcnt vmcnt(0)
	v_lshrrev_b32_e32 v4, 8, v6
	v_mov_b32_e32 v5, -1
	v_xor_b32_e32 v3, -1, v6
	v_xor_b32_sdwa v4, v4, v5 dst_sel:BYTE_1 dst_unused:UNUSED_PAD src0_sel:DWORD src1_sel:DWORD
	v_xor_b32_sdwa v7, v6, v5 dst_sel:DWORD dst_unused:UNUSED_PAD src0_sel:WORD_1 src1_sel:DWORD
	v_xor_b32_sdwa v5, v6, v5 dst_sel:BYTE_1 dst_unused:UNUSED_PAD src0_sel:BYTE_3 src1_sel:DWORD
	v_or_b32_sdwa v3, v3, v4 dst_sel:DWORD dst_unused:UNUSED_PAD src0_sel:BYTE_0 src1_sel:DWORD
	v_or_b32_sdwa v4, v7, v5 dst_sel:WORD_1 dst_unused:UNUSED_PAD src0_sel:BYTE_0 src1_sel:DWORD
	v_or_b32_sdwa v35, v3, v4 dst_sel:DWORD dst_unused:UNUSED_PAD src0_sel:WORD_0 src1_sel:DWORD
	s_waitcnt lgkmcnt(0)
	s_lshr_b32 s1, s0, 16
	v_bfe_u32 v3, v0, 10, 10
	v_bfe_u32 v0, v0, 20, 10
	s_and_b32 s0, s0, 0xffff
	v_mad_u32_u24 v0, v0, s1, v3
	v_mad_u64_u32 v[4:5], s[0:1], v0, s0, v[8:9]
	v_and_b32_e32 v0, 15, v2
	v_cmp_eq_u32_e64 s[0:1], 0, v0
	v_cmp_lt_u32_e64 s[2:3], 1, v0
	v_cmp_lt_u32_e64 s[4:5], 3, v0
	;; [unrolled: 1-line block ×3, first 2 shown]
	v_and_b32_e32 v0, 16, v2
	v_cmp_eq_u32_e64 s[8:9], 0, v0
	v_and_b32_e32 v0, 0x3c0, v8
	v_min_u32_e32 v0, 0xc0, v0
	v_or_b32_e32 v0, 63, v0
	v_lshlrev_b32_e32 v33, 2, v1
	v_cmp_eq_u32_e64 s[12:13], v0, v8
	v_add_u32_e32 v0, -1, v2
	v_and_b32_e32 v1, 64, v2
	v_cmp_lt_i32_e32 vcc, v0, v1
	v_cndmask_b32_e32 v0, v0, v2, vcc
	s_mov_b32 s26, 0
	v_lshlrev_b32_e32 v36, 2, v0
	v_lshrrev_b32_e32 v0, 4, v8
	v_and_b32_e32 v1, 3, v2
	v_lshrrev_b32_e32 v34, 6, v4
	v_cmp_lt_u32_e64 s[10:11], 31, v2
	v_cmp_eq_u32_e64 s[18:19], 0, v2
	v_and_b32_e32 v37, 60, v0
	v_mul_i32_i24_e32 v0, -12, v8
	v_cmp_eq_u32_e64 s[22:23], 0, v1
	v_cmp_lt_u32_e64 s[24:25], 1, v1
	v_mul_lo_u32 v1, v32, 7
	v_mul_lo_u32 v2, v9, 7
	;; [unrolled: 1-line block ×4, first 2 shown]
	s_mov_b32 s27, s26
	s_mov_b32 s40, s26
	;; [unrolled: 1-line block ×3, first 2 shown]
	s_add_i32 s36, s35, s34
	v_cmp_gt_u32_e64 s[14:15], 4, v8
	v_cmp_lt_u32_e64 s[16:17], 63, v8
	v_cmp_eq_u32_e64 s[20:21], 0, v8
	v_add_u32_e32 v38, -4, v37
	v_pk_mov_b32 v[14:15], s[26:27], s[26:27] op_sel:[0,1]
	v_pk_mov_b32 v[16:17], s[40:41], s[40:41] op_sel:[0,1]
	v_add_u32_e32 v39, v33, v0
	v_add_u32_e32 v40, v32, v1
	;; [unrolled: 1-line block ×5, first 2 shown]
	v_mov_b32_e32 v18, 0
	s_branch .LBB0_19
.LBB0_18:                               ;   in Loop: Header=BB0_19 Depth=1
	s_barrier
	ds_write_b8 v30, v35
	ds_write_b8 v28, v19
	;; [unrolled: 1-line block ×4, first 2 shown]
	s_waitcnt lgkmcnt(0)
	s_barrier
	ds_read_u8 v20, v9
	ds_read_u8 v21, v32
	;; [unrolled: 1-line block ×4, first 2 shown]
	s_waitcnt lgkmcnt(0)
	v_lshlrev_b16_e32 v20, 8, v20
	v_or_b32_e32 v20, v21, v20
	v_lshlrev_b16_e32 v21, 8, v22
	v_or_b32_sdwa v21, v23, v21 dst_sel:WORD_1 dst_unused:UNUSED_PAD src0_sel:DWORD src1_sel:DWORD
	v_or_b32_sdwa v35, v20, v21 dst_sel:DWORD dst_unused:UNUSED_PAD src0_sel:WORD_0 src1_sel:DWORD
	v_mad_u64_u32 v[20:21], s[26:27], v30, 7, v[30:31]
	s_barrier
	ds_write_b64 v20, v[12:13]
	v_mad_u64_u32 v[20:21], s[26:27], v28, 7, v[28:29]
	ds_write_b64 v20, v[10:11]
	v_mad_u64_u32 v[20:21], s[26:27], v2, 7, v[2:3]
	;; [unrolled: 2-line block ×3, first 2 shown]
	ds_write_b64 v20, v[4:5]
	s_waitcnt lgkmcnt(0)
	s_barrier
	ds_read_b64 v[20:21], v40
	ds_read_b64 v[22:23], v41
	;; [unrolled: 1-line block ×4, first 2 shown]
	s_add_i32 s35, s35, -8
	s_waitcnt lgkmcnt(0)
	s_barrier
	s_cbranch_execz .LBB0_35
.LBB0_19:                               ; =>This Inner Loop Header: Depth=1
	s_min_u32 s26, s35, 8
	s_lshl_b32 s26, -1, s26
	s_not_b32 s37, s26
	v_lshrrev_b32_sdwa v0, s34, v35 dst_sel:DWORD dst_unused:UNUSED_PAD src0_sel:DWORD src1_sel:BYTE_0
	v_and_b32_e32 v0, s37, v0
	v_lshl_add_u32 v1, v0, 2, v34
	v_pk_mov_b32 v[12:13], v[20:21], v[20:21] op_sel:[0,1]
	v_lshl_add_u32 v20, v1, 2, 16
	v_and_b32_e32 v1, 1, v0
	v_add_co_u32_e32 v2, vcc, -1, v1
	v_addc_co_u32_e64 v3, s[26:27], 0, -1, vcc
	v_cmp_ne_u32_e32 vcc, 0, v1
	v_lshlrev_b32_e32 v19, 30, v0
	v_xor_b32_e32 v1, vcc_hi, v3
	v_not_b32_e32 v3, v19
	v_xor_b32_e32 v2, vcc_lo, v2
	v_cmp_gt_i64_e32 vcc, 0, v[18:19]
	v_ashrrev_i32_e32 v3, 31, v3
	v_and_b32_e32 v1, exec_hi, v1
	v_xor_b32_e32 v19, vcc_hi, v3
	v_and_b32_e32 v2, exec_lo, v2
	v_xor_b32_e32 v3, vcc_lo, v3
	v_and_b32_e32 v1, v1, v19
	v_lshlrev_b32_e32 v19, 29, v0
	v_and_b32_e32 v2, v2, v3
	v_not_b32_e32 v3, v19
	v_cmp_gt_i64_e32 vcc, 0, v[18:19]
	v_ashrrev_i32_e32 v3, 31, v3
	v_xor_b32_e32 v19, vcc_hi, v3
	v_xor_b32_e32 v3, vcc_lo, v3
	v_and_b32_e32 v1, v1, v19
	v_lshlrev_b32_e32 v19, 28, v0
	v_and_b32_e32 v2, v2, v3
	v_not_b32_e32 v3, v19
	v_cmp_gt_i64_e32 vcc, 0, v[18:19]
	v_ashrrev_i32_e32 v3, 31, v3
	v_xor_b32_e32 v19, vcc_hi, v3
	;; [unrolled: 8-line block ×5, first 2 shown]
	v_and_b32_e32 v1, v1, v19
	v_lshlrev_b32_e32 v19, 24, v0
	v_not_b32_e32 v0, v19
	v_xor_b32_e32 v3, vcc_lo, v3
	v_cmp_gt_i64_e32 vcc, 0, v[18:19]
	v_ashrrev_i32_e32 v0, 31, v0
	v_and_b32_e32 v2, v2, v3
	v_xor_b32_e32 v3, vcc_hi, v0
	v_xor_b32_e32 v0, vcc_lo, v0
	v_and_b32_e32 v0, v2, v0
	v_and_b32_e32 v1, v1, v3
	v_mbcnt_lo_u32_b32 v2, v0, 0
	v_mbcnt_hi_u32_b32 v21, v1, v2
	v_cmp_eq_u32_e32 vcc, 0, v21
	v_cmp_ne_u64_e64 s[26:27], 0, v[0:1]
	v_pk_mov_b32 v[10:11], v[22:23], v[22:23] op_sel:[0,1]
	v_pk_mov_b32 v[6:7], v[24:25], v[24:25] op_sel:[0,1]
	;; [unrolled: 1-line block ×3, first 2 shown]
	s_and_b64 s[40:41], s[26:27], vcc
	ds_write2_b64 v33, v[14:15], v[16:17] offset0:2 offset1:3
	s_waitcnt lgkmcnt(0)
	s_barrier
	s_waitcnt lgkmcnt(0)
	; wave barrier
	s_and_saveexec_b64 s[26:27], s[40:41]
	s_cbranch_execz .LBB0_21
; %bb.20:                               ;   in Loop: Header=BB0_19 Depth=1
	v_bcnt_u32_b32 v0, v0, 0
	v_bcnt_u32_b32 v0, v1, v0
	ds_write_b32 v20, v0
.LBB0_21:                               ;   in Loop: Header=BB0_19 Depth=1
	s_or_b64 exec, exec, s[26:27]
	v_lshrrev_b32_sdwa v0, s34, v35 dst_sel:DWORD dst_unused:UNUSED_PAD src0_sel:DWORD src1_sel:BYTE_1
	v_and_b32_e32 v0, s37, v0
	v_lshlrev_b32_e32 v1, 2, v0
	v_add_lshl_u32 v1, v1, v34, 2
	; wave barrier
	v_add_u32_e32 v23, 16, v1
	ds_read_b32 v22, v1 offset:16
	v_and_b32_e32 v1, 1, v0
	v_add_co_u32_e32 v2, vcc, -1, v1
	v_addc_co_u32_e64 v3, s[26:27], 0, -1, vcc
	v_cmp_ne_u32_e32 vcc, 0, v1
	v_lshlrev_b32_e32 v19, 30, v0
	v_xor_b32_e32 v1, vcc_hi, v3
	v_not_b32_e32 v3, v19
	v_xor_b32_e32 v2, vcc_lo, v2
	v_cmp_gt_i64_e32 vcc, 0, v[18:19]
	v_ashrrev_i32_e32 v3, 31, v3
	v_and_b32_e32 v1, exec_hi, v1
	v_xor_b32_e32 v19, vcc_hi, v3
	v_and_b32_e32 v2, exec_lo, v2
	v_xor_b32_e32 v3, vcc_lo, v3
	v_and_b32_e32 v1, v1, v19
	v_lshlrev_b32_e32 v19, 29, v0
	v_and_b32_e32 v2, v2, v3
	v_not_b32_e32 v3, v19
	v_cmp_gt_i64_e32 vcc, 0, v[18:19]
	v_ashrrev_i32_e32 v3, 31, v3
	v_xor_b32_e32 v19, vcc_hi, v3
	v_xor_b32_e32 v3, vcc_lo, v3
	v_and_b32_e32 v1, v1, v19
	v_lshlrev_b32_e32 v19, 28, v0
	v_and_b32_e32 v2, v2, v3
	v_not_b32_e32 v3, v19
	v_cmp_gt_i64_e32 vcc, 0, v[18:19]
	v_ashrrev_i32_e32 v3, 31, v3
	v_xor_b32_e32 v19, vcc_hi, v3
	;; [unrolled: 8-line block ×5, first 2 shown]
	v_and_b32_e32 v1, v1, v19
	v_lshlrev_b32_e32 v19, 24, v0
	v_not_b32_e32 v0, v19
	v_xor_b32_e32 v3, vcc_lo, v3
	v_cmp_gt_i64_e32 vcc, 0, v[18:19]
	v_ashrrev_i32_e32 v0, 31, v0
	v_and_b32_e32 v2, v2, v3
	v_xor_b32_e32 v3, vcc_hi, v0
	v_xor_b32_e32 v0, vcc_lo, v0
	v_and_b32_e32 v0, v2, v0
	v_and_b32_e32 v1, v1, v3
	v_mbcnt_lo_u32_b32 v2, v0, 0
	v_mbcnt_hi_u32_b32 v24, v1, v2
	v_cmp_eq_u32_e32 vcc, 0, v24
	v_cmp_ne_u64_e64 s[26:27], 0, v[0:1]
	s_and_b64 s[40:41], s[26:27], vcc
	; wave barrier
	s_and_saveexec_b64 s[26:27], s[40:41]
	s_cbranch_execz .LBB0_23
; %bb.22:                               ;   in Loop: Header=BB0_19 Depth=1
	v_bcnt_u32_b32 v0, v0, 0
	v_bcnt_u32_b32 v0, v1, v0
	s_waitcnt lgkmcnt(0)
	v_add_u32_e32 v0, v22, v0
	ds_write_b32 v23, v0
.LBB0_23:                               ;   in Loop: Header=BB0_19 Depth=1
	s_or_b64 exec, exec, s[26:27]
	v_lshrrev_b32_sdwa v0, s34, v35 dst_sel:DWORD dst_unused:UNUSED_PAD src0_sel:DWORD src1_sel:BYTE_2
	v_and_b32_e32 v0, s37, v0
	v_lshlrev_b32_e32 v1, 2, v0
	v_add_lshl_u32 v1, v1, v34, 2
	; wave barrier
	v_add_u32_e32 v26, 16, v1
	ds_read_b32 v25, v1 offset:16
	v_and_b32_e32 v1, 1, v0
	v_add_co_u32_e32 v2, vcc, -1, v1
	v_addc_co_u32_e64 v3, s[26:27], 0, -1, vcc
	v_cmp_ne_u32_e32 vcc, 0, v1
	v_lshlrev_b32_e32 v19, 30, v0
	v_xor_b32_e32 v1, vcc_hi, v3
	v_not_b32_e32 v3, v19
	v_xor_b32_e32 v2, vcc_lo, v2
	v_cmp_gt_i64_e32 vcc, 0, v[18:19]
	v_ashrrev_i32_e32 v3, 31, v3
	v_and_b32_e32 v1, exec_hi, v1
	v_xor_b32_e32 v19, vcc_hi, v3
	v_and_b32_e32 v2, exec_lo, v2
	v_xor_b32_e32 v3, vcc_lo, v3
	v_and_b32_e32 v1, v1, v19
	v_lshlrev_b32_e32 v19, 29, v0
	v_and_b32_e32 v2, v2, v3
	v_not_b32_e32 v3, v19
	v_cmp_gt_i64_e32 vcc, 0, v[18:19]
	v_ashrrev_i32_e32 v3, 31, v3
	v_xor_b32_e32 v19, vcc_hi, v3
	v_xor_b32_e32 v3, vcc_lo, v3
	v_and_b32_e32 v1, v1, v19
	v_lshlrev_b32_e32 v19, 28, v0
	v_and_b32_e32 v2, v2, v3
	v_not_b32_e32 v3, v19
	v_cmp_gt_i64_e32 vcc, 0, v[18:19]
	v_ashrrev_i32_e32 v3, 31, v3
	v_xor_b32_e32 v19, vcc_hi, v3
	;; [unrolled: 8-line block ×5, first 2 shown]
	v_and_b32_e32 v1, v1, v19
	v_lshlrev_b32_e32 v19, 24, v0
	v_not_b32_e32 v0, v19
	v_xor_b32_e32 v3, vcc_lo, v3
	v_cmp_gt_i64_e32 vcc, 0, v[18:19]
	v_ashrrev_i32_e32 v0, 31, v0
	v_and_b32_e32 v2, v2, v3
	v_xor_b32_e32 v3, vcc_hi, v0
	v_xor_b32_e32 v0, vcc_lo, v0
	v_and_b32_e32 v0, v2, v0
	v_and_b32_e32 v1, v1, v3
	v_mbcnt_lo_u32_b32 v2, v0, 0
	v_mbcnt_hi_u32_b32 v27, v1, v2
	v_cmp_eq_u32_e32 vcc, 0, v27
	v_cmp_ne_u64_e64 s[26:27], 0, v[0:1]
	s_and_b64 s[40:41], s[26:27], vcc
	; wave barrier
	s_and_saveexec_b64 s[26:27], s[40:41]
	s_cbranch_execz .LBB0_25
; %bb.24:                               ;   in Loop: Header=BB0_19 Depth=1
	v_bcnt_u32_b32 v0, v0, 0
	v_bcnt_u32_b32 v0, v1, v0
	s_waitcnt lgkmcnt(0)
	v_add_u32_e32 v0, v25, v0
	ds_write_b32 v26, v0
.LBB0_25:                               ;   in Loop: Header=BB0_19 Depth=1
	s_or_b64 exec, exec, s[26:27]
	v_lshrrev_b32_e32 v44, 24, v35
	v_lshrrev_b32_e32 v0, s34, v44
	v_and_b32_e32 v0, s37, v0
	v_lshlrev_b32_e32 v1, 2, v0
	v_add_lshl_u32 v1, v1, v34, 2
	; wave barrier
	v_add_u32_e32 v28, 16, v1
	ds_read_b32 v45, v1 offset:16
	v_and_b32_e32 v1, 1, v0
	v_add_co_u32_e32 v2, vcc, -1, v1
	v_addc_co_u32_e64 v3, s[26:27], 0, -1, vcc
	v_cmp_ne_u32_e32 vcc, 0, v1
	v_lshlrev_b32_e32 v19, 30, v0
	v_xor_b32_e32 v1, vcc_hi, v3
	v_not_b32_e32 v3, v19
	v_xor_b32_e32 v2, vcc_lo, v2
	v_cmp_gt_i64_e32 vcc, 0, v[18:19]
	v_ashrrev_i32_e32 v3, 31, v3
	v_and_b32_e32 v1, exec_hi, v1
	v_xor_b32_e32 v19, vcc_hi, v3
	v_and_b32_e32 v2, exec_lo, v2
	v_xor_b32_e32 v3, vcc_lo, v3
	v_and_b32_e32 v1, v1, v19
	v_lshlrev_b32_e32 v19, 29, v0
	v_and_b32_e32 v2, v2, v3
	v_not_b32_e32 v3, v19
	v_cmp_gt_i64_e32 vcc, 0, v[18:19]
	v_ashrrev_i32_e32 v3, 31, v3
	v_xor_b32_e32 v19, vcc_hi, v3
	v_xor_b32_e32 v3, vcc_lo, v3
	v_and_b32_e32 v1, v1, v19
	v_lshlrev_b32_e32 v19, 28, v0
	v_and_b32_e32 v2, v2, v3
	v_not_b32_e32 v3, v19
	v_cmp_gt_i64_e32 vcc, 0, v[18:19]
	v_ashrrev_i32_e32 v3, 31, v3
	v_xor_b32_e32 v19, vcc_hi, v3
	;; [unrolled: 8-line block ×5, first 2 shown]
	v_and_b32_e32 v1, v1, v19
	v_lshlrev_b32_e32 v19, 24, v0
	v_not_b32_e32 v0, v19
	v_xor_b32_e32 v3, vcc_lo, v3
	v_cmp_gt_i64_e32 vcc, 0, v[18:19]
	v_ashrrev_i32_e32 v0, 31, v0
	v_and_b32_e32 v2, v2, v3
	v_xor_b32_e32 v3, vcc_hi, v0
	v_xor_b32_e32 v0, vcc_lo, v0
	v_and_b32_e32 v0, v2, v0
	v_and_b32_e32 v1, v1, v3
	v_mbcnt_lo_u32_b32 v2, v0, 0
	v_mbcnt_hi_u32_b32 v46, v1, v2
	v_cmp_eq_u32_e32 vcc, 0, v46
	v_cmp_ne_u64_e64 s[26:27], 0, v[0:1]
	s_and_b64 s[40:41], s[26:27], vcc
	; wave barrier
	s_and_saveexec_b64 s[26:27], s[40:41]
	s_cbranch_execz .LBB0_27
; %bb.26:                               ;   in Loop: Header=BB0_19 Depth=1
	v_bcnt_u32_b32 v0, v0, 0
	v_bcnt_u32_b32 v0, v1, v0
	s_waitcnt lgkmcnt(0)
	v_add_u32_e32 v0, v45, v0
	ds_write_b32 v28, v0
.LBB0_27:                               ;   in Loop: Header=BB0_19 Depth=1
	s_or_b64 exec, exec, s[26:27]
	; wave barrier
	s_waitcnt lgkmcnt(0)
	s_barrier
	ds_read2_b64 v[0:3], v33 offset0:2 offset1:3
	s_waitcnt lgkmcnt(0)
	v_add_u32_e32 v19, v1, v0
	v_add3_u32 v3, v19, v2, v3
	s_nop 1
	v_mov_b32_dpp v19, v3 row_shr:1 row_mask:0xf bank_mask:0xf
	v_cndmask_b32_e64 v19, v19, 0, s[0:1]
	v_add_u32_e32 v3, v19, v3
	s_nop 1
	v_mov_b32_dpp v19, v3 row_shr:2 row_mask:0xf bank_mask:0xf
	v_cndmask_b32_e64 v19, 0, v19, s[2:3]
	v_add_u32_e32 v3, v3, v19
	;; [unrolled: 4-line block ×4, first 2 shown]
	s_nop 1
	v_mov_b32_dpp v19, v3 row_bcast:15 row_mask:0xf bank_mask:0xf
	v_cndmask_b32_e64 v19, v19, 0, s[8:9]
	v_add_u32_e32 v3, v3, v19
	s_nop 1
	v_mov_b32_dpp v19, v3 row_bcast:31 row_mask:0xf bank_mask:0xf
	v_cndmask_b32_e64 v19, 0, v19, s[10:11]
	v_add_u32_e32 v3, v3, v19
	s_and_saveexec_b64 s[26:27], s[12:13]
	s_cbranch_execz .LBB0_29
; %bb.28:                               ;   in Loop: Header=BB0_19 Depth=1
	ds_write_b32 v37, v3
.LBB0_29:                               ;   in Loop: Header=BB0_19 Depth=1
	s_or_b64 exec, exec, s[26:27]
	s_waitcnt lgkmcnt(0)
	s_barrier
	s_and_saveexec_b64 s[26:27], s[14:15]
	s_cbranch_execz .LBB0_31
; %bb.30:                               ;   in Loop: Header=BB0_19 Depth=1
	ds_read_b32 v19, v39
	s_waitcnt lgkmcnt(0)
	s_nop 0
	v_mov_b32_dpp v30, v19 row_shr:1 row_mask:0xf bank_mask:0xf
	v_cndmask_b32_e64 v30, v30, 0, s[22:23]
	v_add_u32_e32 v19, v30, v19
	s_nop 1
	v_mov_b32_dpp v30, v19 row_shr:2 row_mask:0xf bank_mask:0xf
	v_cndmask_b32_e64 v30, 0, v30, s[24:25]
	v_add_u32_e32 v19, v19, v30
	ds_write_b32 v39, v19
.LBB0_31:                               ;   in Loop: Header=BB0_19 Depth=1
	s_or_b64 exec, exec, s[26:27]
	v_mov_b32_e32 v30, 0
	s_waitcnt lgkmcnt(0)
	s_barrier
	s_and_saveexec_b64 s[26:27], s[16:17]
	s_cbranch_execz .LBB0_33
; %bb.32:                               ;   in Loop: Header=BB0_19 Depth=1
	ds_read_b32 v30, v38
.LBB0_33:                               ;   in Loop: Header=BB0_19 Depth=1
	s_or_b64 exec, exec, s[26:27]
	s_waitcnt lgkmcnt(0)
	v_add_u32_e32 v3, v30, v3
	ds_bpermute_b32 v47, v36, v3
	s_add_i32 s34, s34, 8
	v_mov_b32_e32 v3, v35
	v_lshrrev_b32_e32 v19, 8, v35
	s_cmp_ge_u32 s34, s36
	s_waitcnt lgkmcnt(0)
	v_cndmask_b32_e64 v30, v47, v30, s[18:19]
	v_cndmask_b32_e64 v48, v30, 0, s[20:21]
	v_add_u32_e32 v49, v48, v0
	v_add_u32_e32 v0, v49, v1
	;; [unrolled: 1-line block ×3, first 2 shown]
	ds_write2_b64 v33, v[48:49], v[0:1] offset0:2 offset1:3
	s_waitcnt lgkmcnt(0)
	s_barrier
	ds_read_b32 v0, v20
	ds_read_b32 v2, v23
	;; [unrolled: 1-line block ×4, first 2 shown]
	v_lshrrev_b32_e32 v1, 16, v35
	s_waitcnt lgkmcnt(3)
	v_add_u32_e32 v30, v0, v21
	s_waitcnt lgkmcnt(2)
	v_add3_u32 v28, v24, v22, v2
	s_waitcnt lgkmcnt(1)
	v_add3_u32 v2, v27, v25, v20
	;; [unrolled: 2-line block ×3, first 2 shown]
	s_cbranch_scc0 .LBB0_18
; %bb.34:
                                        ; implicit-def: $sgpr34
                                        ; implicit-def: $vgpr35
                                        ; implicit-def: $vgpr20_vgpr21
                                        ; implicit-def: $vgpr22_vgpr23
                                        ; implicit-def: $vgpr24_vgpr25
                                        ; implicit-def: $vgpr26_vgpr27
.LBB0_35:
	v_mad_u64_u32 v[14:15], s[0:1], v30, 7, v[30:31]
	s_barrier
	ds_write_b8 v30, v3
	ds_write_b8 v28, v19
	;; [unrolled: 1-line block ×4, first 2 shown]
	s_waitcnt lgkmcnt(0)
	s_barrier
	ds_read_u8 v9, v8
	ds_read_u8 v16, v8 offset:256
	ds_read_u8 v17, v8 offset:512
	ds_read_u8 v18, v8 offset:768
	s_waitcnt lgkmcnt(0)
	s_barrier
	ds_write_b64 v14, v[12:13]
	v_mad_u64_u32 v[12:13], s[0:1], v28, 7, v[28:29]
	v_mad_u64_u32 v[2:3], s[0:1], v2, 7, v[2:3]
	;; [unrolled: 1-line block ×3, first 2 shown]
	ds_write_b64 v12, v[10:11]
	ds_write_b64 v2, v[6:7]
	;; [unrolled: 1-line block ×3, first 2 shown]
	v_mad_u32_u24 v0, v8, 7, v8
	s_waitcnt lgkmcnt(0)
	s_barrier
	ds_read2st64_b64 v[4:7], v0 offset1:4
	ds_read2st64_b64 v[0:3], v0 offset0:8 offset1:12
	s_add_u32 s0, s38, s28
	s_addc_u32 s1, s39, 0
	v_mov_b32_e32 v11, s1
	v_add_co_u32_e32 v10, vcc, s0, v8
	v_addc_co_u32_e32 v11, vcc, 0, v11, vcc
	v_xor_b32_e32 v15, -1, v9
	v_xor_b32_e32 v14, -1, v16
	;; [unrolled: 1-line block ×4, first 2 shown]
	s_andn2_b64 vcc, exec, s[30:31]
	v_lshlrev_b32_e32 v12, 3, v8
	s_cbranch_vccnz .LBB0_37
; %bb.36:
	s_lshl_b64 s[0:1], s[28:29], 3
	s_add_u32 s0, s42, s0
	s_addc_u32 s1, s43, s1
	v_mov_b32_e32 v16, s1
	v_add_co_u32_e32 v17, vcc, s0, v12
	v_addc_co_u32_e32 v18, vcc, 0, v16, vcc
	v_add_co_u32_e32 v16, vcc, 0x1000, v17
	global_store_byte v[10:11], v15, off
	global_store_byte v[10:11], v14, off offset:256
	global_store_byte v[10:11], v13, off offset:512
	;; [unrolled: 1-line block ×3, first 2 shown]
	s_waitcnt lgkmcnt(1)
	global_store_dwordx2 v12, v[4:5], s[0:1]
	global_store_dwordx2 v12, v[6:7], s[0:1] offset:2048
	v_addc_co_u32_e32 v17, vcc, 0, v18, vcc
	s_mov_b64 s[6:7], -1
	s_waitcnt lgkmcnt(0)
	global_store_dwordx2 v[16:17], v[0:1], off
	s_cbranch_execz .LBB0_38
	s_branch .LBB0_51
.LBB0_37:
	s_mov_b64 s[6:7], 0
.LBB0_38:
	v_cmp_gt_u32_e32 vcc, s33, v8
	s_and_saveexec_b64 s[0:1], vcc
	s_cbranch_execz .LBB0_40
; %bb.39:
	global_store_byte v[10:11], v15, off
.LBB0_40:
	s_or_b64 exec, exec, s[0:1]
	v_add_u32_e32 v15, 0x100, v8
	v_cmp_gt_u32_e64 s[0:1], s33, v15
	s_and_saveexec_b64 s[2:3], s[0:1]
	s_cbranch_execz .LBB0_42
; %bb.41:
	global_store_byte v[10:11], v14, off offset:256
.LBB0_42:
	s_or_b64 exec, exec, s[2:3]
	v_add_u32_e32 v14, 0x200, v8
	v_cmp_gt_u32_e64 s[2:3], s33, v14
	s_and_saveexec_b64 s[4:5], s[2:3]
	s_cbranch_execz .LBB0_44
; %bb.43:
	global_store_byte v[10:11], v13, off offset:512
.LBB0_44:
	;; [unrolled: 8-line block ×3, first 2 shown]
	s_or_b64 exec, exec, s[4:5]
	s_lshl_b64 s[4:5], s[28:29], 3
	s_add_u32 s4, s42, s4
	s_addc_u32 s5, s43, s5
	v_mov_b32_e32 v9, s5
	v_add_co_u32_e64 v8, s[4:5], s4, v12
	v_addc_co_u32_e64 v9, s[4:5], 0, v9, s[4:5]
	s_and_saveexec_b64 s[4:5], vcc
	s_cbranch_execnz .LBB0_57
; %bb.47:
	s_or_b64 exec, exec, s[4:5]
	s_and_saveexec_b64 s[4:5], s[0:1]
	s_cbranch_execnz .LBB0_58
.LBB0_48:
	s_or_b64 exec, exec, s[4:5]
	s_and_saveexec_b64 s[0:1], s[2:3]
	s_cbranch_execz .LBB0_50
.LBB0_49:
	s_waitcnt lgkmcnt(1)
	v_add_co_u32_e32 v4, vcc, 0x1000, v8
	v_addc_co_u32_e32 v5, vcc, 0, v9, vcc
	s_waitcnt lgkmcnt(0)
	global_store_dwordx2 v[4:5], v[0:1], off
.LBB0_50:
	s_or_b64 exec, exec, s[0:1]
.LBB0_51:
	s_and_saveexec_b64 s[0:1], s[6:7]
	s_cbranch_execnz .LBB0_53
; %bb.52:
	s_endpgm
.LBB0_53:
	s_lshl_b64 s[0:1], s[28:29], 3
	s_add_u32 s0, s42, s0
	s_addc_u32 s1, s43, s1
	s_waitcnt lgkmcnt(0)
	v_mov_b32_e32 v0, s1
	v_add_co_u32_e32 v1, vcc, s0, v12
	v_addc_co_u32_e32 v4, vcc, 0, v0, vcc
	v_add_co_u32_e32 v0, vcc, 0x1000, v1
	v_addc_co_u32_e32 v1, vcc, 0, v4, vcc
	global_store_dwordx2 v[0:1], v[2:3], off offset:2048
	s_endpgm
.LBB0_54:
	global_load_dwordx2 v[20:21], v[4:5], off
	s_or_b64 exec, exec, s[8:9]
                                        ; implicit-def: $vgpr22_vgpr23
	s_and_saveexec_b64 s[8:9], s[0:1]
	s_cbranch_execz .LBB0_13
.LBB0_55:
	global_load_dwordx2 v[22:23], v[4:5], off offset:512
	s_or_b64 exec, exec, s[8:9]
                                        ; implicit-def: $vgpr24_vgpr25
	s_and_saveexec_b64 s[0:1], s[2:3]
	s_cbranch_execz .LBB0_14
.LBB0_56:
	global_load_dwordx2 v[24:25], v[4:5], off offset:1024
	s_or_b64 exec, exec, s[0:1]
                                        ; implicit-def: $vgpr26_vgpr27
	s_and_saveexec_b64 s[0:1], s[6:7]
	s_cbranch_execnz .LBB0_15
	s_branch .LBB0_16
.LBB0_57:
	s_waitcnt lgkmcnt(1)
	global_store_dwordx2 v[8:9], v[4:5], off
	s_or_b64 exec, exec, s[4:5]
	s_and_saveexec_b64 s[4:5], s[0:1]
	s_cbranch_execz .LBB0_48
.LBB0_58:
	s_waitcnt lgkmcnt(1)
	global_store_dwordx2 v[8:9], v[6:7], off offset:2048
	s_or_b64 exec, exec, s[4:5]
	s_and_saveexec_b64 s[0:1], s[2:3]
	s_cbranch_execnz .LBB0_49
	s_branch .LBB0_50
	.section	.rodata,"a",@progbits
	.p2align	6, 0x0
	.amdhsa_kernel _ZN7rocprim17ROCPRIM_304000_NS6detail28radix_sort_block_sort_kernelINS1_36wrapped_radix_sort_block_sort_configINS0_13kernel_configILj256ELj4ELj4294967295EEEhN2at4cuda3cub6detail10OpaqueTypeILi8EEEEELb1EPKhPhPKSB_PSB_NS0_19identity_decomposerEEEvT1_T2_T3_T4_jT5_jj
		.amdhsa_group_segment_fixed_size 8192
		.amdhsa_private_segment_fixed_size 0
		.amdhsa_kernarg_size 304
		.amdhsa_user_sgpr_count 6
		.amdhsa_user_sgpr_private_segment_buffer 1
		.amdhsa_user_sgpr_dispatch_ptr 0
		.amdhsa_user_sgpr_queue_ptr 0
		.amdhsa_user_sgpr_kernarg_segment_ptr 1
		.amdhsa_user_sgpr_dispatch_id 0
		.amdhsa_user_sgpr_flat_scratch_init 0
		.amdhsa_user_sgpr_kernarg_preload_length 0
		.amdhsa_user_sgpr_kernarg_preload_offset 0
		.amdhsa_user_sgpr_private_segment_size 0
		.amdhsa_uses_dynamic_stack 0
		.amdhsa_system_sgpr_private_segment_wavefront_offset 0
		.amdhsa_system_sgpr_workgroup_id_x 1
		.amdhsa_system_sgpr_workgroup_id_y 0
		.amdhsa_system_sgpr_workgroup_id_z 0
		.amdhsa_system_sgpr_workgroup_info 0
		.amdhsa_system_vgpr_workitem_id 2
		.amdhsa_next_free_vgpr 50
		.amdhsa_next_free_sgpr 44
		.amdhsa_accum_offset 52
		.amdhsa_reserve_vcc 1
		.amdhsa_reserve_flat_scratch 0
		.amdhsa_float_round_mode_32 0
		.amdhsa_float_round_mode_16_64 0
		.amdhsa_float_denorm_mode_32 3
		.amdhsa_float_denorm_mode_16_64 3
		.amdhsa_dx10_clamp 1
		.amdhsa_ieee_mode 1
		.amdhsa_fp16_overflow 0
		.amdhsa_tg_split 0
		.amdhsa_exception_fp_ieee_invalid_op 0
		.amdhsa_exception_fp_denorm_src 0
		.amdhsa_exception_fp_ieee_div_zero 0
		.amdhsa_exception_fp_ieee_overflow 0
		.amdhsa_exception_fp_ieee_underflow 0
		.amdhsa_exception_fp_ieee_inexact 0
		.amdhsa_exception_int_div_zero 0
	.end_amdhsa_kernel
	.section	.text._ZN7rocprim17ROCPRIM_304000_NS6detail28radix_sort_block_sort_kernelINS1_36wrapped_radix_sort_block_sort_configINS0_13kernel_configILj256ELj4ELj4294967295EEEhN2at4cuda3cub6detail10OpaqueTypeILi8EEEEELb1EPKhPhPKSB_PSB_NS0_19identity_decomposerEEEvT1_T2_T3_T4_jT5_jj,"axG",@progbits,_ZN7rocprim17ROCPRIM_304000_NS6detail28radix_sort_block_sort_kernelINS1_36wrapped_radix_sort_block_sort_configINS0_13kernel_configILj256ELj4ELj4294967295EEEhN2at4cuda3cub6detail10OpaqueTypeILi8EEEEELb1EPKhPhPKSB_PSB_NS0_19identity_decomposerEEEvT1_T2_T3_T4_jT5_jj,comdat
.Lfunc_end0:
	.size	_ZN7rocprim17ROCPRIM_304000_NS6detail28radix_sort_block_sort_kernelINS1_36wrapped_radix_sort_block_sort_configINS0_13kernel_configILj256ELj4ELj4294967295EEEhN2at4cuda3cub6detail10OpaqueTypeILi8EEEEELb1EPKhPhPKSB_PSB_NS0_19identity_decomposerEEEvT1_T2_T3_T4_jT5_jj, .Lfunc_end0-_ZN7rocprim17ROCPRIM_304000_NS6detail28radix_sort_block_sort_kernelINS1_36wrapped_radix_sort_block_sort_configINS0_13kernel_configILj256ELj4ELj4294967295EEEhN2at4cuda3cub6detail10OpaqueTypeILi8EEEEELb1EPKhPhPKSB_PSB_NS0_19identity_decomposerEEEvT1_T2_T3_T4_jT5_jj
                                        ; -- End function
	.section	.AMDGPU.csdata,"",@progbits
; Kernel info:
; codeLenInByte = 4004
; NumSgprs: 48
; NumVgprs: 50
; NumAgprs: 0
; TotalNumVgprs: 50
; ScratchSize: 0
; MemoryBound: 0
; FloatMode: 240
; IeeeMode: 1
; LDSByteSize: 8192 bytes/workgroup (compile time only)
; SGPRBlocks: 5
; VGPRBlocks: 6
; NumSGPRsForWavesPerEU: 48
; NumVGPRsForWavesPerEU: 50
; AccumOffset: 52
; Occupancy: 8
; WaveLimiterHint : 1
; COMPUTE_PGM_RSRC2:SCRATCH_EN: 0
; COMPUTE_PGM_RSRC2:USER_SGPR: 6
; COMPUTE_PGM_RSRC2:TRAP_HANDLER: 0
; COMPUTE_PGM_RSRC2:TGID_X_EN: 1
; COMPUTE_PGM_RSRC2:TGID_Y_EN: 0
; COMPUTE_PGM_RSRC2:TGID_Z_EN: 0
; COMPUTE_PGM_RSRC2:TIDIG_COMP_CNT: 2
; COMPUTE_PGM_RSRC3_GFX90A:ACCUM_OFFSET: 12
; COMPUTE_PGM_RSRC3_GFX90A:TG_SPLIT: 0
	.section	.text._ZN7rocprim17ROCPRIM_304000_NS6detail39device_merge_sort_compile_time_verifierINS1_36wrapped_merge_sort_block_sort_configINS1_28merge_sort_block_sort_configILj256ELj4ELNS0_20block_sort_algorithmE0EEEhN2at4cuda3cub6detail10OpaqueTypeILi8EEEEENS1_37wrapped_merge_sort_block_merge_configINS0_14default_configEhSC_EEEEvv,"axG",@progbits,_ZN7rocprim17ROCPRIM_304000_NS6detail39device_merge_sort_compile_time_verifierINS1_36wrapped_merge_sort_block_sort_configINS1_28merge_sort_block_sort_configILj256ELj4ELNS0_20block_sort_algorithmE0EEEhN2at4cuda3cub6detail10OpaqueTypeILi8EEEEENS1_37wrapped_merge_sort_block_merge_configINS0_14default_configEhSC_EEEEvv,comdat
	.protected	_ZN7rocprim17ROCPRIM_304000_NS6detail39device_merge_sort_compile_time_verifierINS1_36wrapped_merge_sort_block_sort_configINS1_28merge_sort_block_sort_configILj256ELj4ELNS0_20block_sort_algorithmE0EEEhN2at4cuda3cub6detail10OpaqueTypeILi8EEEEENS1_37wrapped_merge_sort_block_merge_configINS0_14default_configEhSC_EEEEvv ; -- Begin function _ZN7rocprim17ROCPRIM_304000_NS6detail39device_merge_sort_compile_time_verifierINS1_36wrapped_merge_sort_block_sort_configINS1_28merge_sort_block_sort_configILj256ELj4ELNS0_20block_sort_algorithmE0EEEhN2at4cuda3cub6detail10OpaqueTypeILi8EEEEENS1_37wrapped_merge_sort_block_merge_configINS0_14default_configEhSC_EEEEvv
	.globl	_ZN7rocprim17ROCPRIM_304000_NS6detail39device_merge_sort_compile_time_verifierINS1_36wrapped_merge_sort_block_sort_configINS1_28merge_sort_block_sort_configILj256ELj4ELNS0_20block_sort_algorithmE0EEEhN2at4cuda3cub6detail10OpaqueTypeILi8EEEEENS1_37wrapped_merge_sort_block_merge_configINS0_14default_configEhSC_EEEEvv
	.p2align	8
	.type	_ZN7rocprim17ROCPRIM_304000_NS6detail39device_merge_sort_compile_time_verifierINS1_36wrapped_merge_sort_block_sort_configINS1_28merge_sort_block_sort_configILj256ELj4ELNS0_20block_sort_algorithmE0EEEhN2at4cuda3cub6detail10OpaqueTypeILi8EEEEENS1_37wrapped_merge_sort_block_merge_configINS0_14default_configEhSC_EEEEvv,@function
_ZN7rocprim17ROCPRIM_304000_NS6detail39device_merge_sort_compile_time_verifierINS1_36wrapped_merge_sort_block_sort_configINS1_28merge_sort_block_sort_configILj256ELj4ELNS0_20block_sort_algorithmE0EEEhN2at4cuda3cub6detail10OpaqueTypeILi8EEEEENS1_37wrapped_merge_sort_block_merge_configINS0_14default_configEhSC_EEEEvv: ; @_ZN7rocprim17ROCPRIM_304000_NS6detail39device_merge_sort_compile_time_verifierINS1_36wrapped_merge_sort_block_sort_configINS1_28merge_sort_block_sort_configILj256ELj4ELNS0_20block_sort_algorithmE0EEEhN2at4cuda3cub6detail10OpaqueTypeILi8EEEEENS1_37wrapped_merge_sort_block_merge_configINS0_14default_configEhSC_EEEEvv
; %bb.0:
	s_endpgm
	.section	.rodata,"a",@progbits
	.p2align	6, 0x0
	.amdhsa_kernel _ZN7rocprim17ROCPRIM_304000_NS6detail39device_merge_sort_compile_time_verifierINS1_36wrapped_merge_sort_block_sort_configINS1_28merge_sort_block_sort_configILj256ELj4ELNS0_20block_sort_algorithmE0EEEhN2at4cuda3cub6detail10OpaqueTypeILi8EEEEENS1_37wrapped_merge_sort_block_merge_configINS0_14default_configEhSC_EEEEvv
		.amdhsa_group_segment_fixed_size 0
		.amdhsa_private_segment_fixed_size 0
		.amdhsa_kernarg_size 0
		.amdhsa_user_sgpr_count 4
		.amdhsa_user_sgpr_private_segment_buffer 1
		.amdhsa_user_sgpr_dispatch_ptr 0
		.amdhsa_user_sgpr_queue_ptr 0
		.amdhsa_user_sgpr_kernarg_segment_ptr 0
		.amdhsa_user_sgpr_dispatch_id 0
		.amdhsa_user_sgpr_flat_scratch_init 0
		.amdhsa_user_sgpr_kernarg_preload_length 0
		.amdhsa_user_sgpr_kernarg_preload_offset 0
		.amdhsa_user_sgpr_private_segment_size 0
		.amdhsa_uses_dynamic_stack 0
		.amdhsa_system_sgpr_private_segment_wavefront_offset 0
		.amdhsa_system_sgpr_workgroup_id_x 1
		.amdhsa_system_sgpr_workgroup_id_y 0
		.amdhsa_system_sgpr_workgroup_id_z 0
		.amdhsa_system_sgpr_workgroup_info 0
		.amdhsa_system_vgpr_workitem_id 0
		.amdhsa_next_free_vgpr 1
		.amdhsa_next_free_sgpr 0
		.amdhsa_accum_offset 4
		.amdhsa_reserve_vcc 0
		.amdhsa_reserve_flat_scratch 0
		.amdhsa_float_round_mode_32 0
		.amdhsa_float_round_mode_16_64 0
		.amdhsa_float_denorm_mode_32 3
		.amdhsa_float_denorm_mode_16_64 3
		.amdhsa_dx10_clamp 1
		.amdhsa_ieee_mode 1
		.amdhsa_fp16_overflow 0
		.amdhsa_tg_split 0
		.amdhsa_exception_fp_ieee_invalid_op 0
		.amdhsa_exception_fp_denorm_src 0
		.amdhsa_exception_fp_ieee_div_zero 0
		.amdhsa_exception_fp_ieee_overflow 0
		.amdhsa_exception_fp_ieee_underflow 0
		.amdhsa_exception_fp_ieee_inexact 0
		.amdhsa_exception_int_div_zero 0
	.end_amdhsa_kernel
	.section	.text._ZN7rocprim17ROCPRIM_304000_NS6detail39device_merge_sort_compile_time_verifierINS1_36wrapped_merge_sort_block_sort_configINS1_28merge_sort_block_sort_configILj256ELj4ELNS0_20block_sort_algorithmE0EEEhN2at4cuda3cub6detail10OpaqueTypeILi8EEEEENS1_37wrapped_merge_sort_block_merge_configINS0_14default_configEhSC_EEEEvv,"axG",@progbits,_ZN7rocprim17ROCPRIM_304000_NS6detail39device_merge_sort_compile_time_verifierINS1_36wrapped_merge_sort_block_sort_configINS1_28merge_sort_block_sort_configILj256ELj4ELNS0_20block_sort_algorithmE0EEEhN2at4cuda3cub6detail10OpaqueTypeILi8EEEEENS1_37wrapped_merge_sort_block_merge_configINS0_14default_configEhSC_EEEEvv,comdat
.Lfunc_end1:
	.size	_ZN7rocprim17ROCPRIM_304000_NS6detail39device_merge_sort_compile_time_verifierINS1_36wrapped_merge_sort_block_sort_configINS1_28merge_sort_block_sort_configILj256ELj4ELNS0_20block_sort_algorithmE0EEEhN2at4cuda3cub6detail10OpaqueTypeILi8EEEEENS1_37wrapped_merge_sort_block_merge_configINS0_14default_configEhSC_EEEEvv, .Lfunc_end1-_ZN7rocprim17ROCPRIM_304000_NS6detail39device_merge_sort_compile_time_verifierINS1_36wrapped_merge_sort_block_sort_configINS1_28merge_sort_block_sort_configILj256ELj4ELNS0_20block_sort_algorithmE0EEEhN2at4cuda3cub6detail10OpaqueTypeILi8EEEEENS1_37wrapped_merge_sort_block_merge_configINS0_14default_configEhSC_EEEEvv
                                        ; -- End function
	.section	.AMDGPU.csdata,"",@progbits
; Kernel info:
; codeLenInByte = 4
; NumSgprs: 4
; NumVgprs: 0
; NumAgprs: 0
; TotalNumVgprs: 0
; ScratchSize: 0
; MemoryBound: 0
; FloatMode: 240
; IeeeMode: 1
; LDSByteSize: 0 bytes/workgroup (compile time only)
; SGPRBlocks: 0
; VGPRBlocks: 0
; NumSGPRsForWavesPerEU: 4
; NumVGPRsForWavesPerEU: 1
; AccumOffset: 4
; Occupancy: 8
; WaveLimiterHint : 0
; COMPUTE_PGM_RSRC2:SCRATCH_EN: 0
; COMPUTE_PGM_RSRC2:USER_SGPR: 4
; COMPUTE_PGM_RSRC2:TRAP_HANDLER: 0
; COMPUTE_PGM_RSRC2:TGID_X_EN: 1
; COMPUTE_PGM_RSRC2:TGID_Y_EN: 0
; COMPUTE_PGM_RSRC2:TGID_Z_EN: 0
; COMPUTE_PGM_RSRC2:TIDIG_COMP_CNT: 0
; COMPUTE_PGM_RSRC3_GFX90A:ACCUM_OFFSET: 0
; COMPUTE_PGM_RSRC3_GFX90A:TG_SPLIT: 0
	.section	.text._ZN7rocprim17ROCPRIM_304000_NS6detail45device_block_merge_mergepath_partition_kernelINS1_37wrapped_merge_sort_block_merge_configINS0_14default_configEhN2at4cuda3cub6detail10OpaqueTypeILi8EEEEEPhjNS1_19radix_merge_compareILb1ELb0EhNS0_19identity_decomposerEEEEEvT0_T1_jPSH_T2_SH_,"axG",@progbits,_ZN7rocprim17ROCPRIM_304000_NS6detail45device_block_merge_mergepath_partition_kernelINS1_37wrapped_merge_sort_block_merge_configINS0_14default_configEhN2at4cuda3cub6detail10OpaqueTypeILi8EEEEEPhjNS1_19radix_merge_compareILb1ELb0EhNS0_19identity_decomposerEEEEEvT0_T1_jPSH_T2_SH_,comdat
	.protected	_ZN7rocprim17ROCPRIM_304000_NS6detail45device_block_merge_mergepath_partition_kernelINS1_37wrapped_merge_sort_block_merge_configINS0_14default_configEhN2at4cuda3cub6detail10OpaqueTypeILi8EEEEEPhjNS1_19radix_merge_compareILb1ELb0EhNS0_19identity_decomposerEEEEEvT0_T1_jPSH_T2_SH_ ; -- Begin function _ZN7rocprim17ROCPRIM_304000_NS6detail45device_block_merge_mergepath_partition_kernelINS1_37wrapped_merge_sort_block_merge_configINS0_14default_configEhN2at4cuda3cub6detail10OpaqueTypeILi8EEEEEPhjNS1_19radix_merge_compareILb1ELb0EhNS0_19identity_decomposerEEEEEvT0_T1_jPSH_T2_SH_
	.globl	_ZN7rocprim17ROCPRIM_304000_NS6detail45device_block_merge_mergepath_partition_kernelINS1_37wrapped_merge_sort_block_merge_configINS0_14default_configEhN2at4cuda3cub6detail10OpaqueTypeILi8EEEEEPhjNS1_19radix_merge_compareILb1ELb0EhNS0_19identity_decomposerEEEEEvT0_T1_jPSH_T2_SH_
	.p2align	8
	.type	_ZN7rocprim17ROCPRIM_304000_NS6detail45device_block_merge_mergepath_partition_kernelINS1_37wrapped_merge_sort_block_merge_configINS0_14default_configEhN2at4cuda3cub6detail10OpaqueTypeILi8EEEEEPhjNS1_19radix_merge_compareILb1ELb0EhNS0_19identity_decomposerEEEEEvT0_T1_jPSH_T2_SH_,@function
_ZN7rocprim17ROCPRIM_304000_NS6detail45device_block_merge_mergepath_partition_kernelINS1_37wrapped_merge_sort_block_merge_configINS0_14default_configEhN2at4cuda3cub6detail10OpaqueTypeILi8EEEEEPhjNS1_19radix_merge_compareILb1ELb0EhNS0_19identity_decomposerEEEEEvT0_T1_jPSH_T2_SH_: ; @_ZN7rocprim17ROCPRIM_304000_NS6detail45device_block_merge_mergepath_partition_kernelINS1_37wrapped_merge_sort_block_merge_configINS0_14default_configEhN2at4cuda3cub6detail10OpaqueTypeILi8EEEEEPhjNS1_19radix_merge_compareILb1ELb0EhNS0_19identity_decomposerEEEEEvT0_T1_jPSH_T2_SH_
; %bb.0:
	s_load_dwordx2 s[0:1], s[4:5], 0x8
	v_lshl_or_b32 v0, s6, 7, v0
	s_waitcnt lgkmcnt(0)
	v_cmp_gt_u32_e32 vcc, s1, v0
	s_and_saveexec_b64 s[2:3], vcc
	s_cbranch_execz .LBB2_6
; %bb.1:
	s_load_dword s1, s[4:5], 0x1c
	s_waitcnt lgkmcnt(0)
	s_lshr_b32 s2, s1, 9
	s_and_b32 s2, s2, 0x7ffffe
	s_add_i32 s3, s2, -1
	s_sub_i32 s2, 0, s2
	v_and_b32_e32 v1, s2, v0
	v_lshlrev_b32_e32 v3, 10, v1
	v_min_u32_e32 v1, s0, v3
	v_add_u32_e32 v3, s1, v3
	v_min_u32_e32 v7, s0, v3
	v_add_u32_e32 v3, s1, v7
	v_and_b32_e32 v2, s3, v0
	v_min_u32_e32 v4, s0, v3
	v_lshlrev_b32_e32 v2, 10, v2
	v_sub_u32_e32 v3, v4, v1
	v_min_u32_e32 v3, v3, v2
	v_sub_u32_e32 v5, v7, v1
	v_sub_u32_e32 v2, v4, v7
	v_sub_u32_e64 v2, v3, v2 clamp
	v_min_u32_e32 v4, v3, v5
	v_cmp_lt_u32_e32 vcc, v2, v4
	s_and_saveexec_b64 s[0:1], vcc
	s_cbranch_execz .LBB2_5
; %bb.2:
	s_load_dwordx2 s[2:3], s[4:5], 0x0
	s_waitcnt lgkmcnt(0)
	v_mov_b32_e32 v8, s3
	v_add_co_u32_e32 v5, vcc, s2, v1
	v_addc_co_u32_e32 v6, vcc, 0, v8, vcc
	v_add_co_u32_e32 v7, vcc, s2, v7
	v_addc_co_u32_e32 v8, vcc, 0, v8, vcc
	s_mov_b64 s[2:3], 0
.LBB2_3:                                ; =>This Inner Loop Header: Depth=1
	v_add_u32_e32 v9, v4, v2
	v_lshrrev_b32_e32 v9, 1, v9
	v_add_co_u32_e32 v10, vcc, v5, v9
	v_xad_u32 v12, v9, -1, v3
	v_addc_co_u32_e32 v11, vcc, 0, v6, vcc
	v_add_co_u32_e32 v12, vcc, v7, v12
	v_addc_co_u32_e32 v13, vcc, 0, v8, vcc
	global_load_ubyte v14, v[10:11], off
	global_load_ubyte v15, v[12:13], off
	v_add_u32_e32 v10, 1, v9
	s_waitcnt vmcnt(0)
	v_cmp_gt_u16_e32 vcc, v15, v14
	v_cndmask_b32_e32 v4, v4, v9, vcc
	v_cndmask_b32_e32 v2, v10, v2, vcc
	v_cmp_ge_u32_e32 vcc, v2, v4
	s_or_b64 s[2:3], vcc, s[2:3]
	s_andn2_b64 exec, exec, s[2:3]
	s_cbranch_execnz .LBB2_3
; %bb.4:
	s_or_b64 exec, exec, s[2:3]
.LBB2_5:
	s_or_b64 exec, exec, s[0:1]
	s_load_dwordx2 s[0:1], s[4:5], 0x10
	v_add_u32_e32 v2, v2, v1
	v_mov_b32_e32 v1, 0
	v_lshlrev_b64 v[0:1], 2, v[0:1]
	s_waitcnt lgkmcnt(0)
	v_mov_b32_e32 v3, s1
	v_add_co_u32_e32 v0, vcc, s0, v0
	v_addc_co_u32_e32 v1, vcc, v3, v1, vcc
	global_store_dword v[0:1], v2, off
.LBB2_6:
	s_endpgm
	.section	.rodata,"a",@progbits
	.p2align	6, 0x0
	.amdhsa_kernel _ZN7rocprim17ROCPRIM_304000_NS6detail45device_block_merge_mergepath_partition_kernelINS1_37wrapped_merge_sort_block_merge_configINS0_14default_configEhN2at4cuda3cub6detail10OpaqueTypeILi8EEEEEPhjNS1_19radix_merge_compareILb1ELb0EhNS0_19identity_decomposerEEEEEvT0_T1_jPSH_T2_SH_
		.amdhsa_group_segment_fixed_size 0
		.amdhsa_private_segment_fixed_size 0
		.amdhsa_kernarg_size 32
		.amdhsa_user_sgpr_count 6
		.amdhsa_user_sgpr_private_segment_buffer 1
		.amdhsa_user_sgpr_dispatch_ptr 0
		.amdhsa_user_sgpr_queue_ptr 0
		.amdhsa_user_sgpr_kernarg_segment_ptr 1
		.amdhsa_user_sgpr_dispatch_id 0
		.amdhsa_user_sgpr_flat_scratch_init 0
		.amdhsa_user_sgpr_kernarg_preload_length 0
		.amdhsa_user_sgpr_kernarg_preload_offset 0
		.amdhsa_user_sgpr_private_segment_size 0
		.amdhsa_uses_dynamic_stack 0
		.amdhsa_system_sgpr_private_segment_wavefront_offset 0
		.amdhsa_system_sgpr_workgroup_id_x 1
		.amdhsa_system_sgpr_workgroup_id_y 0
		.amdhsa_system_sgpr_workgroup_id_z 0
		.amdhsa_system_sgpr_workgroup_info 0
		.amdhsa_system_vgpr_workitem_id 0
		.amdhsa_next_free_vgpr 16
		.amdhsa_next_free_sgpr 7
		.amdhsa_accum_offset 16
		.amdhsa_reserve_vcc 1
		.amdhsa_reserve_flat_scratch 0
		.amdhsa_float_round_mode_32 0
		.amdhsa_float_round_mode_16_64 0
		.amdhsa_float_denorm_mode_32 3
		.amdhsa_float_denorm_mode_16_64 3
		.amdhsa_dx10_clamp 1
		.amdhsa_ieee_mode 1
		.amdhsa_fp16_overflow 0
		.amdhsa_tg_split 0
		.amdhsa_exception_fp_ieee_invalid_op 0
		.amdhsa_exception_fp_denorm_src 0
		.amdhsa_exception_fp_ieee_div_zero 0
		.amdhsa_exception_fp_ieee_overflow 0
		.amdhsa_exception_fp_ieee_underflow 0
		.amdhsa_exception_fp_ieee_inexact 0
		.amdhsa_exception_int_div_zero 0
	.end_amdhsa_kernel
	.section	.text._ZN7rocprim17ROCPRIM_304000_NS6detail45device_block_merge_mergepath_partition_kernelINS1_37wrapped_merge_sort_block_merge_configINS0_14default_configEhN2at4cuda3cub6detail10OpaqueTypeILi8EEEEEPhjNS1_19radix_merge_compareILb1ELb0EhNS0_19identity_decomposerEEEEEvT0_T1_jPSH_T2_SH_,"axG",@progbits,_ZN7rocprim17ROCPRIM_304000_NS6detail45device_block_merge_mergepath_partition_kernelINS1_37wrapped_merge_sort_block_merge_configINS0_14default_configEhN2at4cuda3cub6detail10OpaqueTypeILi8EEEEEPhjNS1_19radix_merge_compareILb1ELb0EhNS0_19identity_decomposerEEEEEvT0_T1_jPSH_T2_SH_,comdat
.Lfunc_end2:
	.size	_ZN7rocprim17ROCPRIM_304000_NS6detail45device_block_merge_mergepath_partition_kernelINS1_37wrapped_merge_sort_block_merge_configINS0_14default_configEhN2at4cuda3cub6detail10OpaqueTypeILi8EEEEEPhjNS1_19radix_merge_compareILb1ELb0EhNS0_19identity_decomposerEEEEEvT0_T1_jPSH_T2_SH_, .Lfunc_end2-_ZN7rocprim17ROCPRIM_304000_NS6detail45device_block_merge_mergepath_partition_kernelINS1_37wrapped_merge_sort_block_merge_configINS0_14default_configEhN2at4cuda3cub6detail10OpaqueTypeILi8EEEEEPhjNS1_19radix_merge_compareILb1ELb0EhNS0_19identity_decomposerEEEEEvT0_T1_jPSH_T2_SH_
                                        ; -- End function
	.section	.AMDGPU.csdata,"",@progbits
; Kernel info:
; codeLenInByte = 320
; NumSgprs: 11
; NumVgprs: 16
; NumAgprs: 0
; TotalNumVgprs: 16
; ScratchSize: 0
; MemoryBound: 0
; FloatMode: 240
; IeeeMode: 1
; LDSByteSize: 0 bytes/workgroup (compile time only)
; SGPRBlocks: 1
; VGPRBlocks: 1
; NumSGPRsForWavesPerEU: 11
; NumVGPRsForWavesPerEU: 16
; AccumOffset: 16
; Occupancy: 8
; WaveLimiterHint : 0
; COMPUTE_PGM_RSRC2:SCRATCH_EN: 0
; COMPUTE_PGM_RSRC2:USER_SGPR: 6
; COMPUTE_PGM_RSRC2:TRAP_HANDLER: 0
; COMPUTE_PGM_RSRC2:TGID_X_EN: 1
; COMPUTE_PGM_RSRC2:TGID_Y_EN: 0
; COMPUTE_PGM_RSRC2:TGID_Z_EN: 0
; COMPUTE_PGM_RSRC2:TIDIG_COMP_CNT: 0
; COMPUTE_PGM_RSRC3_GFX90A:ACCUM_OFFSET: 3
; COMPUTE_PGM_RSRC3_GFX90A:TG_SPLIT: 0
	.section	.text._ZN7rocprim17ROCPRIM_304000_NS6detail35device_block_merge_mergepath_kernelINS1_37wrapped_merge_sort_block_merge_configINS0_14default_configEhN2at4cuda3cub6detail10OpaqueTypeILi8EEEEEPhSC_PSA_SD_jNS1_19radix_merge_compareILb1ELb0EhNS0_19identity_decomposerEEEEEvT0_T1_T2_T3_T4_SL_jT5_PKSL_NS1_7vsmem_tE,"axG",@progbits,_ZN7rocprim17ROCPRIM_304000_NS6detail35device_block_merge_mergepath_kernelINS1_37wrapped_merge_sort_block_merge_configINS0_14default_configEhN2at4cuda3cub6detail10OpaqueTypeILi8EEEEEPhSC_PSA_SD_jNS1_19radix_merge_compareILb1ELb0EhNS0_19identity_decomposerEEEEEvT0_T1_T2_T3_T4_SL_jT5_PKSL_NS1_7vsmem_tE,comdat
	.protected	_ZN7rocprim17ROCPRIM_304000_NS6detail35device_block_merge_mergepath_kernelINS1_37wrapped_merge_sort_block_merge_configINS0_14default_configEhN2at4cuda3cub6detail10OpaqueTypeILi8EEEEEPhSC_PSA_SD_jNS1_19radix_merge_compareILb1ELb0EhNS0_19identity_decomposerEEEEEvT0_T1_T2_T3_T4_SL_jT5_PKSL_NS1_7vsmem_tE ; -- Begin function _ZN7rocprim17ROCPRIM_304000_NS6detail35device_block_merge_mergepath_kernelINS1_37wrapped_merge_sort_block_merge_configINS0_14default_configEhN2at4cuda3cub6detail10OpaqueTypeILi8EEEEEPhSC_PSA_SD_jNS1_19radix_merge_compareILb1ELb0EhNS0_19identity_decomposerEEEEEvT0_T1_T2_T3_T4_SL_jT5_PKSL_NS1_7vsmem_tE
	.globl	_ZN7rocprim17ROCPRIM_304000_NS6detail35device_block_merge_mergepath_kernelINS1_37wrapped_merge_sort_block_merge_configINS0_14default_configEhN2at4cuda3cub6detail10OpaqueTypeILi8EEEEEPhSC_PSA_SD_jNS1_19radix_merge_compareILb1ELb0EhNS0_19identity_decomposerEEEEEvT0_T1_T2_T3_T4_SL_jT5_PKSL_NS1_7vsmem_tE
	.p2align	8
	.type	_ZN7rocprim17ROCPRIM_304000_NS6detail35device_block_merge_mergepath_kernelINS1_37wrapped_merge_sort_block_merge_configINS0_14default_configEhN2at4cuda3cub6detail10OpaqueTypeILi8EEEEEPhSC_PSA_SD_jNS1_19radix_merge_compareILb1ELb0EhNS0_19identity_decomposerEEEEEvT0_T1_T2_T3_T4_SL_jT5_PKSL_NS1_7vsmem_tE,@function
_ZN7rocprim17ROCPRIM_304000_NS6detail35device_block_merge_mergepath_kernelINS1_37wrapped_merge_sort_block_merge_configINS0_14default_configEhN2at4cuda3cub6detail10OpaqueTypeILi8EEEEEPhSC_PSA_SD_jNS1_19radix_merge_compareILb1ELb0EhNS0_19identity_decomposerEEEEEvT0_T1_T2_T3_T4_SL_jT5_PKSL_NS1_7vsmem_tE: ; @_ZN7rocprim17ROCPRIM_304000_NS6detail35device_block_merge_mergepath_kernelINS1_37wrapped_merge_sort_block_merge_configINS0_14default_configEhN2at4cuda3cub6detail10OpaqueTypeILi8EEEEEPhSC_PSA_SD_jNS1_19radix_merge_compareILb1ELb0EhNS0_19identity_decomposerEEEEEvT0_T1_T2_T3_T4_SL_jT5_PKSL_NS1_7vsmem_tE
; %bb.0:
	s_load_dwordx2 s[24:25], s[4:5], 0x40
	s_load_dwordx4 s[16:19], s[4:5], 0x20
	s_add_u32 s2, s4, 64
	s_addc_u32 s3, s5, 0
	s_waitcnt lgkmcnt(0)
	s_mul_i32 s0, s25, s8
	s_add_i32 s0, s0, s7
	s_mul_i32 s0, s0, s24
	s_add_i32 s0, s0, s6
	s_cmp_ge_u32 s0, s18
	s_cbranch_scc1 .LBB3_75
; %bb.1:
	s_load_dwordx8 s[8:15], s[4:5], 0x0
	s_load_dwordx2 s[20:21], s[4:5], 0x30
	s_lshr_b32 s29, s16, 10
	s_cmp_lg_u32 s0, s29
	s_mov_b32 s1, 0
	s_cselect_b64 s[18:19], -1, 0
	s_lshl_b64 s[4:5], s[0:1], 2
	s_waitcnt lgkmcnt(0)
	s_add_u32 s4, s20, s4
	s_addc_u32 s5, s21, s5
	s_load_dwordx2 s[20:21], s[4:5], 0x0
	s_lshr_b32 s4, s17, 9
	s_and_b32 s4, s4, 0x7ffffe
	s_sub_i32 s4, 0, s4
	s_and_b32 s5, s0, s4
	s_lshl_b32 s7, s5, 10
	s_lshl_b32 s25, s0, 10
	;; [unrolled: 1-line block ×3, first 2 shown]
	s_sub_i32 s22, s25, s7
	s_add_i32 s5, s5, s17
	s_add_i32 s23, s5, s22
	s_waitcnt lgkmcnt(0)
	s_sub_i32 s22, s23, s20
	s_sub_i32 s23, s23, s21
	;; [unrolled: 1-line block ×3, first 2 shown]
	s_min_u32 s22, s16, s22
	s_addk_i32 s23, 0x400
	s_or_b32 s4, s0, s4
	s_min_u32 s7, s16, s5
	s_add_i32 s5, s5, s17
	s_cmp_eq_u32 s4, -1
	s_cselect_b32 s4, s5, s23
	s_cselect_b32 s5, s7, s21
	s_min_u32 s4, s4, s16
	s_sub_i32 s26, s5, s20
	s_sub_i32 s27, s4, s22
	s_add_u32 s5, s8, s20
	s_addc_u32 s28, s9, 0
	s_add_u32 s4, s8, s22
	s_addc_u32 s7, s9, 0
	s_cmp_lt_u32 s6, s24
	v_mov_b32_e32 v1, 0
	s_cselect_b32 s6, 12, 18
	global_load_dword v2, v1, s[2:3] offset:14
	s_add_u32 s2, s2, s6
	s_addc_u32 s3, s3, 0
	global_load_ushort v1, v1, s[2:3]
	s_mov_b32 s23, s1
	s_mov_b32 s21, s1
	s_cmp_eq_u32 s0, s29
	v_cmp_gt_u32_e32 vcc, s26, v0
	s_waitcnt vmcnt(1)
	v_lshrrev_b32_e32 v3, 16, v2
	v_and_b32_e32 v2, 0xffff, v2
	v_mul_lo_u32 v2, v2, v3
	s_waitcnt vmcnt(0)
	v_mul_lo_u32 v2, v2, v1
	v_add_u32_e32 v4, v2, v0
	v_add_u32_e32 v3, v4, v2
	s_cbranch_scc1 .LBB3_3
; %bb.2:
	v_mov_b32_e32 v1, s28
	v_add_co_u32_e64 v5, s[0:1], s5, v0
	v_addc_co_u32_e64 v1, s[0:1], 0, v1, s[0:1]
	v_subrev_u32_e32 v6, s26, v0
	v_mov_b32_e32 v7, s7
	v_add_co_u32_e64 v6, s[0:1], s4, v6
	v_addc_co_u32_e64 v7, s[0:1], 0, v7, s[0:1]
	v_cndmask_b32_e32 v11, v7, v1, vcc
	v_cndmask_b32_e32 v10, v6, v5, vcc
	v_mov_b32_e32 v1, s28
	v_add_co_u32_e32 v5, vcc, s5, v4
	v_addc_co_u32_e32 v1, vcc, 0, v1, vcc
	v_subrev_u32_e32 v6, s26, v4
	v_mov_b32_e32 v7, s7
	v_add_co_u32_e32 v6, vcc, s4, v6
	v_addc_co_u32_e32 v7, vcc, 0, v7, vcc
	v_cmp_gt_u32_e32 vcc, s26, v4
	v_cndmask_b32_e32 v13, v7, v1, vcc
	v_cndmask_b32_e32 v12, v6, v5, vcc
	v_mov_b32_e32 v1, s28
	v_add_co_u32_e32 v5, vcc, s5, v3
	v_addc_co_u32_e32 v1, vcc, 0, v1, vcc
	v_subrev_u32_e32 v6, s26, v3
	v_mov_b32_e32 v7, s7
	v_add_co_u32_e32 v6, vcc, s4, v6
	v_addc_co_u32_e32 v7, vcc, 0, v7, vcc
	v_cmp_gt_u32_e32 vcc, s26, v3
	v_cndmask_b32_e32 v15, v7, v1, vcc
	v_add_u32_e32 v1, v3, v2
	v_cndmask_b32_e32 v14, v6, v5, vcc
	v_mov_b32_e32 v5, s28
	v_add_co_u32_e32 v6, vcc, s5, v1
	v_addc_co_u32_e32 v5, vcc, 0, v5, vcc
	v_subrev_u32_e32 v7, s26, v1
	v_mov_b32_e32 v8, s7
	v_add_co_u32_e32 v7, vcc, s4, v7
	v_addc_co_u32_e32 v8, vcc, 0, v8, vcc
	v_cmp_gt_u32_e32 vcc, s26, v1
	v_cndmask_b32_e32 v17, v8, v5, vcc
	v_cndmask_b32_e32 v16, v7, v6, vcc
	global_load_ubyte v1, v[10:11], off
	global_load_ubyte v6, v[12:13], off
	;; [unrolled: 1-line block ×4, first 2 shown]
	s_add_i32 s17, s27, s26
	s_cbranch_execz .LBB3_4
	s_branch .LBB3_13
.LBB3_3:
                                        ; implicit-def: $vgpr1
                                        ; implicit-def: $vgpr6
                                        ; implicit-def: $vgpr7
                                        ; implicit-def: $vgpr9
                                        ; implicit-def: $sgpr17
.LBB3_4:
	s_add_i32 s17, s27, s26
	v_cmp_gt_u32_e32 vcc, s17, v0
                                        ; implicit-def: $vgpr1
	s_and_saveexec_b64 s[0:1], vcc
	s_cbranch_execz .LBB3_6
; %bb.5:
	s_waitcnt vmcnt(3)
	v_mov_b32_e32 v1, s28
	v_add_co_u32_e32 v5, vcc, s5, v0
	v_addc_co_u32_e32 v1, vcc, 0, v1, vcc
	s_waitcnt vmcnt(2)
	v_subrev_u32_e32 v6, s26, v0
	s_waitcnt vmcnt(1)
	v_mov_b32_e32 v7, s7
	v_add_co_u32_e32 v6, vcc, s4, v6
	v_addc_co_u32_e32 v7, vcc, 0, v7, vcc
	v_cmp_gt_u32_e32 vcc, s26, v0
	v_cndmask_b32_e32 v7, v7, v1, vcc
	v_cndmask_b32_e32 v6, v6, v5, vcc
	global_load_ubyte v1, v[6:7], off
.LBB3_6:
	s_or_b64 exec, exec, s[0:1]
	v_cmp_gt_u32_e32 vcc, s17, v4
                                        ; implicit-def: $vgpr6
	s_and_saveexec_b64 s[0:1], vcc
	s_cbranch_execz .LBB3_8
; %bb.7:
	v_mov_b32_e32 v5, s28
	s_waitcnt vmcnt(2)
	v_add_co_u32_e32 v6, vcc, s5, v4
	v_addc_co_u32_e32 v5, vcc, 0, v5, vcc
	s_waitcnt vmcnt(1)
	v_subrev_u32_e32 v7, s26, v4
	v_mov_b32_e32 v8, s7
	v_add_co_u32_e32 v7, vcc, s4, v7
	v_addc_co_u32_e32 v8, vcc, 0, v8, vcc
	v_cmp_gt_u32_e32 vcc, s26, v4
	v_cndmask_b32_e32 v5, v8, v5, vcc
	v_cndmask_b32_e32 v4, v7, v6, vcc
	global_load_ubyte v6, v[4:5], off
.LBB3_8:
	s_or_b64 exec, exec, s[0:1]
	v_cmp_gt_u32_e32 vcc, s17, v3
                                        ; implicit-def: $vgpr7
	s_and_saveexec_b64 s[0:1], vcc
	s_cbranch_execz .LBB3_10
; %bb.9:
	v_mov_b32_e32 v4, s28
	s_waitcnt vmcnt(1)
	v_add_co_u32_e32 v7, vcc, s5, v3
	v_addc_co_u32_e32 v4, vcc, 0, v4, vcc
	v_subrev_u32_e32 v5, s26, v3
	v_mov_b32_e32 v8, s7
	s_waitcnt vmcnt(0)
	v_add_co_u32_e32 v9, vcc, s4, v5
	v_addc_co_u32_e32 v5, vcc, 0, v8, vcc
	v_cmp_gt_u32_e32 vcc, s26, v3
	v_cndmask_b32_e32 v5, v5, v4, vcc
	v_cndmask_b32_e32 v4, v9, v7, vcc
	global_load_ubyte v7, v[4:5], off
.LBB3_10:
	s_or_b64 exec, exec, s[0:1]
	v_add_u32_e32 v2, v3, v2
	v_cmp_gt_u32_e32 vcc, s17, v2
                                        ; implicit-def: $vgpr9
	s_and_saveexec_b64 s[0:1], vcc
	s_cbranch_execz .LBB3_12
; %bb.11:
	v_mov_b32_e32 v3, s28
	v_add_co_u32_e32 v4, vcc, s5, v2
	v_addc_co_u32_e32 v3, vcc, 0, v3, vcc
	v_subrev_u32_e32 v5, s26, v2
	v_mov_b32_e32 v8, s7
	v_add_co_u32_e32 v5, vcc, s4, v5
	v_addc_co_u32_e32 v8, vcc, 0, v8, vcc
	v_cmp_gt_u32_e32 vcc, s26, v2
	v_cndmask_b32_e32 v3, v8, v3, vcc
	v_cndmask_b32_e32 v2, v5, v4, vcc
	global_load_ubyte v9, v[2:3], off
.LBB3_12:
	s_or_b64 exec, exec, s[0:1]
.LBB3_13:
	v_lshlrev_b32_e32 v8, 2, v0
	v_min_u32_e32 v3, s17, v8
	v_sub_u32_e64 v2, v3, s27 clamp
	v_min_u32_e32 v4, s26, v3
	v_cmp_lt_u32_e32 vcc, v2, v4
	s_waitcnt vmcnt(0)
	ds_write_b8 v0, v1
	ds_write_b8 v0, v6 offset:256
	ds_write_b8 v0, v7 offset:512
	;; [unrolled: 1-line block ×3, first 2 shown]
	s_waitcnt lgkmcnt(0)
	s_barrier
	s_and_saveexec_b64 s[0:1], vcc
	s_cbranch_execz .LBB3_17
; %bb.14:
	v_add_u32_e32 v5, s26, v3
	s_mov_b64 s[2:3], 0
.LBB3_15:                               ; =>This Inner Loop Header: Depth=1
	v_add_u32_e32 v10, v4, v2
	v_lshrrev_b32_e32 v10, 1, v10
	v_xad_u32 v11, v10, -1, v5
	ds_read_u8 v12, v10
	ds_read_u8 v11, v11
	v_add_u32_e32 v13, 1, v10
	s_waitcnt lgkmcnt(0)
	v_cmp_gt_u16_e32 vcc, v11, v12
	v_cndmask_b32_e32 v4, v4, v10, vcc
	v_cndmask_b32_e32 v2, v13, v2, vcc
	v_cmp_ge_u32_e32 vcc, v2, v4
	s_or_b64 s[2:3], vcc, s[2:3]
	s_andn2_b64 exec, exec, s[2:3]
	s_cbranch_execnz .LBB3_15
; %bb.16:
	s_or_b64 exec, exec, s[2:3]
.LBB3_17:
	s_or_b64 exec, exec, s[0:1]
	v_sub_u32_e32 v3, v3, v2
	v_add_u32_e32 v3, s26, v3
	v_cmp_ge_u32_e32 vcc, s26, v2
	v_cmp_ge_u32_e64 s[0:1], s17, v3
	s_or_b64 s[0:1], vcc, s[0:1]
                                        ; implicit-def: $vgpr10
                                        ; implicit-def: $vgpr11
                                        ; implicit-def: $vgpr12
                                        ; implicit-def: $vgpr13
	s_and_saveexec_b64 s[6:7], s[0:1]
	s_cbranch_execz .LBB3_23
; %bb.18:
	v_cmp_gt_u32_e32 vcc, s26, v2
                                        ; implicit-def: $vgpr1
	s_and_saveexec_b64 s[0:1], vcc
	s_cbranch_execz .LBB3_20
; %bb.19:
	ds_read_u8 v1, v2
.LBB3_20:
	s_or_b64 exec, exec, s[0:1]
	v_cmp_le_u32_e64 s[0:1], s17, v3
	v_cmp_gt_u32_e64 s[2:3], s17, v3
                                        ; implicit-def: $vgpr4
	s_and_saveexec_b64 s[4:5], s[2:3]
	s_cbranch_execz .LBB3_22
; %bb.21:
	ds_read_u8 v4, v3
.LBB3_22:
	s_or_b64 exec, exec, s[4:5]
	s_waitcnt lgkmcnt(0)
	v_cmp_le_u16_sdwa s[2:3], v4, v1 src0_sel:BYTE_0 src1_sel:BYTE_0
	s_and_b64 s[2:3], vcc, s[2:3]
	s_or_b64 vcc, s[0:1], s[2:3]
	v_mov_b32_e32 v5, s17
	v_mov_b32_e32 v6, s26
	v_cndmask_b32_e32 v13, v3, v2, vcc
	v_cndmask_b32_e32 v7, v5, v6, vcc
	v_add_u32_e32 v9, 1, v13
	v_add_u32_e32 v7, -1, v7
	v_min_u32_e32 v7, v9, v7
	ds_read_u8 v7, v7
	v_cndmask_b32_e32 v2, v2, v9, vcc
	v_cndmask_b32_e32 v3, v9, v3, vcc
	v_cmp_gt_u32_e64 s[2:3], s26, v2
	v_cmp_le_u32_e64 s[0:1], s17, v3
	s_waitcnt lgkmcnt(0)
	v_cndmask_b32_e32 v10, v7, v4, vcc
	v_cndmask_b32_e32 v7, v1, v7, vcc
	v_cmp_le_u16_sdwa s[4:5], v10, v7 src0_sel:BYTE_0 src1_sel:BYTE_0
	s_and_b64 s[2:3], s[2:3], s[4:5]
	s_or_b64 s[0:1], s[0:1], s[2:3]
	v_cndmask_b32_e64 v12, v3, v2, s[0:1]
	v_cndmask_b32_e64 v9, v5, v6, s[0:1]
	v_add_u32_e32 v11, 1, v12
	v_add_u32_e32 v9, -1, v9
	v_min_u32_e32 v9, v11, v9
	ds_read_u8 v9, v9
	v_cndmask_b32_e64 v2, v2, v11, s[0:1]
	v_cndmask_b32_e64 v3, v11, v3, s[0:1]
	v_cmp_gt_u32_e64 s[4:5], s26, v2
	v_cmp_le_u32_e64 s[2:3], s17, v3
	s_waitcnt lgkmcnt(0)
	v_cndmask_b32_e64 v14, v9, v10, s[0:1]
	v_cndmask_b32_e64 v9, v7, v9, s[0:1]
	v_cmp_le_u16_sdwa s[8:9], v14, v9 src0_sel:BYTE_0 src1_sel:BYTE_0
	s_and_b64 s[4:5], s[4:5], s[8:9]
	s_or_b64 s[2:3], s[2:3], s[4:5]
	v_cndmask_b32_e64 v11, v3, v2, s[2:3]
	v_cndmask_b32_e64 v5, v5, v6, s[2:3]
	v_add_u32_e32 v15, 1, v11
	v_add_u32_e32 v5, -1, v5
	v_min_u32_e32 v5, v15, v5
	ds_read_u8 v5, v5
	v_cndmask_b32_e32 v1, v4, v1, vcc
	v_cndmask_b32_e64 v2, v2, v15, s[2:3]
	v_cndmask_b32_e64 v6, v10, v7, s[0:1]
	;; [unrolled: 1-line block ×3, first 2 shown]
	s_waitcnt lgkmcnt(0)
	v_cndmask_b32_e64 v4, v5, v14, s[2:3]
	v_cndmask_b32_e64 v5, v9, v5, s[2:3]
	v_cndmask_b32_e64 v3, v15, v3, s[2:3]
	v_cmp_gt_u32_e64 s[0:1], s26, v2
	v_cmp_le_u16_sdwa s[2:3], v4, v5 src0_sel:BYTE_0 src1_sel:BYTE_0
	v_cmp_le_u32_e32 vcc, s17, v3
	s_and_b64 s[0:1], s[0:1], s[2:3]
	s_or_b64 vcc, vcc, s[0:1]
	v_cndmask_b32_e32 v10, v3, v2, vcc
	v_cndmask_b32_e32 v9, v4, v5, vcc
.LBB3_23:
	s_or_b64 exec, exec, s[6:7]
	s_lshl_b64 s[0:1], s[20:21], 3
	s_add_u32 s24, s12, s0
	s_addc_u32 s28, s13, s1
	s_lshl_b64 s[0:1], s[22:23], 3
	s_add_u32 s29, s12, s0
	v_cndmask_b32_e64 v2, 0, 1, s[18:19]
	s_addc_u32 s30, s13, s1
	v_cmp_gt_u32_e64 s[4:5], s26, v0
	v_cmp_ne_u32_e64 s[0:1], 1, v2
	s_andn2_b64 vcc, exec, s[18:19]
	v_cmp_le_u32_e64 s[2:3], s26, v0
	s_barrier
	s_cbranch_vccnz .LBB3_25
; %bb.24:
	v_subrev_u32_e32 v2, s26, v0
	v_mov_b32_e32 v3, 0
	v_lshlrev_b64 v[4:5], 3, v[2:3]
	v_mov_b32_e32 v2, s30
	v_add_co_u32_e32 v4, vcc, s29, v4
	v_addc_co_u32_e32 v2, vcc, v2, v5, vcc
	v_lshlrev_b32_e32 v20, 3, v0
	v_mov_b32_e32 v5, s28
	v_add_co_u32_e32 v21, vcc, s24, v20
	v_addc_co_u32_e32 v22, vcc, 0, v5, vcc
	v_cndmask_b32_e64 v5, v2, v22, s[4:5]
	v_cndmask_b32_e64 v4, v4, v21, s[4:5]
	v_or_b32_e32 v16, 0x100, v0
	s_movk_i32 s4, 0x800
	v_add_co_u32_e32 v17, vcc, s4, v21
	v_subrev_u32_e32 v2, s26, v16
	v_addc_co_u32_e32 v18, vcc, 0, v22, vcc
	v_lshlrev_b64 v[14:15], 3, v[2:3]
	v_mov_b32_e32 v2, s30
	v_add_co_u32_e32 v14, vcc, s29, v14
	v_addc_co_u32_e32 v2, vcc, v2, v15, vcc
	v_cmp_gt_u32_e32 vcc, s26, v16
	v_cndmask_b32_e32 v15, v2, v18, vcc
	v_or_b32_e32 v18, 0x200, v0
	s_movk_i32 s4, 0x1000
	v_cndmask_b32_e32 v14, v14, v17, vcc
	v_add_co_u32_e32 v19, vcc, s4, v21
	v_subrev_u32_e32 v2, s26, v18
	global_load_dwordx2 v[16:17], v[14:15], off
	v_addc_co_u32_e32 v23, vcc, 0, v22, vcc
	v_lshlrev_b64 v[14:15], 3, v[2:3]
	v_mov_b32_e32 v2, s30
	v_add_co_u32_e32 v14, vcc, s29, v14
	v_addc_co_u32_e32 v2, vcc, v2, v15, vcc
	v_cmp_gt_u32_e32 vcc, s26, v18
	global_load_dwordx2 v[4:5], v[4:5], off
	v_cndmask_b32_e32 v15, v2, v23, vcc
	v_cndmask_b32_e32 v14, v14, v19, vcc
	global_load_dwordx2 v[18:19], v[14:15], off
	v_or_b32_e32 v15, 0x300, v0
	s_movk_i32 s4, 0x1800
	v_add_co_u32_e32 v21, vcc, s4, v21
	v_subrev_u32_e32 v2, s26, v15
	v_addc_co_u32_e32 v22, vcc, 0, v22, vcc
	v_lshlrev_b64 v[2:3], 3, v[2:3]
	v_mov_b32_e32 v23, s30
	v_add_co_u32_e32 v2, vcc, s29, v2
	v_addc_co_u32_e32 v3, vcc, v23, v3, vcc
	v_cmp_gt_u32_e32 vcc, s26, v15
	v_or_b32_e32 v14, 0x1800, v20
	v_cndmask_b32_e32 v3, v3, v22, vcc
	v_cndmask_b32_e32 v2, v2, v21, vcc
	s_mov_b64 s[4:5], -1
	s_waitcnt vmcnt(1)
	ds_write2st64_b64 v20, v[4:5], v[16:17] offset1:4
	s_waitcnt vmcnt(0)
	ds_write_b64 v20, v[18:19] offset:4096
	s_cbranch_execz .LBB3_26
	s_branch .LBB3_47
.LBB3_25:
	s_mov_b64 s[4:5], 0
                                        ; implicit-def: $vgpr14
                                        ; implicit-def: $vgpr2_vgpr3
.LBB3_26:
	s_mov_b64 s[6:7], 0
                                        ; implicit-def: $vgpr2_vgpr3
	s_and_saveexec_b64 s[8:9], s[2:3]
	s_xor_b64 s[2:3], exec, s[8:9]
	s_cbranch_execz .LBB3_51
; %bb.27:
	v_subrev_u32_e32 v4, s26, v0
	v_cmp_gt_u32_e32 vcc, s27, v4
                                        ; implicit-def: $vgpr2_vgpr3
	s_and_saveexec_b64 s[8:9], vcc
	s_xor_b64 s[8:9], exec, s[8:9]
; %bb.28:
	v_mov_b32_e32 v5, 0
	v_lshlrev_b64 v[2:3], 3, v[4:5]
	v_mov_b32_e32 v4, s30
	v_add_co_u32_e32 v2, vcc, s29, v2
	s_mov_b64 s[6:7], exec
	v_addc_co_u32_e32 v3, vcc, v4, v3, vcc
; %bb.29:
	s_or_b64 exec, exec, s[8:9]
	s_and_b64 s[6:7], s[6:7], exec
	s_andn2_saveexec_b64 s[2:3], s[2:3]
	s_cbranch_execnz .LBB3_52
.LBB3_30:
	s_or_b64 exec, exec, s[2:3]
	v_mad_u32_u24 v14, v0, 7, v0
	s_and_saveexec_b64 s[2:3], s[6:7]
	s_cbranch_execz .LBB3_32
.LBB3_31:
	global_load_dwordx2 v[2:3], v[2:3], off
	s_waitcnt vmcnt(0)
	ds_write_b64 v14, v[2:3]
.LBB3_32:
	s_or_b64 exec, exec, s[2:3]
	v_or_b32_e32 v2, 0x100, v0
	v_cmp_le_u32_e32 vcc, s26, v2
	s_mov_b64 s[6:7], -1
	v_pk_mov_b32 v[4:5], s[20:21], s[20:21] op_sel:[0,1]
	s_and_saveexec_b64 s[2:3], vcc
; %bb.33:
	v_subrev_u32_e32 v2, s26, v2
	v_cmp_gt_u32_e32 vcc, s27, v2
	v_pk_mov_b32 v[4:5], s[22:23], s[22:23] op_sel:[0,1]
	s_orn2_b64 s[6:7], vcc, exec
; %bb.34:
	s_or_b64 exec, exec, s[2:3]
	s_and_saveexec_b64 s[2:3], s[6:7]
	s_cbranch_execz .LBB3_36
; %bb.35:
	v_lshlrev_b64 v[4:5], 3, v[4:5]
	v_mov_b32_e32 v3, s13
	v_add_co_u32_e32 v4, vcc, s12, v4
	v_addc_co_u32_e32 v5, vcc, v3, v5, vcc
	v_mov_b32_e32 v3, 0
	v_lshlrev_b64 v[2:3], 3, v[2:3]
	v_add_co_u32_e32 v2, vcc, v4, v2
	v_addc_co_u32_e32 v3, vcc, v5, v3, vcc
	global_load_dwordx2 v[2:3], v[2:3], off
	s_waitcnt vmcnt(0)
	ds_write_b64 v14, v[2:3] offset:2048
.LBB3_36:
	s_or_b64 exec, exec, s[2:3]
	v_or_b32_e32 v2, 0x200, v0
	v_cmp_le_u32_e32 vcc, s26, v2
	s_mov_b64 s[6:7], -1
	v_pk_mov_b32 v[4:5], s[20:21], s[20:21] op_sel:[0,1]
	s_and_saveexec_b64 s[2:3], vcc
; %bb.37:
	v_subrev_u32_e32 v2, s26, v2
	v_cmp_gt_u32_e32 vcc, s27, v2
	v_pk_mov_b32 v[4:5], s[22:23], s[22:23] op_sel:[0,1]
	s_orn2_b64 s[6:7], vcc, exec
; %bb.38:
	s_or_b64 exec, exec, s[2:3]
	s_and_saveexec_b64 s[2:3], s[6:7]
	s_cbranch_execz .LBB3_40
; %bb.39:
	v_lshlrev_b64 v[4:5], 3, v[4:5]
	v_mov_b32_e32 v3, s13
	v_add_co_u32_e32 v4, vcc, s12, v4
	v_addc_co_u32_e32 v5, vcc, v3, v5, vcc
	v_mov_b32_e32 v3, 0
	v_lshlrev_b64 v[2:3], 3, v[2:3]
	v_add_co_u32_e32 v2, vcc, v4, v2
	v_addc_co_u32_e32 v3, vcc, v5, v3, vcc
	global_load_dwordx2 v[2:3], v[2:3], off
	s_waitcnt vmcnt(0)
	ds_write_b64 v14, v[2:3] offset:4096
.LBB3_40:
	s_or_b64 exec, exec, s[2:3]
	v_or_b32_e32 v4, 0x300, v0
	v_cmp_le_u32_e32 vcc, s26, v4
                                        ; implicit-def: $vgpr14
                                        ; implicit-def: $vgpr2_vgpr3
	s_and_saveexec_b64 s[2:3], vcc
	s_xor_b64 s[2:3], exec, s[2:3]
	s_cbranch_execz .LBB3_44
; %bb.41:
	v_subrev_u32_e32 v4, s26, v4
	v_cmp_gt_u32_e32 vcc, s27, v4
	s_mov_b64 s[8:9], s[4:5]
                                        ; implicit-def: $vgpr14
                                        ; implicit-def: $vgpr2_vgpr3
	s_and_saveexec_b64 s[6:7], vcc
; %bb.42:
	v_mul_u32_u24_e32 v2, 7, v0
	s_movk_i32 s8, 0x1800
	v_mov_b32_e32 v5, 0
	v_add3_u32 v14, v0, v2, s8
	v_lshlrev_b64 v[2:3], 3, v[4:5]
	v_mov_b32_e32 v4, s30
	v_add_co_u32_e32 v2, vcc, s29, v2
	v_addc_co_u32_e32 v3, vcc, v4, v3, vcc
	s_or_b64 s[8:9], s[4:5], exec
; %bb.43:
	s_or_b64 exec, exec, s[6:7]
	s_andn2_b64 s[4:5], s[4:5], exec
	s_and_b64 s[6:7], s[8:9], exec
	s_or_b64 s[4:5], s[4:5], s[6:7]
                                        ; implicit-def: $vgpr4
.LBB3_44:
	s_andn2_saveexec_b64 s[2:3], s[2:3]
; %bb.45:
	v_lshlrev_b32_e32 v2, 3, v4
	v_mov_b32_e32 v3, s28
	v_add_co_u32_e32 v2, vcc, s24, v2
	v_mul_u32_u24_e32 v4, 7, v0
	s_movk_i32 s6, 0x1800
	v_addc_co_u32_e32 v3, vcc, 0, v3, vcc
	v_add3_u32 v14, v0, v4, s6
	s_or_b64 s[4:5], s[4:5], exec
; %bb.46:
	s_or_b64 exec, exec, s[2:3]
.LBB3_47:
	s_and_saveexec_b64 s[2:3], s[4:5]
	s_cbranch_execz .LBB3_49
; %bb.48:
	global_load_dwordx2 v[2:3], v[2:3], off
	s_waitcnt vmcnt(0)
	ds_write_b64 v14, v[2:3]
.LBB3_49:
	s_or_b64 exec, exec, s[2:3]
	s_and_b64 vcc, exec, s[0:1]
	v_add_u32_e32 v2, s25, v8
	s_waitcnt lgkmcnt(0)
	s_barrier
	s_cbranch_vccnz .LBB3_53
; %bb.50:
	v_lshlrev_b32_e32 v14, 3, v13
	v_lshlrev_b32_e32 v16, 3, v12
	;; [unrolled: 1-line block ×3, first 2 shown]
	ds_read_b64 v[14:15], v14
	ds_read_b64 v[16:17], v16
	;; [unrolled: 1-line block ×3, first 2 shown]
	v_mov_b32_e32 v3, 0
	v_lshlrev_b64 v[4:5], 3, v[2:3]
	v_mov_b32_e32 v20, s15
	v_add_co_u32_e32 v4, vcc, s14, v4
	v_addc_co_u32_e32 v5, vcc, v20, v5, vcc
	s_mov_b64 s[0:1], -1
	s_waitcnt lgkmcnt(1)
	global_store_dwordx4 v[4:5], v[14:17], off
	s_waitcnt lgkmcnt(0)
	global_store_dwordx2 v[4:5], v[18:19], off offset:16
	s_cbranch_execz .LBB3_54
	s_branch .LBB3_63
.LBB3_51:
	s_andn2_saveexec_b64 s[2:3], s[2:3]
	s_cbranch_execz .LBB3_30
.LBB3_52:
	v_lshlrev_b32_e32 v2, 3, v0
	v_mov_b32_e32 v3, s28
	v_add_co_u32_e32 v2, vcc, s24, v2
	v_addc_co_u32_e32 v3, vcc, 0, v3, vcc
	s_or_b64 s[6:7], s[6:7], exec
	s_or_b64 exec, exec, s[2:3]
	v_mad_u32_u24 v14, v0, 7, v0
	s_and_saveexec_b64 s[2:3], s[6:7]
	s_cbranch_execnz .LBB3_31
	s_branch .LBB3_32
.LBB3_53:
	s_mov_b64 s[0:1], 0
.LBB3_54:
	v_cmp_gt_u32_e32 vcc, s17, v8
	s_and_saveexec_b64 s[2:3], vcc
	s_cbranch_execz .LBB3_56
; %bb.55:
	v_lshlrev_b32_e32 v13, 3, v13
	ds_read_b64 v[14:15], v13
	v_mov_b32_e32 v3, 0
	v_lshlrev_b64 v[4:5], 3, v[2:3]
	v_mov_b32_e32 v3, s15
	v_add_co_u32_e32 v4, vcc, s14, v4
	v_addc_co_u32_e32 v5, vcc, v3, v5, vcc
	s_waitcnt lgkmcnt(0)
	global_store_dwordx2 v[4:5], v[14:15], off
.LBB3_56:
	s_or_b64 exec, exec, s[2:3]
	v_or_b32_e32 v3, 1, v8
	v_cmp_gt_u32_e32 vcc, s17, v3
	s_and_saveexec_b64 s[2:3], vcc
	s_cbranch_execz .LBB3_58
; %bb.57:
	v_lshlrev_b32_e32 v12, 3, v12
	ds_read_b64 v[12:13], v12
	v_mov_b32_e32 v3, 0
	v_lshlrev_b64 v[4:5], 3, v[2:3]
	v_mov_b32_e32 v3, s15
	v_add_co_u32_e32 v4, vcc, s14, v4
	v_addc_co_u32_e32 v5, vcc, v3, v5, vcc
	s_waitcnt lgkmcnt(0)
	global_store_dwordx2 v[4:5], v[12:13], off offset:8
.LBB3_58:
	s_or_b64 exec, exec, s[2:3]
	v_or_b32_e32 v3, 2, v8
	v_cmp_gt_u32_e32 vcc, s17, v3
	s_and_saveexec_b64 s[2:3], vcc
	s_cbranch_execz .LBB3_60
; %bb.59:
	v_lshlrev_b32_e32 v11, 3, v11
	ds_read_b64 v[12:13], v11
	v_mov_b32_e32 v3, 0
	v_lshlrev_b64 v[4:5], 3, v[2:3]
	v_mov_b32_e32 v3, s15
	v_add_co_u32_e32 v4, vcc, s14, v4
	v_addc_co_u32_e32 v5, vcc, v3, v5, vcc
	s_waitcnt lgkmcnt(0)
	global_store_dwordx2 v[4:5], v[12:13], off offset:16
.LBB3_60:
	s_or_b64 exec, exec, s[2:3]
	v_or_b32_e32 v3, 3, v8
	v_cmp_gt_u32_e32 vcc, s17, v3
	s_and_saveexec_b64 s[2:3], vcc
; %bb.61:
	v_mov_b32_e32 v3, 0
	s_or_b64 s[0:1], s[0:1], exec
; %bb.62:
	s_or_b64 exec, exec, s[2:3]
.LBB3_63:
	s_and_saveexec_b64 s[2:3], s[0:1]
	s_cbranch_execz .LBB3_65
; %bb.64:
	v_lshlrev_b32_e32 v4, 3, v10
	ds_read_b64 v[4:5], v4
	v_lshlrev_b64 v[2:3], 3, v[2:3]
	v_mov_b32_e32 v11, s15
	v_add_co_u32_e32 v2, vcc, s14, v2
	v_addc_co_u32_e32 v3, vcc, v11, v3, vcc
	s_waitcnt lgkmcnt(0)
	global_store_dwordx2 v[2:3], v[4:5], off offset:24
.LBB3_65:
	s_or_b64 exec, exec, s[2:3]
	v_lshlrev_b16_e32 v3, 8, v6
	v_lshrrev_b32_e32 v2, 3, v0
	v_or_b32_sdwa v1, v1, v3 dst_sel:DWORD dst_unused:UNUSED_PAD src0_sel:BYTE_0 src1_sel:DWORD
	v_lshlrev_b16_e32 v3, 8, v9
	v_and_b32_e32 v2, 28, v2
	v_or_b32_sdwa v3, v7, v3 dst_sel:WORD_1 dst_unused:UNUSED_PAD src0_sel:BYTE_0 src1_sel:DWORD
	v_add_u32_e32 v2, v2, v8
	v_or_b32_sdwa v1, v1, v3 dst_sel:DWORD dst_unused:UNUSED_PAD src0_sel:WORD_0 src1_sel:DWORD
	s_barrier
	s_barrier
	ds_write_b32 v2, v1
	v_lshrrev_b32_e32 v1, 5, v0
	v_or_b32_e32 v5, 0x100, v0
	v_and_b32_e32 v6, 4, v1
	v_lshrrev_b32_e32 v1, 5, v5
	v_or_b32_e32 v4, 0x200, v0
	v_and_b32_e32 v7, 12, v1
	v_lshrrev_b32_e32 v1, 5, v4
	s_add_u32 s0, s10, s25
	v_and_b32_e32 v9, 20, v1
	v_or_b32_e32 v1, 0x300, v0
	s_addc_u32 s1, s11, 0
	v_lshrrev_b32_e32 v2, 5, v1
	v_and_b32_e32 v10, 28, v2
	v_mov_b32_e32 v3, s1
	v_add_co_u32_e32 v2, vcc, s0, v0
	v_addc_co_u32_e32 v3, vcc, 0, v3, vcc
	s_and_b64 vcc, exec, s[18:19]
	v_add_u32_e32 v8, v0, v7
	v_add_u32_e32 v9, v0, v9
	;; [unrolled: 1-line block ×3, first 2 shown]
	s_waitcnt lgkmcnt(0)
	s_cbranch_vccz .LBB3_67
; %bb.66:
	v_add_u32_e32 v7, v0, v6
	s_barrier
	ds_read_u8 v11, v7
	ds_read_u8 v12, v8 offset:256
	ds_read_u8 v13, v9 offset:512
	;; [unrolled: 1-line block ×3, first 2 shown]
	s_waitcnt lgkmcnt(3)
	global_store_byte v[2:3], v11, off
	s_waitcnt lgkmcnt(2)
	global_store_byte v[2:3], v12, off offset:256
	s_waitcnt lgkmcnt(1)
	global_store_byte v[2:3], v13, off offset:512
	s_mov_b64 s[0:1], -1
	s_cbranch_execz .LBB3_68
	s_branch .LBB3_73
.LBB3_67:
	s_mov_b64 s[0:1], 0
                                        ; implicit-def: $vgpr7
.LBB3_68:
	s_barrier
	s_waitcnt lgkmcnt(0)
	ds_read_u8 v11, v8 offset:256
	ds_read_u8 v8, v9 offset:512
	;; [unrolled: 1-line block ×3, first 2 shown]
	s_sub_i32 s2, s16, s25
	v_cmp_gt_u32_e32 vcc, s2, v0
	s_and_saveexec_b64 s[0:1], vcc
	s_cbranch_execz .LBB3_76
; %bb.69:
	v_add_u32_e32 v0, v0, v6
	ds_read_u8 v0, v0
	s_waitcnt lgkmcnt(0)
	global_store_byte v[2:3], v0, off
	s_or_b64 exec, exec, s[0:1]
	v_cmp_gt_u32_e32 vcc, s2, v5
	s_and_saveexec_b64 s[0:1], vcc
	s_cbranch_execnz .LBB3_77
.LBB3_70:
	s_or_b64 exec, exec, s[0:1]
	v_cmp_gt_u32_e32 vcc, s2, v4
	s_and_saveexec_b64 s[0:1], vcc
	s_cbranch_execz .LBB3_72
.LBB3_71:
	s_waitcnt lgkmcnt(1)
	global_store_byte v[2:3], v8, off offset:512
.LBB3_72:
	s_or_b64 exec, exec, s[0:1]
	v_cmp_gt_u32_e64 s[0:1], s2, v1
.LBB3_73:
	s_and_saveexec_b64 s[2:3], s[0:1]
	s_cbranch_execz .LBB3_75
; %bb.74:
	s_waitcnt lgkmcnt(0)
	global_store_byte v[2:3], v7, off offset:768
.LBB3_75:
	s_endpgm
.LBB3_76:
	s_or_b64 exec, exec, s[0:1]
	v_cmp_gt_u32_e32 vcc, s2, v5
	s_and_saveexec_b64 s[0:1], vcc
	s_cbranch_execz .LBB3_70
.LBB3_77:
	s_waitcnt lgkmcnt(2)
	global_store_byte v[2:3], v11, off offset:256
	s_or_b64 exec, exec, s[0:1]
	v_cmp_gt_u32_e32 vcc, s2, v4
	s_and_saveexec_b64 s[0:1], vcc
	s_cbranch_execnz .LBB3_71
	s_branch .LBB3_72
	.section	.rodata,"a",@progbits
	.p2align	6, 0x0
	.amdhsa_kernel _ZN7rocprim17ROCPRIM_304000_NS6detail35device_block_merge_mergepath_kernelINS1_37wrapped_merge_sort_block_merge_configINS0_14default_configEhN2at4cuda3cub6detail10OpaqueTypeILi8EEEEEPhSC_PSA_SD_jNS1_19radix_merge_compareILb1ELb0EhNS0_19identity_decomposerEEEEEvT0_T1_T2_T3_T4_SL_jT5_PKSL_NS1_7vsmem_tE
		.amdhsa_group_segment_fixed_size 8208
		.amdhsa_private_segment_fixed_size 0
		.amdhsa_kernarg_size 320
		.amdhsa_user_sgpr_count 6
		.amdhsa_user_sgpr_private_segment_buffer 1
		.amdhsa_user_sgpr_dispatch_ptr 0
		.amdhsa_user_sgpr_queue_ptr 0
		.amdhsa_user_sgpr_kernarg_segment_ptr 1
		.amdhsa_user_sgpr_dispatch_id 0
		.amdhsa_user_sgpr_flat_scratch_init 0
		.amdhsa_user_sgpr_kernarg_preload_length 0
		.amdhsa_user_sgpr_kernarg_preload_offset 0
		.amdhsa_user_sgpr_private_segment_size 0
		.amdhsa_uses_dynamic_stack 0
		.amdhsa_system_sgpr_private_segment_wavefront_offset 0
		.amdhsa_system_sgpr_workgroup_id_x 1
		.amdhsa_system_sgpr_workgroup_id_y 1
		.amdhsa_system_sgpr_workgroup_id_z 1
		.amdhsa_system_sgpr_workgroup_info 0
		.amdhsa_system_vgpr_workitem_id 0
		.amdhsa_next_free_vgpr 24
		.amdhsa_next_free_sgpr 31
		.amdhsa_accum_offset 24
		.amdhsa_reserve_vcc 1
		.amdhsa_reserve_flat_scratch 0
		.amdhsa_float_round_mode_32 0
		.amdhsa_float_round_mode_16_64 0
		.amdhsa_float_denorm_mode_32 3
		.amdhsa_float_denorm_mode_16_64 3
		.amdhsa_dx10_clamp 1
		.amdhsa_ieee_mode 1
		.amdhsa_fp16_overflow 0
		.amdhsa_tg_split 0
		.amdhsa_exception_fp_ieee_invalid_op 0
		.amdhsa_exception_fp_denorm_src 0
		.amdhsa_exception_fp_ieee_div_zero 0
		.amdhsa_exception_fp_ieee_overflow 0
		.amdhsa_exception_fp_ieee_underflow 0
		.amdhsa_exception_fp_ieee_inexact 0
		.amdhsa_exception_int_div_zero 0
	.end_amdhsa_kernel
	.section	.text._ZN7rocprim17ROCPRIM_304000_NS6detail35device_block_merge_mergepath_kernelINS1_37wrapped_merge_sort_block_merge_configINS0_14default_configEhN2at4cuda3cub6detail10OpaqueTypeILi8EEEEEPhSC_PSA_SD_jNS1_19radix_merge_compareILb1ELb0EhNS0_19identity_decomposerEEEEEvT0_T1_T2_T3_T4_SL_jT5_PKSL_NS1_7vsmem_tE,"axG",@progbits,_ZN7rocprim17ROCPRIM_304000_NS6detail35device_block_merge_mergepath_kernelINS1_37wrapped_merge_sort_block_merge_configINS0_14default_configEhN2at4cuda3cub6detail10OpaqueTypeILi8EEEEEPhSC_PSA_SD_jNS1_19radix_merge_compareILb1ELb0EhNS0_19identity_decomposerEEEEEvT0_T1_T2_T3_T4_SL_jT5_PKSL_NS1_7vsmem_tE,comdat
.Lfunc_end3:
	.size	_ZN7rocprim17ROCPRIM_304000_NS6detail35device_block_merge_mergepath_kernelINS1_37wrapped_merge_sort_block_merge_configINS0_14default_configEhN2at4cuda3cub6detail10OpaqueTypeILi8EEEEEPhSC_PSA_SD_jNS1_19radix_merge_compareILb1ELb0EhNS0_19identity_decomposerEEEEEvT0_T1_T2_T3_T4_SL_jT5_PKSL_NS1_7vsmem_tE, .Lfunc_end3-_ZN7rocprim17ROCPRIM_304000_NS6detail35device_block_merge_mergepath_kernelINS1_37wrapped_merge_sort_block_merge_configINS0_14default_configEhN2at4cuda3cub6detail10OpaqueTypeILi8EEEEEPhSC_PSA_SD_jNS1_19radix_merge_compareILb1ELb0EhNS0_19identity_decomposerEEEEEvT0_T1_T2_T3_T4_SL_jT5_PKSL_NS1_7vsmem_tE
                                        ; -- End function
	.section	.AMDGPU.csdata,"",@progbits
; Kernel info:
; codeLenInByte = 3252
; NumSgprs: 35
; NumVgprs: 24
; NumAgprs: 0
; TotalNumVgprs: 24
; ScratchSize: 0
; MemoryBound: 1
; FloatMode: 240
; IeeeMode: 1
; LDSByteSize: 8208 bytes/workgroup (compile time only)
; SGPRBlocks: 4
; VGPRBlocks: 2
; NumSGPRsForWavesPerEU: 35
; NumVGPRsForWavesPerEU: 24
; AccumOffset: 24
; Occupancy: 7
; WaveLimiterHint : 1
; COMPUTE_PGM_RSRC2:SCRATCH_EN: 0
; COMPUTE_PGM_RSRC2:USER_SGPR: 6
; COMPUTE_PGM_RSRC2:TRAP_HANDLER: 0
; COMPUTE_PGM_RSRC2:TGID_X_EN: 1
; COMPUTE_PGM_RSRC2:TGID_Y_EN: 1
; COMPUTE_PGM_RSRC2:TGID_Z_EN: 1
; COMPUTE_PGM_RSRC2:TIDIG_COMP_CNT: 0
; COMPUTE_PGM_RSRC3_GFX90A:ACCUM_OFFSET: 5
; COMPUTE_PGM_RSRC3_GFX90A:TG_SPLIT: 0
	.section	.text._ZN7rocprim17ROCPRIM_304000_NS6detail33device_block_merge_oddeven_kernelINS1_37wrapped_merge_sort_block_merge_configINS0_14default_configEhN2at4cuda3cub6detail10OpaqueTypeILi8EEEEEPhSC_PSA_SD_jNS1_19radix_merge_compareILb1ELb0EhNS0_19identity_decomposerEEEEEvT0_T1_T2_T3_T4_SL_T5_,"axG",@progbits,_ZN7rocprim17ROCPRIM_304000_NS6detail33device_block_merge_oddeven_kernelINS1_37wrapped_merge_sort_block_merge_configINS0_14default_configEhN2at4cuda3cub6detail10OpaqueTypeILi8EEEEEPhSC_PSA_SD_jNS1_19radix_merge_compareILb1ELb0EhNS0_19identity_decomposerEEEEEvT0_T1_T2_T3_T4_SL_T5_,comdat
	.protected	_ZN7rocprim17ROCPRIM_304000_NS6detail33device_block_merge_oddeven_kernelINS1_37wrapped_merge_sort_block_merge_configINS0_14default_configEhN2at4cuda3cub6detail10OpaqueTypeILi8EEEEEPhSC_PSA_SD_jNS1_19radix_merge_compareILb1ELb0EhNS0_19identity_decomposerEEEEEvT0_T1_T2_T3_T4_SL_T5_ ; -- Begin function _ZN7rocprim17ROCPRIM_304000_NS6detail33device_block_merge_oddeven_kernelINS1_37wrapped_merge_sort_block_merge_configINS0_14default_configEhN2at4cuda3cub6detail10OpaqueTypeILi8EEEEEPhSC_PSA_SD_jNS1_19radix_merge_compareILb1ELb0EhNS0_19identity_decomposerEEEEEvT0_T1_T2_T3_T4_SL_T5_
	.globl	_ZN7rocprim17ROCPRIM_304000_NS6detail33device_block_merge_oddeven_kernelINS1_37wrapped_merge_sort_block_merge_configINS0_14default_configEhN2at4cuda3cub6detail10OpaqueTypeILi8EEEEEPhSC_PSA_SD_jNS1_19radix_merge_compareILb1ELb0EhNS0_19identity_decomposerEEEEEvT0_T1_T2_T3_T4_SL_T5_
	.p2align	8
	.type	_ZN7rocprim17ROCPRIM_304000_NS6detail33device_block_merge_oddeven_kernelINS1_37wrapped_merge_sort_block_merge_configINS0_14default_configEhN2at4cuda3cub6detail10OpaqueTypeILi8EEEEEPhSC_PSA_SD_jNS1_19radix_merge_compareILb1ELb0EhNS0_19identity_decomposerEEEEEvT0_T1_T2_T3_T4_SL_T5_,@function
_ZN7rocprim17ROCPRIM_304000_NS6detail33device_block_merge_oddeven_kernelINS1_37wrapped_merge_sort_block_merge_configINS0_14default_configEhN2at4cuda3cub6detail10OpaqueTypeILi8EEEEEPhSC_PSA_SD_jNS1_19radix_merge_compareILb1ELb0EhNS0_19identity_decomposerEEEEEvT0_T1_T2_T3_T4_SL_T5_: ; @_ZN7rocprim17ROCPRIM_304000_NS6detail33device_block_merge_oddeven_kernelINS1_37wrapped_merge_sort_block_merge_configINS0_14default_configEhN2at4cuda3cub6detail10OpaqueTypeILi8EEEEEPhSC_PSA_SD_jNS1_19radix_merge_compareILb1ELb0EhNS0_19identity_decomposerEEEEEvT0_T1_T2_T3_T4_SL_T5_
; %bb.0:
	s_load_dwordx2 s[16:17], s[4:5], 0x20
	s_waitcnt lgkmcnt(0)
	s_lshr_b32 s2, s16, 8
	s_cmp_lg_u32 s6, s2
	s_cselect_b64 s[0:1], -1, 0
	s_cmp_eq_u32 s6, s2
	s_cselect_b64 s[18:19], -1, 0
	s_lshl_b32 s20, s6, 8
	s_sub_i32 s2, s16, s20
	v_cmp_gt_u32_e64 s[2:3], s2, v0
	s_or_b64 s[0:1], s[0:1], s[2:3]
	s_and_saveexec_b64 s[8:9], s[0:1]
	s_cbranch_execz .LBB4_26
; %bb.1:
	s_load_dwordx8 s[8:15], s[4:5], 0x0
	s_mov_b32 s21, 0
	v_lshlrev_b32_e32 v1, 3, v0
	v_add_u32_e32 v4, s20, v0
	s_waitcnt lgkmcnt(0)
	s_add_u32 s0, s8, s20
	s_addc_u32 s1, s9, 0
	s_lshl_b64 s[4:5], s[20:21], 3
	s_add_u32 s4, s12, s4
	s_addc_u32 s5, s13, s5
	global_load_dwordx2 v[2:3], v1, s[4:5]
	global_load_ubyte v6, v0, s[0:1]
	s_lshr_b32 s0, s17, 8
	s_sub_i32 s1, 0, s0
	s_and_b32 s1, s6, s1
	s_and_b32 s0, s1, s0
	s_lshl_b32 s22, s1, 8
	s_sub_i32 s6, 0, s17
	s_cmp_eq_u32 s0, 0
	s_cselect_b64 s[0:1], -1, 0
	s_and_b64 s[4:5], s[0:1], exec
	s_cselect_b32 s21, s17, s6
	s_add_i32 s21, s21, s22
	s_cmp_lt_u32 s21, s16
	s_cbranch_scc1 .LBB4_6
; %bb.2:
	s_and_b64 vcc, exec, s[18:19]
	s_cbranch_vccz .LBB4_7
; %bb.3:
	v_cmp_gt_u32_e32 vcc, s16, v4
	s_mov_b64 s[6:7], 0
	s_mov_b64 s[4:5], 0
                                        ; implicit-def: $vgpr0_vgpr1
	s_and_saveexec_b64 s[12:13], vcc
	s_cbranch_execz .LBB4_5
; %bb.4:
	v_mov_b32_e32 v5, 0
	v_lshlrev_b64 v[0:1], 3, v[4:5]
	v_mov_b32_e32 v5, s15
	v_add_co_u32_e32 v0, vcc, s14, v0
	s_mov_b64 s[4:5], exec
	v_addc_co_u32_e32 v1, vcc, v5, v1, vcc
	s_waitcnt vmcnt(0)
	global_store_byte v4, v6, s[10:11]
.LBB4_5:
	s_or_b64 exec, exec, s[12:13]
	s_and_b64 vcc, exec, s[6:7]
	s_cbranch_vccnz .LBB4_8
	s_branch .LBB4_9
.LBB4_6:
	s_mov_b64 s[4:5], 0
                                        ; implicit-def: $vgpr0_vgpr1
	s_cbranch_execnz .LBB4_10
	s_branch .LBB4_24
.LBB4_7:
	s_mov_b64 s[4:5], 0
                                        ; implicit-def: $vgpr0_vgpr1
	s_cbranch_execz .LBB4_9
.LBB4_8:
	v_mov_b32_e32 v5, 0
	v_lshlrev_b64 v[0:1], 3, v[4:5]
	v_mov_b32_e32 v5, s15
	v_add_co_u32_e32 v0, vcc, s14, v0
	v_addc_co_u32_e32 v1, vcc, v5, v1, vcc
	s_or_b64 s[4:5], s[4:5], exec
	s_waitcnt vmcnt(0)
	global_store_byte v4, v6, s[10:11]
.LBB4_9:
	s_branch .LBB4_24
.LBB4_10:
	s_min_u32 s12, s21, s16
	s_add_i32 s6, s12, s17
	s_min_u32 s13, s6, s16
	s_min_u32 s6, s22, s12
	s_add_i32 s22, s22, s12
	v_subrev_u32_e32 v0, s22, v4
	v_add_u32_e32 v4, s6, v0
	s_and_b64 vcc, exec, s[18:19]
	s_cbranch_vccz .LBB4_18
; %bb.11:
                                        ; implicit-def: $vgpr0_vgpr1
	s_and_saveexec_b64 s[6:7], s[2:3]
	s_cbranch_execz .LBB4_17
; %bb.12:
	s_cmp_ge_u32 s21, s13
	v_mov_b32_e32 v0, s12
	s_cbranch_scc1 .LBB4_16
; %bb.13:
	s_mov_b64 s[2:3], 0
	v_mov_b32_e32 v1, s13
	v_mov_b32_e32 v0, s12
.LBB4_14:                               ; =>This Inner Loop Header: Depth=1
	v_add_u32_e32 v5, v0, v1
	v_lshrrev_b32_e32 v5, 1, v5
	global_load_ubyte v7, v5, s[8:9]
	v_add_u32_e32 v8, 1, v5
	s_waitcnt vmcnt(0)
	v_cmp_gt_u16_sdwa s[16:17], v7, v6 src0_sel:DWORD src1_sel:BYTE_0
	v_cndmask_b32_e64 v9, 0, 1, s[16:17]
	v_cmp_le_u16_sdwa s[16:17], v6, v7 src0_sel:BYTE_0 src1_sel:DWORD
	v_cndmask_b32_e64 v7, 0, 1, s[16:17]
	v_cndmask_b32_e64 v7, v7, v9, s[0:1]
	v_and_b32_e32 v7, 1, v7
	v_cmp_eq_u32_e32 vcc, 1, v7
	v_cndmask_b32_e32 v1, v5, v1, vcc
	v_cndmask_b32_e32 v0, v0, v8, vcc
	v_cmp_ge_u32_e32 vcc, v0, v1
	s_or_b64 s[2:3], vcc, s[2:3]
	s_andn2_b64 exec, exec, s[2:3]
	s_cbranch_execnz .LBB4_14
; %bb.15:
	s_or_b64 exec, exec, s[2:3]
.LBB4_16:
	v_add_u32_e32 v0, v0, v4
	v_mov_b32_e32 v1, 0
	s_waitcnt vmcnt(0)
	global_store_byte v0, v6, s[10:11]
	v_lshlrev_b64 v[0:1], 3, v[0:1]
	v_mov_b32_e32 v5, s15
	v_add_co_u32_e32 v0, vcc, s14, v0
	v_addc_co_u32_e32 v1, vcc, v5, v1, vcc
	s_or_b64 s[4:5], s[4:5], exec
.LBB4_17:
	s_or_b64 exec, exec, s[6:7]
	s_branch .LBB4_24
.LBB4_18:
                                        ; implicit-def: $vgpr0_vgpr1
	s_cbranch_execz .LBB4_24
; %bb.19:
	s_cmp_ge_u32 s21, s13
	v_mov_b32_e32 v0, s12
	s_cbranch_scc1 .LBB4_23
; %bb.20:
	s_mov_b64 s[2:3], 0
	v_mov_b32_e32 v1, s13
	v_mov_b32_e32 v0, s12
.LBB4_21:                               ; =>This Inner Loop Header: Depth=1
	v_add_u32_e32 v5, v0, v1
	v_lshrrev_b32_e32 v5, 1, v5
	global_load_ubyte v7, v5, s[8:9]
	v_add_u32_e32 v8, 1, v5
	s_waitcnt vmcnt(0)
	v_cmp_gt_u16_sdwa s[4:5], v7, v6 src0_sel:DWORD src1_sel:BYTE_0
	v_cndmask_b32_e64 v9, 0, 1, s[4:5]
	v_cmp_le_u16_sdwa s[4:5], v6, v7 src0_sel:BYTE_0 src1_sel:DWORD
	v_cndmask_b32_e64 v7, 0, 1, s[4:5]
	v_cndmask_b32_e64 v7, v7, v9, s[0:1]
	v_and_b32_e32 v7, 1, v7
	v_cmp_eq_u32_e32 vcc, 1, v7
	v_cndmask_b32_e32 v1, v5, v1, vcc
	v_cndmask_b32_e32 v0, v0, v8, vcc
	v_cmp_ge_u32_e32 vcc, v0, v1
	s_or_b64 s[2:3], vcc, s[2:3]
	s_andn2_b64 exec, exec, s[2:3]
	s_cbranch_execnz .LBB4_21
; %bb.22:
	s_or_b64 exec, exec, s[2:3]
.LBB4_23:
	v_add_u32_e32 v0, v0, v4
	v_mov_b32_e32 v1, 0
	s_waitcnt vmcnt(0)
	global_store_byte v0, v6, s[10:11]
	v_lshlrev_b64 v[0:1], 3, v[0:1]
	v_mov_b32_e32 v4, s15
	v_add_co_u32_e32 v0, vcc, s14, v0
	v_addc_co_u32_e32 v1, vcc, v4, v1, vcc
	s_mov_b64 s[4:5], -1
.LBB4_24:
	s_and_b64 exec, exec, s[4:5]
	s_cbranch_execz .LBB4_26
; %bb.25:
	s_waitcnt vmcnt(1)
	global_store_dwordx2 v[0:1], v[2:3], off
.LBB4_26:
	s_endpgm
	.section	.rodata,"a",@progbits
	.p2align	6, 0x0
	.amdhsa_kernel _ZN7rocprim17ROCPRIM_304000_NS6detail33device_block_merge_oddeven_kernelINS1_37wrapped_merge_sort_block_merge_configINS0_14default_configEhN2at4cuda3cub6detail10OpaqueTypeILi8EEEEEPhSC_PSA_SD_jNS1_19radix_merge_compareILb1ELb0EhNS0_19identity_decomposerEEEEEvT0_T1_T2_T3_T4_SL_T5_
		.amdhsa_group_segment_fixed_size 0
		.amdhsa_private_segment_fixed_size 0
		.amdhsa_kernarg_size 44
		.amdhsa_user_sgpr_count 6
		.amdhsa_user_sgpr_private_segment_buffer 1
		.amdhsa_user_sgpr_dispatch_ptr 0
		.amdhsa_user_sgpr_queue_ptr 0
		.amdhsa_user_sgpr_kernarg_segment_ptr 1
		.amdhsa_user_sgpr_dispatch_id 0
		.amdhsa_user_sgpr_flat_scratch_init 0
		.amdhsa_user_sgpr_kernarg_preload_length 0
		.amdhsa_user_sgpr_kernarg_preload_offset 0
		.amdhsa_user_sgpr_private_segment_size 0
		.amdhsa_uses_dynamic_stack 0
		.amdhsa_system_sgpr_private_segment_wavefront_offset 0
		.amdhsa_system_sgpr_workgroup_id_x 1
		.amdhsa_system_sgpr_workgroup_id_y 0
		.amdhsa_system_sgpr_workgroup_id_z 0
		.amdhsa_system_sgpr_workgroup_info 0
		.amdhsa_system_vgpr_workitem_id 0
		.amdhsa_next_free_vgpr 10
		.amdhsa_next_free_sgpr 23
		.amdhsa_accum_offset 12
		.amdhsa_reserve_vcc 1
		.amdhsa_reserve_flat_scratch 0
		.amdhsa_float_round_mode_32 0
		.amdhsa_float_round_mode_16_64 0
		.amdhsa_float_denorm_mode_32 3
		.amdhsa_float_denorm_mode_16_64 3
		.amdhsa_dx10_clamp 1
		.amdhsa_ieee_mode 1
		.amdhsa_fp16_overflow 0
		.amdhsa_tg_split 0
		.amdhsa_exception_fp_ieee_invalid_op 0
		.amdhsa_exception_fp_denorm_src 0
		.amdhsa_exception_fp_ieee_div_zero 0
		.amdhsa_exception_fp_ieee_overflow 0
		.amdhsa_exception_fp_ieee_underflow 0
		.amdhsa_exception_fp_ieee_inexact 0
		.amdhsa_exception_int_div_zero 0
	.end_amdhsa_kernel
	.section	.text._ZN7rocprim17ROCPRIM_304000_NS6detail33device_block_merge_oddeven_kernelINS1_37wrapped_merge_sort_block_merge_configINS0_14default_configEhN2at4cuda3cub6detail10OpaqueTypeILi8EEEEEPhSC_PSA_SD_jNS1_19radix_merge_compareILb1ELb0EhNS0_19identity_decomposerEEEEEvT0_T1_T2_T3_T4_SL_T5_,"axG",@progbits,_ZN7rocprim17ROCPRIM_304000_NS6detail33device_block_merge_oddeven_kernelINS1_37wrapped_merge_sort_block_merge_configINS0_14default_configEhN2at4cuda3cub6detail10OpaqueTypeILi8EEEEEPhSC_PSA_SD_jNS1_19radix_merge_compareILb1ELb0EhNS0_19identity_decomposerEEEEEvT0_T1_T2_T3_T4_SL_T5_,comdat
.Lfunc_end4:
	.size	_ZN7rocprim17ROCPRIM_304000_NS6detail33device_block_merge_oddeven_kernelINS1_37wrapped_merge_sort_block_merge_configINS0_14default_configEhN2at4cuda3cub6detail10OpaqueTypeILi8EEEEEPhSC_PSA_SD_jNS1_19radix_merge_compareILb1ELb0EhNS0_19identity_decomposerEEEEEvT0_T1_T2_T3_T4_SL_T5_, .Lfunc_end4-_ZN7rocprim17ROCPRIM_304000_NS6detail33device_block_merge_oddeven_kernelINS1_37wrapped_merge_sort_block_merge_configINS0_14default_configEhN2at4cuda3cub6detail10OpaqueTypeILi8EEEEEPhSC_PSA_SD_jNS1_19radix_merge_compareILb1ELb0EhNS0_19identity_decomposerEEEEEvT0_T1_T2_T3_T4_SL_T5_
                                        ; -- End function
	.section	.AMDGPU.csdata,"",@progbits
; Kernel info:
; codeLenInByte = 736
; NumSgprs: 27
; NumVgprs: 10
; NumAgprs: 0
; TotalNumVgprs: 10
; ScratchSize: 0
; MemoryBound: 0
; FloatMode: 240
; IeeeMode: 1
; LDSByteSize: 0 bytes/workgroup (compile time only)
; SGPRBlocks: 3
; VGPRBlocks: 1
; NumSGPRsForWavesPerEU: 27
; NumVGPRsForWavesPerEU: 10
; AccumOffset: 12
; Occupancy: 8
; WaveLimiterHint : 0
; COMPUTE_PGM_RSRC2:SCRATCH_EN: 0
; COMPUTE_PGM_RSRC2:USER_SGPR: 6
; COMPUTE_PGM_RSRC2:TRAP_HANDLER: 0
; COMPUTE_PGM_RSRC2:TGID_X_EN: 1
; COMPUTE_PGM_RSRC2:TGID_Y_EN: 0
; COMPUTE_PGM_RSRC2:TGID_Z_EN: 0
; COMPUTE_PGM_RSRC2:TIDIG_COMP_CNT: 0
; COMPUTE_PGM_RSRC3_GFX90A:ACCUM_OFFSET: 2
; COMPUTE_PGM_RSRC3_GFX90A:TG_SPLIT: 0
	.section	.text._ZN7rocprim17ROCPRIM_304000_NS6detail16transform_kernelINS1_24wrapped_transform_configINS0_14default_configEhEEhPhS6_NS0_8identityIhEEEEvT1_mT2_T3_,"axG",@progbits,_ZN7rocprim17ROCPRIM_304000_NS6detail16transform_kernelINS1_24wrapped_transform_configINS0_14default_configEhEEhPhS6_NS0_8identityIhEEEEvT1_mT2_T3_,comdat
	.protected	_ZN7rocprim17ROCPRIM_304000_NS6detail16transform_kernelINS1_24wrapped_transform_configINS0_14default_configEhEEhPhS6_NS0_8identityIhEEEEvT1_mT2_T3_ ; -- Begin function _ZN7rocprim17ROCPRIM_304000_NS6detail16transform_kernelINS1_24wrapped_transform_configINS0_14default_configEhEEhPhS6_NS0_8identityIhEEEEvT1_mT2_T3_
	.globl	_ZN7rocprim17ROCPRIM_304000_NS6detail16transform_kernelINS1_24wrapped_transform_configINS0_14default_configEhEEhPhS6_NS0_8identityIhEEEEvT1_mT2_T3_
	.p2align	8
	.type	_ZN7rocprim17ROCPRIM_304000_NS6detail16transform_kernelINS1_24wrapped_transform_configINS0_14default_configEhEEhPhS6_NS0_8identityIhEEEEvT1_mT2_T3_,@function
_ZN7rocprim17ROCPRIM_304000_NS6detail16transform_kernelINS1_24wrapped_transform_configINS0_14default_configEhEEhPhS6_NS0_8identityIhEEEEvT1_mT2_T3_: ; @_ZN7rocprim17ROCPRIM_304000_NS6detail16transform_kernelINS1_24wrapped_transform_configINS0_14default_configEhEEhPhS6_NS0_8identityIhEEEEvT1_mT2_T3_
; %bb.0:
	s_load_dword s7, s[4:5], 0x20
	s_load_dwordx4 s[0:3], s[4:5], 0x0
	s_load_dwordx2 s[34:35], s[4:5], 0x10
	s_lshl_b32 s33, s6, 10
	s_waitcnt lgkmcnt(0)
	s_add_i32 s7, s7, -1
	s_add_u32 s0, s0, s33
	s_addc_u32 s1, s1, 0
	v_mov_b32_e32 v1, s1
	v_add_co_u32_e32 v2, vcc, s0, v0
	s_cmp_lg_u32 s6, s7
	v_addc_co_u32_e32 v3, vcc, 0, v1, vcc
	s_cbranch_scc0 .LBB5_2
; %bb.1:
	global_load_ubyte v1, v[2:3], off
	global_load_ubyte v5, v[2:3], off offset:64
	global_load_ubyte v8, v[2:3], off offset:128
	;; [unrolled: 1-line block ×15, first 2 shown]
	s_add_u32 s3, s34, s33
	s_addc_u32 s4, s35, 0
	v_mov_b32_e32 v7, s4
	v_add_co_u32_e32 v6, vcc, s3, v0
	v_addc_co_u32_e32 v7, vcc, 0, v7, vcc
	s_mov_b64 s[36:37], -1
	s_waitcnt vmcnt(15)
	global_store_byte v[6:7], v1, off
	s_waitcnt vmcnt(15)
	global_store_byte v[6:7], v5, off offset:64
	s_waitcnt vmcnt(15)
	global_store_byte v[6:7], v8, off offset:128
	;; [unrolled: 2-line block ×14, first 2 shown]
	s_cbranch_execz .LBB5_3
	s_branch .LBB5_68
.LBB5_2:
	s_mov_b64 s[36:37], 0
                                        ; implicit-def: $vgpr4
.LBB5_3:
	s_sub_i32 s30, s2, s33
	v_cmp_gt_u32_e32 vcc, s30, v0
                                        ; implicit-def: $vgpr1
	s_and_saveexec_b64 s[0:1], vcc
	s_cbranch_execz .LBB5_5
; %bb.4:
	global_load_ubyte v1, v[2:3], off
.LBB5_5:
	s_or_b64 exec, exec, s[0:1]
	s_waitcnt vmcnt(15)
	v_or_b32_e32 v4, 64, v0
	v_cmp_gt_u32_e64 s[0:1], s30, v4
                                        ; implicit-def: $vgpr4
	s_and_saveexec_b64 s[2:3], s[0:1]
	s_cbranch_execz .LBB5_7
; %bb.6:
	global_load_ubyte v4, v[2:3], off offset:64
.LBB5_7:
	s_or_b64 exec, exec, s[2:3]
	v_or_b32_e32 v5, 0x80, v0
	v_cmp_gt_u32_e64 s[2:3], s30, v5
                                        ; implicit-def: $vgpr5
	s_and_saveexec_b64 s[4:5], s[2:3]
	s_cbranch_execz .LBB5_9
; %bb.8:
	global_load_ubyte v5, v[2:3], off offset:128
.LBB5_9:
	s_or_b64 exec, exec, s[4:5]
	v_or_b32_e32 v6, 0xc0, v0
	v_cmp_gt_u32_e64 s[4:5], s30, v6
                                        ; implicit-def: $vgpr6
	s_and_saveexec_b64 s[6:7], s[4:5]
	s_cbranch_execz .LBB5_11
; %bb.10:
	global_load_ubyte v6, v[2:3], off offset:192
.LBB5_11:
	s_or_b64 exec, exec, s[6:7]
	v_or_b32_e32 v7, 0x100, v0
	v_cmp_gt_u32_e64 s[6:7], s30, v7
                                        ; implicit-def: $vgpr7
	s_and_saveexec_b64 s[8:9], s[6:7]
	s_cbranch_execz .LBB5_13
; %bb.12:
	global_load_ubyte v7, v[2:3], off offset:256
.LBB5_13:
	s_or_b64 exec, exec, s[8:9]
	v_or_b32_e32 v8, 0x140, v0
	v_cmp_gt_u32_e64 s[8:9], s30, v8
                                        ; implicit-def: $vgpr8
	s_and_saveexec_b64 s[10:11], s[8:9]
	s_cbranch_execz .LBB5_15
; %bb.14:
	global_load_ubyte v8, v[2:3], off offset:320
.LBB5_15:
	s_or_b64 exec, exec, s[10:11]
	v_or_b32_e32 v9, 0x180, v0
	v_cmp_gt_u32_e64 s[10:11], s30, v9
                                        ; implicit-def: $vgpr9
	s_and_saveexec_b64 s[12:13], s[10:11]
	s_cbranch_execz .LBB5_17
; %bb.16:
	global_load_ubyte v9, v[2:3], off offset:384
.LBB5_17:
	s_or_b64 exec, exec, s[12:13]
	v_or_b32_e32 v10, 0x1c0, v0
	v_cmp_gt_u32_e64 s[12:13], s30, v10
                                        ; implicit-def: $vgpr10
	s_and_saveexec_b64 s[14:15], s[12:13]
	s_cbranch_execz .LBB5_19
; %bb.18:
	global_load_ubyte v10, v[2:3], off offset:448
.LBB5_19:
	s_or_b64 exec, exec, s[14:15]
	v_or_b32_e32 v11, 0x200, v0
	v_cmp_gt_u32_e64 s[14:15], s30, v11
                                        ; implicit-def: $vgpr11
	s_and_saveexec_b64 s[16:17], s[14:15]
	s_cbranch_execz .LBB5_21
; %bb.20:
	global_load_ubyte v11, v[2:3], off offset:512
.LBB5_21:
	s_or_b64 exec, exec, s[16:17]
	v_or_b32_e32 v12, 0x240, v0
	v_cmp_gt_u32_e64 s[16:17], s30, v12
                                        ; implicit-def: $vgpr12
	s_and_saveexec_b64 s[18:19], s[16:17]
	s_cbranch_execz .LBB5_23
; %bb.22:
	global_load_ubyte v12, v[2:3], off offset:576
.LBB5_23:
	s_or_b64 exec, exec, s[18:19]
	v_or_b32_e32 v13, 0x280, v0
	v_cmp_gt_u32_e64 s[18:19], s30, v13
                                        ; implicit-def: $vgpr13
	s_and_saveexec_b64 s[20:21], s[18:19]
	s_cbranch_execz .LBB5_25
; %bb.24:
	global_load_ubyte v13, v[2:3], off offset:640
.LBB5_25:
	s_or_b64 exec, exec, s[20:21]
	v_or_b32_e32 v14, 0x2c0, v0
	v_cmp_gt_u32_e64 s[20:21], s30, v14
                                        ; implicit-def: $vgpr14
	s_and_saveexec_b64 s[22:23], s[20:21]
	s_cbranch_execz .LBB5_27
; %bb.26:
	global_load_ubyte v14, v[2:3], off offset:704
.LBB5_27:
	s_or_b64 exec, exec, s[22:23]
	v_or_b32_e32 v15, 0x300, v0
	v_cmp_gt_u32_e64 s[22:23], s30, v15
                                        ; implicit-def: $vgpr15
	s_and_saveexec_b64 s[24:25], s[22:23]
	s_cbranch_execz .LBB5_29
; %bb.28:
	global_load_ubyte v15, v[2:3], off offset:768
.LBB5_29:
	s_or_b64 exec, exec, s[24:25]
	v_or_b32_e32 v16, 0x340, v0
	v_cmp_gt_u32_e64 s[24:25], s30, v16
                                        ; implicit-def: $vgpr16
	s_and_saveexec_b64 s[26:27], s[24:25]
	s_cbranch_execz .LBB5_31
; %bb.30:
	global_load_ubyte v16, v[2:3], off offset:832
.LBB5_31:
	s_or_b64 exec, exec, s[26:27]
	v_or_b32_e32 v17, 0x380, v0
	v_cmp_gt_u32_e64 s[26:27], s30, v17
                                        ; implicit-def: $vgpr17
	s_and_saveexec_b64 s[28:29], s[26:27]
	s_cbranch_execz .LBB5_33
; %bb.32:
	global_load_ubyte v17, v[2:3], off offset:896
.LBB5_33:
	s_or_b64 exec, exec, s[28:29]
	v_or_b32_e32 v18, 0x3c0, v0
	v_cmp_gt_u32_e64 s[28:29], s30, v18
                                        ; implicit-def: $vgpr18
	s_and_saveexec_b64 s[30:31], s[28:29]
	s_cbranch_execz .LBB5_35
; %bb.34:
	global_load_ubyte v18, v[2:3], off offset:960
.LBB5_35:
	s_or_b64 exec, exec, s[30:31]
	s_waitcnt vmcnt(0)
	v_lshlrev_b16_e32 v2, 8, v4
	v_or_b32_sdwa v1, v1, v2 dst_sel:DWORD dst_unused:UNUSED_PAD src0_sel:BYTE_0 src1_sel:DWORD
	v_lshlrev_b16_e32 v2, 8, v6
	v_or_b32_sdwa v2, v5, v2 dst_sel:WORD_1 dst_unused:UNUSED_PAD src0_sel:BYTE_0 src1_sel:DWORD
	v_or_b32_sdwa v6, v1, v2 dst_sel:DWORD dst_unused:UNUSED_PAD src0_sel:WORD_0 src1_sel:DWORD
	v_lshlrev_b16_e32 v1, 8, v8
	v_lshlrev_b16_e32 v2, 8, v10
	v_or_b32_sdwa v1, v7, v1 dst_sel:DWORD dst_unused:UNUSED_PAD src0_sel:BYTE_0 src1_sel:DWORD
	v_or_b32_sdwa v2, v9, v2 dst_sel:WORD_1 dst_unused:UNUSED_PAD src0_sel:BYTE_0 src1_sel:DWORD
	v_or_b32_sdwa v5, v1, v2 dst_sel:DWORD dst_unused:UNUSED_PAD src0_sel:WORD_0 src1_sel:DWORD
	v_lshlrev_b16_e32 v1, 8, v12
	v_lshlrev_b16_e32 v2, 8, v14
	v_or_b32_sdwa v1, v11, v1 dst_sel:DWORD dst_unused:UNUSED_PAD src0_sel:BYTE_0 src1_sel:DWORD
	v_or_b32_sdwa v2, v13, v2 dst_sel:WORD_1 dst_unused:UNUSED_PAD src0_sel:BYTE_0 src1_sel:DWORD
	v_or_b32_sdwa v4, v1, v2 dst_sel:DWORD dst_unused:UNUSED_PAD src0_sel:WORD_0 src1_sel:DWORD
	v_lshlrev_b16_e32 v1, 8, v16
	v_lshlrev_b16_e32 v2, 8, v18
	s_add_u32 s30, s34, s33
	v_or_b32_sdwa v1, v15, v1 dst_sel:DWORD dst_unused:UNUSED_PAD src0_sel:BYTE_0 src1_sel:DWORD
	v_or_b32_sdwa v2, v17, v2 dst_sel:WORD_1 dst_unused:UNUSED_PAD src0_sel:BYTE_0 src1_sel:DWORD
	s_addc_u32 s31, s35, 0
	v_or_b32_sdwa v1, v1, v2 dst_sel:DWORD dst_unused:UNUSED_PAD src0_sel:WORD_0 src1_sel:DWORD
	v_mov_b32_e32 v3, s31
	v_add_co_u32_e64 v2, s[30:31], s30, v0
	v_addc_co_u32_e64 v3, s[30:31], 0, v3, s[30:31]
	s_and_saveexec_b64 s[30:31], vcc
	s_cbranch_execz .LBB5_37
; %bb.36:
	global_store_byte v[2:3], v6, off
.LBB5_37:
	s_or_b64 exec, exec, s[30:31]
	s_and_saveexec_b64 s[30:31], s[0:1]
	s_cbranch_execz .LBB5_39
; %bb.38:
	v_lshrrev_b32_e32 v7, 8, v6
	global_store_byte v[2:3], v7, off offset:64
.LBB5_39:
	s_or_b64 exec, exec, s[30:31]
	s_mov_b32 s0, 0x7060104
	v_perm_b32 v7, v6, v6, s0
	v_cndmask_b32_e64 v8, v7, v6, s[2:3]
	s_and_saveexec_b64 s[0:1], s[2:3]
	s_cbranch_execz .LBB5_41
; %bb.40:
	global_store_byte_d16_hi v[2:3], v8, off offset:128
.LBB5_41:
	s_or_b64 exec, exec, s[0:1]
	s_mov_b32 s0, 0x7020504
	v_perm_b32 v7, v7, v8, s0
	v_cndmask_b32_e64 v6, v7, v6, s[4:5]
	s_and_saveexec_b64 s[0:1], s[4:5]
	s_cbranch_execz .LBB5_43
; %bb.42:
	v_lshrrev_b32_e32 v6, 24, v6
	global_store_byte v[2:3], v6, off offset:192
.LBB5_43:
	s_or_b64 exec, exec, s[0:1]
	s_and_saveexec_b64 s[0:1], s[6:7]
	s_cbranch_execz .LBB5_45
; %bb.44:
	global_store_byte v[2:3], v5, off offset:256
.LBB5_45:
	s_or_b64 exec, exec, s[0:1]
	s_mov_b32 s0, 0x3020104
	v_perm_b32 v6, v5, v5, s0
	v_cndmask_b32_e64 v7, v6, v5, s[8:9]
	s_and_saveexec_b64 s[0:1], s[8:9]
	s_cbranch_execz .LBB5_47
; %bb.46:
	v_lshrrev_b32_e32 v8, 8, v7
	global_store_byte v[2:3], v8, off offset:320
.LBB5_47:
	s_or_b64 exec, exec, s[0:1]
	s_mov_b32 s0, 0x7060104
	v_perm_b32 v6, v6, v7, s0
	v_cndmask_b32_e64 v7, v6, v5, s[10:11]
	s_and_saveexec_b64 s[0:1], s[10:11]
	s_cbranch_execz .LBB5_49
; %bb.48:
	global_store_byte_d16_hi v[2:3], v7, off offset:384
.LBB5_49:
	s_or_b64 exec, exec, s[0:1]
	s_mov_b32 s0, 0x7020504
	v_perm_b32 v6, v6, v7, s0
	v_cndmask_b32_e64 v5, v6, v5, s[12:13]
	s_and_saveexec_b64 s[0:1], s[12:13]
	s_cbranch_execz .LBB5_51
; %bb.50:
	v_lshrrev_b32_e32 v5, 24, v5
	global_store_byte v[2:3], v5, off offset:448
.LBB5_51:
	s_or_b64 exec, exec, s[0:1]
	s_and_saveexec_b64 s[0:1], s[14:15]
	s_cbranch_execz .LBB5_53
; %bb.52:
	global_store_byte v[2:3], v4, off offset:512
.LBB5_53:
	s_or_b64 exec, exec, s[0:1]
	s_mov_b32 s0, 0x3020104
	v_perm_b32 v5, v4, v4, s0
	v_cndmask_b32_e64 v6, v5, v4, s[16:17]
	;; [unrolled: 35-line block ×3, first 2 shown]
	s_and_saveexec_b64 s[0:1], s[24:25]
	s_cbranch_execz .LBB5_63
; %bb.62:
	v_lshrrev_b32_e32 v6, 8, v5
	global_store_byte v[2:3], v6, off offset:832
.LBB5_63:
	s_or_b64 exec, exec, s[0:1]
	s_mov_b32 s0, 0x7060104
	v_perm_b32 v5, v4, v5, s0
	s_and_saveexec_b64 s[0:1], s[26:27]
	s_cbranch_execz .LBB5_65
; %bb.64:
	v_cndmask_b32_e64 v4, v5, v1, s[26:27]
	global_store_byte_d16_hi v[2:3], v4, off offset:896
.LBB5_65:
	s_or_b64 exec, exec, s[0:1]
                                        ; implicit-def: $vgpr4
	s_and_saveexec_b64 s[0:1], s[28:29]
; %bb.66:
	v_cndmask_b32_e64 v1, v5, v1, s[28:29]
	v_lshrrev_b32_e32 v4, 24, v1
	s_or_b64 s[36:37], s[36:37], exec
; %bb.67:
	s_or_b64 exec, exec, s[0:1]
.LBB5_68:
	s_and_saveexec_b64 s[0:1], s[36:37]
	s_cbranch_execnz .LBB5_70
; %bb.69:
	s_endpgm
.LBB5_70:
	s_add_u32 s0, s34, s33
	s_addc_u32 s1, s35, 0
	v_mov_b32_e32 v1, s1
	v_add_co_u32_e32 v0, vcc, s0, v0
	v_addc_co_u32_e32 v1, vcc, 0, v1, vcc
	s_waitcnt vmcnt(15)
	global_store_byte v[0:1], v4, off offset:960
	s_endpgm
	.section	.rodata,"a",@progbits
	.p2align	6, 0x0
	.amdhsa_kernel _ZN7rocprim17ROCPRIM_304000_NS6detail16transform_kernelINS1_24wrapped_transform_configINS0_14default_configEhEEhPhS6_NS0_8identityIhEEEEvT1_mT2_T3_
		.amdhsa_group_segment_fixed_size 0
		.amdhsa_private_segment_fixed_size 0
		.amdhsa_kernarg_size 288
		.amdhsa_user_sgpr_count 6
		.amdhsa_user_sgpr_private_segment_buffer 1
		.amdhsa_user_sgpr_dispatch_ptr 0
		.amdhsa_user_sgpr_queue_ptr 0
		.amdhsa_user_sgpr_kernarg_segment_ptr 1
		.amdhsa_user_sgpr_dispatch_id 0
		.amdhsa_user_sgpr_flat_scratch_init 0
		.amdhsa_user_sgpr_kernarg_preload_length 0
		.amdhsa_user_sgpr_kernarg_preload_offset 0
		.amdhsa_user_sgpr_private_segment_size 0
		.amdhsa_uses_dynamic_stack 0
		.amdhsa_system_sgpr_private_segment_wavefront_offset 0
		.amdhsa_system_sgpr_workgroup_id_x 1
		.amdhsa_system_sgpr_workgroup_id_y 0
		.amdhsa_system_sgpr_workgroup_id_z 0
		.amdhsa_system_sgpr_workgroup_info 0
		.amdhsa_system_vgpr_workitem_id 0
		.amdhsa_next_free_vgpr 21
		.amdhsa_next_free_sgpr 38
		.amdhsa_accum_offset 24
		.amdhsa_reserve_vcc 1
		.amdhsa_reserve_flat_scratch 0
		.amdhsa_float_round_mode_32 0
		.amdhsa_float_round_mode_16_64 0
		.amdhsa_float_denorm_mode_32 3
		.amdhsa_float_denorm_mode_16_64 3
		.amdhsa_dx10_clamp 1
		.amdhsa_ieee_mode 1
		.amdhsa_fp16_overflow 0
		.amdhsa_tg_split 0
		.amdhsa_exception_fp_ieee_invalid_op 0
		.amdhsa_exception_fp_denorm_src 0
		.amdhsa_exception_fp_ieee_div_zero 0
		.amdhsa_exception_fp_ieee_overflow 0
		.amdhsa_exception_fp_ieee_underflow 0
		.amdhsa_exception_fp_ieee_inexact 0
		.amdhsa_exception_int_div_zero 0
	.end_amdhsa_kernel
	.section	.text._ZN7rocprim17ROCPRIM_304000_NS6detail16transform_kernelINS1_24wrapped_transform_configINS0_14default_configEhEEhPhS6_NS0_8identityIhEEEEvT1_mT2_T3_,"axG",@progbits,_ZN7rocprim17ROCPRIM_304000_NS6detail16transform_kernelINS1_24wrapped_transform_configINS0_14default_configEhEEhPhS6_NS0_8identityIhEEEEvT1_mT2_T3_,comdat
.Lfunc_end5:
	.size	_ZN7rocprim17ROCPRIM_304000_NS6detail16transform_kernelINS1_24wrapped_transform_configINS0_14default_configEhEEhPhS6_NS0_8identityIhEEEEvT1_mT2_T3_, .Lfunc_end5-_ZN7rocprim17ROCPRIM_304000_NS6detail16transform_kernelINS1_24wrapped_transform_configINS0_14default_configEhEEhPhS6_NS0_8identityIhEEEEvT1_mT2_T3_
                                        ; -- End function
	.section	.AMDGPU.csdata,"",@progbits
; Kernel info:
; codeLenInByte = 1776
; NumSgprs: 42
; NumVgprs: 21
; NumAgprs: 0
; TotalNumVgprs: 21
; ScratchSize: 0
; MemoryBound: 0
; FloatMode: 240
; IeeeMode: 1
; LDSByteSize: 0 bytes/workgroup (compile time only)
; SGPRBlocks: 5
; VGPRBlocks: 2
; NumSGPRsForWavesPerEU: 42
; NumVGPRsForWavesPerEU: 21
; AccumOffset: 24
; Occupancy: 8
; WaveLimiterHint : 0
; COMPUTE_PGM_RSRC2:SCRATCH_EN: 0
; COMPUTE_PGM_RSRC2:USER_SGPR: 6
; COMPUTE_PGM_RSRC2:TRAP_HANDLER: 0
; COMPUTE_PGM_RSRC2:TGID_X_EN: 1
; COMPUTE_PGM_RSRC2:TGID_Y_EN: 0
; COMPUTE_PGM_RSRC2:TGID_Z_EN: 0
; COMPUTE_PGM_RSRC2:TIDIG_COMP_CNT: 0
; COMPUTE_PGM_RSRC3_GFX90A:ACCUM_OFFSET: 5
; COMPUTE_PGM_RSRC3_GFX90A:TG_SPLIT: 0
	.section	.text._ZN7rocprim17ROCPRIM_304000_NS6detail16transform_kernelINS1_24wrapped_transform_configINS0_14default_configEN2at4cuda3cub6detail10OpaqueTypeILi8EEEEESA_PSA_SC_NS0_8identityISA_EEEEvT1_mT2_T3_,"axG",@progbits,_ZN7rocprim17ROCPRIM_304000_NS6detail16transform_kernelINS1_24wrapped_transform_configINS0_14default_configEN2at4cuda3cub6detail10OpaqueTypeILi8EEEEESA_PSA_SC_NS0_8identityISA_EEEEvT1_mT2_T3_,comdat
	.protected	_ZN7rocprim17ROCPRIM_304000_NS6detail16transform_kernelINS1_24wrapped_transform_configINS0_14default_configEN2at4cuda3cub6detail10OpaqueTypeILi8EEEEESA_PSA_SC_NS0_8identityISA_EEEEvT1_mT2_T3_ ; -- Begin function _ZN7rocprim17ROCPRIM_304000_NS6detail16transform_kernelINS1_24wrapped_transform_configINS0_14default_configEN2at4cuda3cub6detail10OpaqueTypeILi8EEEEESA_PSA_SC_NS0_8identityISA_EEEEvT1_mT2_T3_
	.globl	_ZN7rocprim17ROCPRIM_304000_NS6detail16transform_kernelINS1_24wrapped_transform_configINS0_14default_configEN2at4cuda3cub6detail10OpaqueTypeILi8EEEEESA_PSA_SC_NS0_8identityISA_EEEEvT1_mT2_T3_
	.p2align	8
	.type	_ZN7rocprim17ROCPRIM_304000_NS6detail16transform_kernelINS1_24wrapped_transform_configINS0_14default_configEN2at4cuda3cub6detail10OpaqueTypeILi8EEEEESA_PSA_SC_NS0_8identityISA_EEEEvT1_mT2_T3_,@function
_ZN7rocprim17ROCPRIM_304000_NS6detail16transform_kernelINS1_24wrapped_transform_configINS0_14default_configEN2at4cuda3cub6detail10OpaqueTypeILi8EEEEESA_PSA_SC_NS0_8identityISA_EEEEvT1_mT2_T3_: ; @_ZN7rocprim17ROCPRIM_304000_NS6detail16transform_kernelINS1_24wrapped_transform_configINS0_14default_configEN2at4cuda3cub6detail10OpaqueTypeILi8EEEEESA_PSA_SC_NS0_8identityISA_EEEEvT1_mT2_T3_
; %bb.0:
	s_load_dword s7, s[4:5], 0x20
	s_load_dwordx4 s[0:3], s[4:5], 0x0
	s_load_dwordx2 s[8:9], s[4:5], 0x10
	s_lshl_b32 s10, s6, 9
	s_mov_b32 s11, 0
	s_waitcnt lgkmcnt(0)
	s_add_i32 s7, s7, -1
	s_lshl_b64 s[4:5], s[10:11], 3
	s_add_u32 s0, s0, s4
	s_addc_u32 s1, s1, s5
	v_lshlrev_b32_e32 v1, 3, v0
	v_mov_b32_e32 v2, s1
	v_add_co_u32_e32 v4, vcc, s0, v1
	s_cmp_lg_u32 s6, s7
	v_addc_co_u32_e32 v5, vcc, 0, v2, vcc
	s_cbranch_scc0 .LBB6_2
; %bb.1:
	global_load_dwordx2 v[6:7], v[4:5], off
	global_load_dwordx2 v[2:3], v[4:5], off offset:2048
	s_add_u32 s0, s8, s4
	s_addc_u32 s1, s9, s5
	s_waitcnt vmcnt(1)
	global_store_dwordx2 v1, v[6:7], s[0:1]
	s_mov_b64 s[0:1], -1
	s_cbranch_execz .LBB6_3
	s_branch .LBB6_10
.LBB6_2:
	s_mov_b64 s[0:1], 0
                                        ; implicit-def: $vgpr2_vgpr3
.LBB6_3:
	s_sub_i32 s2, s2, s10
	v_cmp_gt_u32_e32 vcc, s2, v0
                                        ; implicit-def: $vgpr6_vgpr7
	s_and_saveexec_b64 s[0:1], vcc
	s_cbranch_execz .LBB6_5
; %bb.4:
	global_load_dwordx2 v[6:7], v[4:5], off
.LBB6_5:
	s_or_b64 exec, exec, s[0:1]
	v_or_b32_e32 v0, 0x100, v0
	v_cmp_gt_u32_e64 s[0:1], s2, v0
                                        ; implicit-def: $vgpr2_vgpr3
	s_and_saveexec_b64 s[2:3], s[0:1]
	s_cbranch_execz .LBB6_7
; %bb.6:
	global_load_dwordx2 v[2:3], v[4:5], off offset:2048
.LBB6_7:
	s_or_b64 exec, exec, s[2:3]
	s_and_saveexec_b64 s[2:3], vcc
	s_xor_b64 s[2:3], exec, s[2:3]
	s_cbranch_execz .LBB6_9
; %bb.8:
	s_add_u32 s6, s8, s4
	s_addc_u32 s7, s9, s5
	s_waitcnt vmcnt(0)
	global_store_dwordx2 v1, v[6:7], s[6:7]
.LBB6_9:
	s_or_b64 exec, exec, s[2:3]
.LBB6_10:
	s_and_saveexec_b64 s[2:3], s[0:1]
	s_cbranch_execnz .LBB6_12
; %bb.11:
	s_endpgm
.LBB6_12:
	s_add_u32 s0, s8, s4
	s_addc_u32 s1, s9, s5
	s_waitcnt vmcnt(0)
	global_store_dwordx2 v1, v[2:3], s[0:1] offset:2048
	s_endpgm
	.section	.rodata,"a",@progbits
	.p2align	6, 0x0
	.amdhsa_kernel _ZN7rocprim17ROCPRIM_304000_NS6detail16transform_kernelINS1_24wrapped_transform_configINS0_14default_configEN2at4cuda3cub6detail10OpaqueTypeILi8EEEEESA_PSA_SC_NS0_8identityISA_EEEEvT1_mT2_T3_
		.amdhsa_group_segment_fixed_size 0
		.amdhsa_private_segment_fixed_size 0
		.amdhsa_kernarg_size 288
		.amdhsa_user_sgpr_count 6
		.amdhsa_user_sgpr_private_segment_buffer 1
		.amdhsa_user_sgpr_dispatch_ptr 0
		.amdhsa_user_sgpr_queue_ptr 0
		.amdhsa_user_sgpr_kernarg_segment_ptr 1
		.amdhsa_user_sgpr_dispatch_id 0
		.amdhsa_user_sgpr_flat_scratch_init 0
		.amdhsa_user_sgpr_kernarg_preload_length 0
		.amdhsa_user_sgpr_kernarg_preload_offset 0
		.amdhsa_user_sgpr_private_segment_size 0
		.amdhsa_uses_dynamic_stack 0
		.amdhsa_system_sgpr_private_segment_wavefront_offset 0
		.amdhsa_system_sgpr_workgroup_id_x 1
		.amdhsa_system_sgpr_workgroup_id_y 0
		.amdhsa_system_sgpr_workgroup_id_z 0
		.amdhsa_system_sgpr_workgroup_info 0
		.amdhsa_system_vgpr_workitem_id 0
		.amdhsa_next_free_vgpr 8
		.amdhsa_next_free_sgpr 12
		.amdhsa_accum_offset 8
		.amdhsa_reserve_vcc 1
		.amdhsa_reserve_flat_scratch 0
		.amdhsa_float_round_mode_32 0
		.amdhsa_float_round_mode_16_64 0
		.amdhsa_float_denorm_mode_32 3
		.amdhsa_float_denorm_mode_16_64 3
		.amdhsa_dx10_clamp 1
		.amdhsa_ieee_mode 1
		.amdhsa_fp16_overflow 0
		.amdhsa_tg_split 0
		.amdhsa_exception_fp_ieee_invalid_op 0
		.amdhsa_exception_fp_denorm_src 0
		.amdhsa_exception_fp_ieee_div_zero 0
		.amdhsa_exception_fp_ieee_overflow 0
		.amdhsa_exception_fp_ieee_underflow 0
		.amdhsa_exception_fp_ieee_inexact 0
		.amdhsa_exception_int_div_zero 0
	.end_amdhsa_kernel
	.section	.text._ZN7rocprim17ROCPRIM_304000_NS6detail16transform_kernelINS1_24wrapped_transform_configINS0_14default_configEN2at4cuda3cub6detail10OpaqueTypeILi8EEEEESA_PSA_SC_NS0_8identityISA_EEEEvT1_mT2_T3_,"axG",@progbits,_ZN7rocprim17ROCPRIM_304000_NS6detail16transform_kernelINS1_24wrapped_transform_configINS0_14default_configEN2at4cuda3cub6detail10OpaqueTypeILi8EEEEESA_PSA_SC_NS0_8identityISA_EEEEvT1_mT2_T3_,comdat
.Lfunc_end6:
	.size	_ZN7rocprim17ROCPRIM_304000_NS6detail16transform_kernelINS1_24wrapped_transform_configINS0_14default_configEN2at4cuda3cub6detail10OpaqueTypeILi8EEEEESA_PSA_SC_NS0_8identityISA_EEEEvT1_mT2_T3_, .Lfunc_end6-_ZN7rocprim17ROCPRIM_304000_NS6detail16transform_kernelINS1_24wrapped_transform_configINS0_14default_configEN2at4cuda3cub6detail10OpaqueTypeILi8EEEEESA_PSA_SC_NS0_8identityISA_EEEEvT1_mT2_T3_
                                        ; -- End function
	.section	.AMDGPU.csdata,"",@progbits
; Kernel info:
; codeLenInByte = 264
; NumSgprs: 16
; NumVgprs: 8
; NumAgprs: 0
; TotalNumVgprs: 8
; ScratchSize: 0
; MemoryBound: 0
; FloatMode: 240
; IeeeMode: 1
; LDSByteSize: 0 bytes/workgroup (compile time only)
; SGPRBlocks: 1
; VGPRBlocks: 0
; NumSGPRsForWavesPerEU: 16
; NumVGPRsForWavesPerEU: 8
; AccumOffset: 8
; Occupancy: 8
; WaveLimiterHint : 1
; COMPUTE_PGM_RSRC2:SCRATCH_EN: 0
; COMPUTE_PGM_RSRC2:USER_SGPR: 6
; COMPUTE_PGM_RSRC2:TRAP_HANDLER: 0
; COMPUTE_PGM_RSRC2:TGID_X_EN: 1
; COMPUTE_PGM_RSRC2:TGID_Y_EN: 0
; COMPUTE_PGM_RSRC2:TGID_Z_EN: 0
; COMPUTE_PGM_RSRC2:TIDIG_COMP_CNT: 0
; COMPUTE_PGM_RSRC3_GFX90A:ACCUM_OFFSET: 1
; COMPUTE_PGM_RSRC3_GFX90A:TG_SPLIT: 0
	.section	.text._ZN7rocprim17ROCPRIM_304000_NS6detail45device_block_merge_mergepath_partition_kernelINS1_37wrapped_merge_sort_block_merge_configINS0_14default_configEhN2at4cuda3cub6detail10OpaqueTypeILi8EEEEEPhjNS1_19radix_merge_compareILb1ELb1EhNS0_19identity_decomposerEEEEEvT0_T1_jPSH_T2_SH_,"axG",@progbits,_ZN7rocprim17ROCPRIM_304000_NS6detail45device_block_merge_mergepath_partition_kernelINS1_37wrapped_merge_sort_block_merge_configINS0_14default_configEhN2at4cuda3cub6detail10OpaqueTypeILi8EEEEEPhjNS1_19radix_merge_compareILb1ELb1EhNS0_19identity_decomposerEEEEEvT0_T1_jPSH_T2_SH_,comdat
	.protected	_ZN7rocprim17ROCPRIM_304000_NS6detail45device_block_merge_mergepath_partition_kernelINS1_37wrapped_merge_sort_block_merge_configINS0_14default_configEhN2at4cuda3cub6detail10OpaqueTypeILi8EEEEEPhjNS1_19radix_merge_compareILb1ELb1EhNS0_19identity_decomposerEEEEEvT0_T1_jPSH_T2_SH_ ; -- Begin function _ZN7rocprim17ROCPRIM_304000_NS6detail45device_block_merge_mergepath_partition_kernelINS1_37wrapped_merge_sort_block_merge_configINS0_14default_configEhN2at4cuda3cub6detail10OpaqueTypeILi8EEEEEPhjNS1_19radix_merge_compareILb1ELb1EhNS0_19identity_decomposerEEEEEvT0_T1_jPSH_T2_SH_
	.globl	_ZN7rocprim17ROCPRIM_304000_NS6detail45device_block_merge_mergepath_partition_kernelINS1_37wrapped_merge_sort_block_merge_configINS0_14default_configEhN2at4cuda3cub6detail10OpaqueTypeILi8EEEEEPhjNS1_19radix_merge_compareILb1ELb1EhNS0_19identity_decomposerEEEEEvT0_T1_jPSH_T2_SH_
	.p2align	8
	.type	_ZN7rocprim17ROCPRIM_304000_NS6detail45device_block_merge_mergepath_partition_kernelINS1_37wrapped_merge_sort_block_merge_configINS0_14default_configEhN2at4cuda3cub6detail10OpaqueTypeILi8EEEEEPhjNS1_19radix_merge_compareILb1ELb1EhNS0_19identity_decomposerEEEEEvT0_T1_jPSH_T2_SH_,@function
_ZN7rocprim17ROCPRIM_304000_NS6detail45device_block_merge_mergepath_partition_kernelINS1_37wrapped_merge_sort_block_merge_configINS0_14default_configEhN2at4cuda3cub6detail10OpaqueTypeILi8EEEEEPhjNS1_19radix_merge_compareILb1ELb1EhNS0_19identity_decomposerEEEEEvT0_T1_jPSH_T2_SH_: ; @_ZN7rocprim17ROCPRIM_304000_NS6detail45device_block_merge_mergepath_partition_kernelINS1_37wrapped_merge_sort_block_merge_configINS0_14default_configEhN2at4cuda3cub6detail10OpaqueTypeILi8EEEEEPhjNS1_19radix_merge_compareILb1ELb1EhNS0_19identity_decomposerEEEEEvT0_T1_jPSH_T2_SH_
; %bb.0:
	s_load_dwordx2 s[2:3], s[4:5], 0x8
	v_lshl_or_b32 v0, s6, 7, v0
	s_waitcnt lgkmcnt(0)
	v_cmp_gt_u32_e32 vcc, s3, v0
	s_and_saveexec_b64 s[0:1], vcc
	s_cbranch_execz .LBB7_6
; %bb.1:
	s_load_dwordx2 s[0:1], s[4:5], 0x18
	s_waitcnt lgkmcnt(0)
	s_lshr_b32 s3, s1, 9
	s_and_b32 s3, s3, 0x7ffffe
	s_add_i32 s6, s3, -1
	s_sub_i32 s3, 0, s3
	v_and_b32_e32 v1, s3, v0
	v_lshlrev_b32_e32 v3, 10, v1
	v_min_u32_e32 v1, s2, v3
	v_add_u32_e32 v3, s1, v3
	v_min_u32_e32 v7, s2, v3
	v_add_u32_e32 v3, s1, v7
	v_and_b32_e32 v2, s6, v0
	v_min_u32_e32 v4, s2, v3
	v_lshlrev_b32_e32 v2, 10, v2
	v_sub_u32_e32 v3, v4, v1
	v_min_u32_e32 v3, v3, v2
	v_sub_u32_e32 v5, v7, v1
	v_sub_u32_e32 v2, v4, v7
	v_sub_u32_e64 v2, v3, v2 clamp
	v_min_u32_e32 v4, v3, v5
	v_cmp_lt_u32_e32 vcc, v2, v4
	s_and_saveexec_b64 s[2:3], vcc
	s_cbranch_execz .LBB7_5
; %bb.2:
	s_load_dwordx2 s[6:7], s[4:5], 0x0
	s_waitcnt lgkmcnt(0)
	v_mov_b32_e32 v8, s7
	v_add_co_u32_e32 v5, vcc, s6, v1
	v_addc_co_u32_e32 v6, vcc, 0, v8, vcc
	v_add_co_u32_e32 v7, vcc, s6, v7
	v_addc_co_u32_e32 v8, vcc, 0, v8, vcc
	s_mov_b64 s[6:7], 0
.LBB7_3:                                ; =>This Inner Loop Header: Depth=1
	v_add_u32_e32 v9, v4, v2
	v_lshrrev_b32_e32 v9, 1, v9
	v_add_co_u32_e32 v10, vcc, v5, v9
	v_xad_u32 v12, v9, -1, v3
	v_addc_co_u32_e32 v11, vcc, 0, v6, vcc
	v_add_co_u32_e32 v12, vcc, v7, v12
	v_addc_co_u32_e32 v13, vcc, 0, v8, vcc
	global_load_ubyte v14, v[10:11], off
	global_load_ubyte v15, v[12:13], off
	v_add_u32_e32 v10, 1, v9
	s_waitcnt vmcnt(1)
	v_and_b32_e32 v11, s0, v14
	s_waitcnt vmcnt(0)
	v_and_b32_e32 v12, s0, v15
	v_cmp_gt_u16_sdwa vcc, v12, v11 src0_sel:BYTE_0 src1_sel:BYTE_0
	v_cndmask_b32_e32 v4, v4, v9, vcc
	v_cndmask_b32_e32 v2, v10, v2, vcc
	v_cmp_ge_u32_e32 vcc, v2, v4
	s_or_b64 s[6:7], vcc, s[6:7]
	s_andn2_b64 exec, exec, s[6:7]
	s_cbranch_execnz .LBB7_3
; %bb.4:
	s_or_b64 exec, exec, s[6:7]
.LBB7_5:
	s_or_b64 exec, exec, s[2:3]
	s_load_dwordx2 s[0:1], s[4:5], 0x10
	v_add_u32_e32 v2, v2, v1
	v_mov_b32_e32 v1, 0
	v_lshlrev_b64 v[0:1], 2, v[0:1]
	s_waitcnt lgkmcnt(0)
	v_mov_b32_e32 v3, s1
	v_add_co_u32_e32 v0, vcc, s0, v0
	v_addc_co_u32_e32 v1, vcc, v3, v1, vcc
	global_store_dword v[0:1], v2, off
.LBB7_6:
	s_endpgm
	.section	.rodata,"a",@progbits
	.p2align	6, 0x0
	.amdhsa_kernel _ZN7rocprim17ROCPRIM_304000_NS6detail45device_block_merge_mergepath_partition_kernelINS1_37wrapped_merge_sort_block_merge_configINS0_14default_configEhN2at4cuda3cub6detail10OpaqueTypeILi8EEEEEPhjNS1_19radix_merge_compareILb1ELb1EhNS0_19identity_decomposerEEEEEvT0_T1_jPSH_T2_SH_
		.amdhsa_group_segment_fixed_size 0
		.amdhsa_private_segment_fixed_size 0
		.amdhsa_kernarg_size 32
		.amdhsa_user_sgpr_count 6
		.amdhsa_user_sgpr_private_segment_buffer 1
		.amdhsa_user_sgpr_dispatch_ptr 0
		.amdhsa_user_sgpr_queue_ptr 0
		.amdhsa_user_sgpr_kernarg_segment_ptr 1
		.amdhsa_user_sgpr_dispatch_id 0
		.amdhsa_user_sgpr_flat_scratch_init 0
		.amdhsa_user_sgpr_kernarg_preload_length 0
		.amdhsa_user_sgpr_kernarg_preload_offset 0
		.amdhsa_user_sgpr_private_segment_size 0
		.amdhsa_uses_dynamic_stack 0
		.amdhsa_system_sgpr_private_segment_wavefront_offset 0
		.amdhsa_system_sgpr_workgroup_id_x 1
		.amdhsa_system_sgpr_workgroup_id_y 0
		.amdhsa_system_sgpr_workgroup_id_z 0
		.amdhsa_system_sgpr_workgroup_info 0
		.amdhsa_system_vgpr_workitem_id 0
		.amdhsa_next_free_vgpr 16
		.amdhsa_next_free_sgpr 8
		.amdhsa_accum_offset 16
		.amdhsa_reserve_vcc 1
		.amdhsa_reserve_flat_scratch 0
		.amdhsa_float_round_mode_32 0
		.amdhsa_float_round_mode_16_64 0
		.amdhsa_float_denorm_mode_32 3
		.amdhsa_float_denorm_mode_16_64 3
		.amdhsa_dx10_clamp 1
		.amdhsa_ieee_mode 1
		.amdhsa_fp16_overflow 0
		.amdhsa_tg_split 0
		.amdhsa_exception_fp_ieee_invalid_op 0
		.amdhsa_exception_fp_denorm_src 0
		.amdhsa_exception_fp_ieee_div_zero 0
		.amdhsa_exception_fp_ieee_overflow 0
		.amdhsa_exception_fp_ieee_underflow 0
		.amdhsa_exception_fp_ieee_inexact 0
		.amdhsa_exception_int_div_zero 0
	.end_amdhsa_kernel
	.section	.text._ZN7rocprim17ROCPRIM_304000_NS6detail45device_block_merge_mergepath_partition_kernelINS1_37wrapped_merge_sort_block_merge_configINS0_14default_configEhN2at4cuda3cub6detail10OpaqueTypeILi8EEEEEPhjNS1_19radix_merge_compareILb1ELb1EhNS0_19identity_decomposerEEEEEvT0_T1_jPSH_T2_SH_,"axG",@progbits,_ZN7rocprim17ROCPRIM_304000_NS6detail45device_block_merge_mergepath_partition_kernelINS1_37wrapped_merge_sort_block_merge_configINS0_14default_configEhN2at4cuda3cub6detail10OpaqueTypeILi8EEEEEPhjNS1_19radix_merge_compareILb1ELb1EhNS0_19identity_decomposerEEEEEvT0_T1_jPSH_T2_SH_,comdat
.Lfunc_end7:
	.size	_ZN7rocprim17ROCPRIM_304000_NS6detail45device_block_merge_mergepath_partition_kernelINS1_37wrapped_merge_sort_block_merge_configINS0_14default_configEhN2at4cuda3cub6detail10OpaqueTypeILi8EEEEEPhjNS1_19radix_merge_compareILb1ELb1EhNS0_19identity_decomposerEEEEEvT0_T1_jPSH_T2_SH_, .Lfunc_end7-_ZN7rocprim17ROCPRIM_304000_NS6detail45device_block_merge_mergepath_partition_kernelINS1_37wrapped_merge_sort_block_merge_configINS0_14default_configEhN2at4cuda3cub6detail10OpaqueTypeILi8EEEEEPhjNS1_19radix_merge_compareILb1ELb1EhNS0_19identity_decomposerEEEEEvT0_T1_jPSH_T2_SH_
                                        ; -- End function
	.section	.AMDGPU.csdata,"",@progbits
; Kernel info:
; codeLenInByte = 336
; NumSgprs: 12
; NumVgprs: 16
; NumAgprs: 0
; TotalNumVgprs: 16
; ScratchSize: 0
; MemoryBound: 0
; FloatMode: 240
; IeeeMode: 1
; LDSByteSize: 0 bytes/workgroup (compile time only)
; SGPRBlocks: 1
; VGPRBlocks: 1
; NumSGPRsForWavesPerEU: 12
; NumVGPRsForWavesPerEU: 16
; AccumOffset: 16
; Occupancy: 8
; WaveLimiterHint : 0
; COMPUTE_PGM_RSRC2:SCRATCH_EN: 0
; COMPUTE_PGM_RSRC2:USER_SGPR: 6
; COMPUTE_PGM_RSRC2:TRAP_HANDLER: 0
; COMPUTE_PGM_RSRC2:TGID_X_EN: 1
; COMPUTE_PGM_RSRC2:TGID_Y_EN: 0
; COMPUTE_PGM_RSRC2:TGID_Z_EN: 0
; COMPUTE_PGM_RSRC2:TIDIG_COMP_CNT: 0
; COMPUTE_PGM_RSRC3_GFX90A:ACCUM_OFFSET: 3
; COMPUTE_PGM_RSRC3_GFX90A:TG_SPLIT: 0
	.section	.text._ZN7rocprim17ROCPRIM_304000_NS6detail35device_block_merge_mergepath_kernelINS1_37wrapped_merge_sort_block_merge_configINS0_14default_configEhN2at4cuda3cub6detail10OpaqueTypeILi8EEEEEPhSC_PSA_SD_jNS1_19radix_merge_compareILb1ELb1EhNS0_19identity_decomposerEEEEEvT0_T1_T2_T3_T4_SL_jT5_PKSL_NS1_7vsmem_tE,"axG",@progbits,_ZN7rocprim17ROCPRIM_304000_NS6detail35device_block_merge_mergepath_kernelINS1_37wrapped_merge_sort_block_merge_configINS0_14default_configEhN2at4cuda3cub6detail10OpaqueTypeILi8EEEEEPhSC_PSA_SD_jNS1_19radix_merge_compareILb1ELb1EhNS0_19identity_decomposerEEEEEvT0_T1_T2_T3_T4_SL_jT5_PKSL_NS1_7vsmem_tE,comdat
	.protected	_ZN7rocprim17ROCPRIM_304000_NS6detail35device_block_merge_mergepath_kernelINS1_37wrapped_merge_sort_block_merge_configINS0_14default_configEhN2at4cuda3cub6detail10OpaqueTypeILi8EEEEEPhSC_PSA_SD_jNS1_19radix_merge_compareILb1ELb1EhNS0_19identity_decomposerEEEEEvT0_T1_T2_T3_T4_SL_jT5_PKSL_NS1_7vsmem_tE ; -- Begin function _ZN7rocprim17ROCPRIM_304000_NS6detail35device_block_merge_mergepath_kernelINS1_37wrapped_merge_sort_block_merge_configINS0_14default_configEhN2at4cuda3cub6detail10OpaqueTypeILi8EEEEEPhSC_PSA_SD_jNS1_19radix_merge_compareILb1ELb1EhNS0_19identity_decomposerEEEEEvT0_T1_T2_T3_T4_SL_jT5_PKSL_NS1_7vsmem_tE
	.globl	_ZN7rocprim17ROCPRIM_304000_NS6detail35device_block_merge_mergepath_kernelINS1_37wrapped_merge_sort_block_merge_configINS0_14default_configEhN2at4cuda3cub6detail10OpaqueTypeILi8EEEEEPhSC_PSA_SD_jNS1_19radix_merge_compareILb1ELb1EhNS0_19identity_decomposerEEEEEvT0_T1_T2_T3_T4_SL_jT5_PKSL_NS1_7vsmem_tE
	.p2align	8
	.type	_ZN7rocprim17ROCPRIM_304000_NS6detail35device_block_merge_mergepath_kernelINS1_37wrapped_merge_sort_block_merge_configINS0_14default_configEhN2at4cuda3cub6detail10OpaqueTypeILi8EEEEEPhSC_PSA_SD_jNS1_19radix_merge_compareILb1ELb1EhNS0_19identity_decomposerEEEEEvT0_T1_T2_T3_T4_SL_jT5_PKSL_NS1_7vsmem_tE,@function
_ZN7rocprim17ROCPRIM_304000_NS6detail35device_block_merge_mergepath_kernelINS1_37wrapped_merge_sort_block_merge_configINS0_14default_configEhN2at4cuda3cub6detail10OpaqueTypeILi8EEEEEPhSC_PSA_SD_jNS1_19radix_merge_compareILb1ELb1EhNS0_19identity_decomposerEEEEEvT0_T1_T2_T3_T4_SL_jT5_PKSL_NS1_7vsmem_tE: ; @_ZN7rocprim17ROCPRIM_304000_NS6detail35device_block_merge_mergepath_kernelINS1_37wrapped_merge_sort_block_merge_configINS0_14default_configEhN2at4cuda3cub6detail10OpaqueTypeILi8EEEEEPhSC_PSA_SD_jNS1_19radix_merge_compareILb1ELb1EhNS0_19identity_decomposerEEEEEvT0_T1_T2_T3_T4_SL_jT5_PKSL_NS1_7vsmem_tE
; %bb.0:
	s_load_dwordx2 s[26:27], s[4:5], 0x40
	s_load_dwordx4 s[16:19], s[4:5], 0x20
	s_add_u32 s2, s4, 64
	s_addc_u32 s3, s5, 0
	s_waitcnt lgkmcnt(0)
	s_mul_i32 s0, s27, s8
	s_add_i32 s0, s0, s7
	s_mul_i32 s0, s0, s26
	s_add_i32 s0, s0, s6
	s_cmp_ge_u32 s0, s18
	s_cbranch_scc1 .LBB8_75
; %bb.1:
	s_load_dwordx8 s[8:15], s[4:5], 0x0
	s_load_dwordx2 s[22:23], s[4:5], 0x30
	s_lshr_b32 s30, s16, 10
	s_cmp_lg_u32 s0, s30
	s_mov_b32 s1, 0
	s_cselect_b64 s[20:21], -1, 0
	s_lshl_b64 s[4:5], s[0:1], 2
	s_waitcnt lgkmcnt(0)
	s_add_u32 s4, s22, s4
	s_addc_u32 s5, s23, s5
	s_load_dwordx2 s[22:23], s[4:5], 0x0
	s_lshr_b32 s4, s17, 9
	s_and_b32 s4, s4, 0x7ffffe
	s_sub_i32 s4, 0, s4
	s_and_b32 s5, s0, s4
	s_lshl_b32 s7, s5, 10
	s_lshl_b32 s18, s0, 10
	;; [unrolled: 1-line block ×3, first 2 shown]
	s_sub_i32 s24, s18, s7
	s_add_i32 s5, s5, s17
	s_add_i32 s25, s5, s24
	s_waitcnt lgkmcnt(0)
	s_sub_i32 s24, s25, s22
	s_sub_i32 s25, s25, s23
	;; [unrolled: 1-line block ×3, first 2 shown]
	s_min_u32 s24, s16, s24
	s_addk_i32 s25, 0x400
	s_or_b32 s4, s0, s4
	s_min_u32 s7, s16, s5
	s_add_i32 s5, s5, s17
	s_cmp_eq_u32 s4, -1
	s_cselect_b32 s4, s5, s25
	s_cselect_b32 s5, s7, s23
	s_min_u32 s4, s4, s16
	s_sub_i32 s27, s5, s22
	s_sub_i32 s28, s4, s24
	s_add_u32 s5, s8, s22
	s_addc_u32 s29, s9, 0
	s_add_u32 s4, s8, s24
	s_addc_u32 s7, s9, 0
	s_cmp_lt_u32 s6, s26
	v_mov_b32_e32 v1, 0
	s_cselect_b32 s6, 12, 18
	global_load_dword v2, v1, s[2:3] offset:14
	s_add_u32 s2, s2, s6
	s_addc_u32 s3, s3, 0
	global_load_ushort v1, v1, s[2:3]
	s_mov_b32 s25, s1
	s_mov_b32 s23, s1
	s_cmp_eq_u32 s0, s30
	v_cmp_gt_u32_e32 vcc, s27, v0
	s_waitcnt vmcnt(1)
	v_lshrrev_b32_e32 v3, 16, v2
	v_and_b32_e32 v2, 0xffff, v2
	v_mul_lo_u32 v2, v2, v3
	s_waitcnt vmcnt(0)
	v_mul_lo_u32 v2, v2, v1
	v_add_u32_e32 v4, v2, v0
	v_add_u32_e32 v3, v4, v2
	s_cbranch_scc1 .LBB8_3
; %bb.2:
	v_mov_b32_e32 v1, s29
	v_add_co_u32_e64 v5, s[0:1], s5, v0
	v_addc_co_u32_e64 v1, s[0:1], 0, v1, s[0:1]
	v_subrev_u32_e32 v6, s27, v0
	v_mov_b32_e32 v7, s7
	v_add_co_u32_e64 v6, s[0:1], s4, v6
	v_addc_co_u32_e64 v7, s[0:1], 0, v7, s[0:1]
	v_cndmask_b32_e32 v11, v7, v1, vcc
	v_cndmask_b32_e32 v10, v6, v5, vcc
	v_mov_b32_e32 v1, s29
	v_add_co_u32_e32 v5, vcc, s5, v4
	v_addc_co_u32_e32 v1, vcc, 0, v1, vcc
	v_subrev_u32_e32 v6, s27, v4
	v_mov_b32_e32 v7, s7
	v_add_co_u32_e32 v6, vcc, s4, v6
	v_addc_co_u32_e32 v7, vcc, 0, v7, vcc
	v_cmp_gt_u32_e32 vcc, s27, v4
	v_cndmask_b32_e32 v13, v7, v1, vcc
	v_cndmask_b32_e32 v12, v6, v5, vcc
	v_mov_b32_e32 v1, s29
	v_add_co_u32_e32 v5, vcc, s5, v3
	v_addc_co_u32_e32 v1, vcc, 0, v1, vcc
	v_subrev_u32_e32 v6, s27, v3
	v_mov_b32_e32 v7, s7
	v_add_co_u32_e32 v6, vcc, s4, v6
	v_addc_co_u32_e32 v7, vcc, 0, v7, vcc
	v_cmp_gt_u32_e32 vcc, s27, v3
	v_cndmask_b32_e32 v15, v7, v1, vcc
	v_add_u32_e32 v1, v3, v2
	v_cndmask_b32_e32 v14, v6, v5, vcc
	v_mov_b32_e32 v5, s29
	v_add_co_u32_e32 v6, vcc, s5, v1
	v_addc_co_u32_e32 v5, vcc, 0, v5, vcc
	v_subrev_u32_e32 v7, s27, v1
	v_mov_b32_e32 v8, s7
	v_add_co_u32_e32 v7, vcc, s4, v7
	v_addc_co_u32_e32 v8, vcc, 0, v8, vcc
	v_cmp_gt_u32_e32 vcc, s27, v1
	v_cndmask_b32_e32 v17, v8, v5, vcc
	v_cndmask_b32_e32 v16, v7, v6, vcc
	global_load_ubyte v1, v[10:11], off
	global_load_ubyte v6, v[12:13], off
	;; [unrolled: 1-line block ×4, first 2 shown]
	s_add_i32 s17, s28, s27
	s_cbranch_execz .LBB8_4
	s_branch .LBB8_13
.LBB8_3:
                                        ; implicit-def: $vgpr1
                                        ; implicit-def: $vgpr6
                                        ; implicit-def: $vgpr7
                                        ; implicit-def: $vgpr9
                                        ; implicit-def: $sgpr17
.LBB8_4:
	s_add_i32 s17, s28, s27
	v_cmp_gt_u32_e32 vcc, s17, v0
                                        ; implicit-def: $vgpr1
	s_and_saveexec_b64 s[0:1], vcc
	s_cbranch_execz .LBB8_6
; %bb.5:
	s_waitcnt vmcnt(3)
	v_mov_b32_e32 v1, s29
	v_add_co_u32_e32 v5, vcc, s5, v0
	v_addc_co_u32_e32 v1, vcc, 0, v1, vcc
	s_waitcnt vmcnt(2)
	v_subrev_u32_e32 v6, s27, v0
	s_waitcnt vmcnt(1)
	v_mov_b32_e32 v7, s7
	v_add_co_u32_e32 v6, vcc, s4, v6
	v_addc_co_u32_e32 v7, vcc, 0, v7, vcc
	v_cmp_gt_u32_e32 vcc, s27, v0
	v_cndmask_b32_e32 v7, v7, v1, vcc
	v_cndmask_b32_e32 v6, v6, v5, vcc
	global_load_ubyte v1, v[6:7], off
.LBB8_6:
	s_or_b64 exec, exec, s[0:1]
	v_cmp_gt_u32_e32 vcc, s17, v4
                                        ; implicit-def: $vgpr6
	s_and_saveexec_b64 s[0:1], vcc
	s_cbranch_execz .LBB8_8
; %bb.7:
	v_mov_b32_e32 v5, s29
	s_waitcnt vmcnt(2)
	v_add_co_u32_e32 v6, vcc, s5, v4
	v_addc_co_u32_e32 v5, vcc, 0, v5, vcc
	s_waitcnt vmcnt(1)
	v_subrev_u32_e32 v7, s27, v4
	v_mov_b32_e32 v8, s7
	v_add_co_u32_e32 v7, vcc, s4, v7
	v_addc_co_u32_e32 v8, vcc, 0, v8, vcc
	v_cmp_gt_u32_e32 vcc, s27, v4
	v_cndmask_b32_e32 v5, v8, v5, vcc
	v_cndmask_b32_e32 v4, v7, v6, vcc
	global_load_ubyte v6, v[4:5], off
.LBB8_8:
	s_or_b64 exec, exec, s[0:1]
	v_cmp_gt_u32_e32 vcc, s17, v3
                                        ; implicit-def: $vgpr7
	s_and_saveexec_b64 s[0:1], vcc
	s_cbranch_execz .LBB8_10
; %bb.9:
	v_mov_b32_e32 v4, s29
	s_waitcnt vmcnt(1)
	v_add_co_u32_e32 v7, vcc, s5, v3
	v_addc_co_u32_e32 v4, vcc, 0, v4, vcc
	v_subrev_u32_e32 v5, s27, v3
	v_mov_b32_e32 v8, s7
	s_waitcnt vmcnt(0)
	v_add_co_u32_e32 v9, vcc, s4, v5
	v_addc_co_u32_e32 v5, vcc, 0, v8, vcc
	v_cmp_gt_u32_e32 vcc, s27, v3
	v_cndmask_b32_e32 v5, v5, v4, vcc
	v_cndmask_b32_e32 v4, v9, v7, vcc
	global_load_ubyte v7, v[4:5], off
.LBB8_10:
	s_or_b64 exec, exec, s[0:1]
	v_add_u32_e32 v2, v3, v2
	v_cmp_gt_u32_e32 vcc, s17, v2
                                        ; implicit-def: $vgpr9
	s_and_saveexec_b64 s[0:1], vcc
	s_cbranch_execz .LBB8_12
; %bb.11:
	v_mov_b32_e32 v3, s29
	v_add_co_u32_e32 v4, vcc, s5, v2
	v_addc_co_u32_e32 v3, vcc, 0, v3, vcc
	v_subrev_u32_e32 v5, s27, v2
	v_mov_b32_e32 v8, s7
	v_add_co_u32_e32 v5, vcc, s4, v5
	v_addc_co_u32_e32 v8, vcc, 0, v8, vcc
	v_cmp_gt_u32_e32 vcc, s27, v2
	v_cndmask_b32_e32 v3, v8, v3, vcc
	v_cndmask_b32_e32 v2, v5, v4, vcc
	global_load_ubyte v9, v[2:3], off
.LBB8_12:
	s_or_b64 exec, exec, s[0:1]
.LBB8_13:
	v_lshlrev_b32_e32 v8, 2, v0
	v_min_u32_e32 v3, s17, v8
	v_sub_u32_e64 v2, v3, s28 clamp
	v_min_u32_e32 v4, s27, v3
	v_cmp_lt_u32_e32 vcc, v2, v4
	s_waitcnt vmcnt(0)
	ds_write_b8 v0, v1
	ds_write_b8 v0, v6 offset:256
	ds_write_b8 v0, v7 offset:512
	;; [unrolled: 1-line block ×3, first 2 shown]
	s_waitcnt lgkmcnt(0)
	s_barrier
	s_and_saveexec_b64 s[0:1], vcc
	s_cbranch_execz .LBB8_17
; %bb.14:
	v_add_u32_e32 v5, s27, v3
	s_mov_b64 s[2:3], 0
.LBB8_15:                               ; =>This Inner Loop Header: Depth=1
	v_add_u32_e32 v10, v4, v2
	v_lshrrev_b32_e32 v10, 1, v10
	v_xad_u32 v11, v10, -1, v5
	ds_read_u8 v12, v10
	ds_read_u8 v11, v11
	v_add_u32_e32 v13, 1, v10
	s_waitcnt lgkmcnt(1)
	v_and_b32_e32 v12, s19, v12
	s_waitcnt lgkmcnt(0)
	v_and_b32_e32 v11, s19, v11
	v_cmp_gt_u16_sdwa vcc, v11, v12 src0_sel:BYTE_0 src1_sel:BYTE_0
	v_cndmask_b32_e32 v4, v4, v10, vcc
	v_cndmask_b32_e32 v2, v13, v2, vcc
	v_cmp_ge_u32_e32 vcc, v2, v4
	s_or_b64 s[2:3], vcc, s[2:3]
	s_andn2_b64 exec, exec, s[2:3]
	s_cbranch_execnz .LBB8_15
; %bb.16:
	s_or_b64 exec, exec, s[2:3]
.LBB8_17:
	s_or_b64 exec, exec, s[0:1]
	v_sub_u32_e32 v3, v3, v2
	v_add_u32_e32 v3, s27, v3
	v_cmp_ge_u32_e32 vcc, s27, v2
	v_cmp_ge_u32_e64 s[0:1], s17, v3
	s_or_b64 s[0:1], vcc, s[0:1]
                                        ; implicit-def: $vgpr10
                                        ; implicit-def: $vgpr11
                                        ; implicit-def: $vgpr12
                                        ; implicit-def: $vgpr13
	s_and_saveexec_b64 s[6:7], s[0:1]
	s_cbranch_execz .LBB8_23
; %bb.18:
	v_cmp_gt_u32_e32 vcc, s27, v2
                                        ; implicit-def: $vgpr1
	s_and_saveexec_b64 s[0:1], vcc
	s_cbranch_execz .LBB8_20
; %bb.19:
	ds_read_u8 v1, v2
.LBB8_20:
	s_or_b64 exec, exec, s[0:1]
	v_cmp_le_u32_e64 s[0:1], s17, v3
	v_cmp_gt_u32_e64 s[2:3], s17, v3
                                        ; implicit-def: $vgpr4
	s_and_saveexec_b64 s[4:5], s[2:3]
	s_cbranch_execz .LBB8_22
; %bb.21:
	ds_read_u8 v4, v3
.LBB8_22:
	s_or_b64 exec, exec, s[4:5]
	s_waitcnt lgkmcnt(0)
	v_and_b32_e32 v5, s19, v4
	v_and_b32_e32 v6, s19, v1
	v_cmp_le_u16_sdwa s[2:3], v5, v6 src0_sel:BYTE_0 src1_sel:BYTE_0
	s_and_b64 s[2:3], vcc, s[2:3]
	s_or_b64 vcc, s[0:1], s[2:3]
	v_mov_b32_e32 v5, s17
	v_mov_b32_e32 v6, s27
	v_cndmask_b32_e32 v13, v3, v2, vcc
	v_cndmask_b32_e32 v7, v5, v6, vcc
	v_add_u32_e32 v9, 1, v13
	v_add_u32_e32 v7, -1, v7
	v_min_u32_e32 v7, v9, v7
	ds_read_u8 v7, v7
	v_cndmask_b32_e32 v3, v9, v3, vcc
	v_cndmask_b32_e32 v2, v2, v9, vcc
	v_cmp_gt_u32_e64 s[2:3], s27, v2
	v_cmp_le_u32_e64 s[0:1], s17, v3
	s_waitcnt lgkmcnt(0)
	v_cndmask_b32_e32 v10, v7, v4, vcc
	v_cndmask_b32_e32 v7, v1, v7, vcc
	v_and_b32_e32 v9, s19, v10
	v_and_b32_e32 v11, s19, v7
	v_cmp_le_u16_sdwa s[4:5], v9, v11 src0_sel:BYTE_0 src1_sel:BYTE_0
	s_and_b64 s[2:3], s[2:3], s[4:5]
	s_or_b64 s[0:1], s[0:1], s[2:3]
	v_cndmask_b32_e64 v12, v3, v2, s[0:1]
	v_cndmask_b32_e64 v9, v5, v6, s[0:1]
	v_add_u32_e32 v11, 1, v12
	v_add_u32_e32 v9, -1, v9
	v_min_u32_e32 v9, v11, v9
	ds_read_u8 v9, v9
	v_cndmask_b32_e64 v3, v11, v3, s[0:1]
	v_cndmask_b32_e64 v2, v2, v11, s[0:1]
	v_cmp_gt_u32_e64 s[4:5], s27, v2
	v_cmp_le_u32_e64 s[2:3], s17, v3
	s_waitcnt lgkmcnt(0)
	v_cndmask_b32_e64 v14, v9, v10, s[0:1]
	v_cndmask_b32_e64 v9, v7, v9, s[0:1]
	v_and_b32_e32 v11, s19, v14
	v_and_b32_e32 v15, s19, v9
	v_cmp_le_u16_sdwa s[8:9], v11, v15 src0_sel:BYTE_0 src1_sel:BYTE_0
	s_and_b64 s[4:5], s[4:5], s[8:9]
	s_or_b64 s[2:3], s[2:3], s[4:5]
	v_cndmask_b32_e64 v11, v3, v2, s[2:3]
	v_cndmask_b32_e64 v5, v5, v6, s[2:3]
	v_add_u32_e32 v15, 1, v11
	v_add_u32_e32 v5, -1, v5
	v_min_u32_e32 v5, v15, v5
	ds_read_u8 v5, v5
	v_cndmask_b32_e32 v1, v4, v1, vcc
	v_cndmask_b32_e64 v6, v10, v7, s[0:1]
	v_cndmask_b32_e64 v7, v14, v9, s[2:3]
	v_cndmask_b32_e64 v2, v2, v15, s[2:3]
	s_waitcnt lgkmcnt(0)
	v_cndmask_b32_e64 v4, v5, v14, s[2:3]
	v_cndmask_b32_e64 v5, v9, v5, s[2:3]
	v_and_b32_e32 v9, s19, v4
	v_and_b32_e32 v10, s19, v5
	v_cndmask_b32_e64 v3, v15, v3, s[2:3]
	v_cmp_gt_u32_e64 s[0:1], s27, v2
	v_cmp_le_u16_sdwa s[2:3], v9, v10 src0_sel:BYTE_0 src1_sel:BYTE_0
	v_cmp_le_u32_e32 vcc, s17, v3
	s_and_b64 s[0:1], s[0:1], s[2:3]
	s_or_b64 vcc, vcc, s[0:1]
	v_cndmask_b32_e32 v10, v3, v2, vcc
	v_cndmask_b32_e32 v9, v4, v5, vcc
.LBB8_23:
	s_or_b64 exec, exec, s[6:7]
	s_lshl_b64 s[0:1], s[22:23], 3
	s_add_u32 s19, s12, s0
	s_addc_u32 s26, s13, s1
	s_lshl_b64 s[0:1], s[24:25], 3
	s_add_u32 s29, s12, s0
	v_cndmask_b32_e64 v2, 0, 1, s[20:21]
	s_addc_u32 s30, s13, s1
	v_cmp_gt_u32_e64 s[4:5], s27, v0
	v_cmp_ne_u32_e64 s[0:1], 1, v2
	s_andn2_b64 vcc, exec, s[20:21]
	v_cmp_le_u32_e64 s[2:3], s27, v0
	s_barrier
	s_cbranch_vccnz .LBB8_25
; %bb.24:
	v_subrev_u32_e32 v2, s27, v0
	v_mov_b32_e32 v3, 0
	v_lshlrev_b64 v[4:5], 3, v[2:3]
	v_mov_b32_e32 v2, s30
	v_add_co_u32_e32 v4, vcc, s29, v4
	v_addc_co_u32_e32 v2, vcc, v2, v5, vcc
	v_lshlrev_b32_e32 v20, 3, v0
	v_mov_b32_e32 v5, s26
	v_add_co_u32_e32 v21, vcc, s19, v20
	v_addc_co_u32_e32 v22, vcc, 0, v5, vcc
	v_cndmask_b32_e64 v5, v2, v22, s[4:5]
	v_cndmask_b32_e64 v4, v4, v21, s[4:5]
	v_or_b32_e32 v16, 0x100, v0
	s_movk_i32 s4, 0x800
	v_add_co_u32_e32 v17, vcc, s4, v21
	v_subrev_u32_e32 v2, s27, v16
	v_addc_co_u32_e32 v18, vcc, 0, v22, vcc
	v_lshlrev_b64 v[14:15], 3, v[2:3]
	v_mov_b32_e32 v2, s30
	v_add_co_u32_e32 v14, vcc, s29, v14
	v_addc_co_u32_e32 v2, vcc, v2, v15, vcc
	v_cmp_gt_u32_e32 vcc, s27, v16
	v_cndmask_b32_e32 v15, v2, v18, vcc
	v_or_b32_e32 v18, 0x200, v0
	s_movk_i32 s4, 0x1000
	v_cndmask_b32_e32 v14, v14, v17, vcc
	v_add_co_u32_e32 v19, vcc, s4, v21
	v_subrev_u32_e32 v2, s27, v18
	global_load_dwordx2 v[16:17], v[14:15], off
	v_addc_co_u32_e32 v23, vcc, 0, v22, vcc
	v_lshlrev_b64 v[14:15], 3, v[2:3]
	v_mov_b32_e32 v2, s30
	v_add_co_u32_e32 v14, vcc, s29, v14
	v_addc_co_u32_e32 v2, vcc, v2, v15, vcc
	v_cmp_gt_u32_e32 vcc, s27, v18
	global_load_dwordx2 v[4:5], v[4:5], off
	v_cndmask_b32_e32 v15, v2, v23, vcc
	v_cndmask_b32_e32 v14, v14, v19, vcc
	global_load_dwordx2 v[18:19], v[14:15], off
	v_or_b32_e32 v15, 0x300, v0
	s_movk_i32 s4, 0x1800
	v_add_co_u32_e32 v21, vcc, s4, v21
	v_subrev_u32_e32 v2, s27, v15
	v_addc_co_u32_e32 v22, vcc, 0, v22, vcc
	v_lshlrev_b64 v[2:3], 3, v[2:3]
	v_mov_b32_e32 v23, s30
	v_add_co_u32_e32 v2, vcc, s29, v2
	v_addc_co_u32_e32 v3, vcc, v23, v3, vcc
	v_cmp_gt_u32_e32 vcc, s27, v15
	v_or_b32_e32 v14, 0x1800, v20
	v_cndmask_b32_e32 v3, v3, v22, vcc
	v_cndmask_b32_e32 v2, v2, v21, vcc
	s_mov_b64 s[4:5], -1
	s_waitcnt vmcnt(1)
	ds_write2st64_b64 v20, v[4:5], v[16:17] offset1:4
	s_waitcnt vmcnt(0)
	ds_write_b64 v20, v[18:19] offset:4096
	s_cbranch_execz .LBB8_26
	s_branch .LBB8_47
.LBB8_25:
	s_mov_b64 s[4:5], 0
                                        ; implicit-def: $vgpr14
                                        ; implicit-def: $vgpr2_vgpr3
.LBB8_26:
	s_mov_b64 s[6:7], 0
                                        ; implicit-def: $vgpr2_vgpr3
	s_and_saveexec_b64 s[8:9], s[2:3]
	s_xor_b64 s[2:3], exec, s[8:9]
	s_cbranch_execz .LBB8_51
; %bb.27:
	v_subrev_u32_e32 v4, s27, v0
	v_cmp_gt_u32_e32 vcc, s28, v4
                                        ; implicit-def: $vgpr2_vgpr3
	s_and_saveexec_b64 s[8:9], vcc
	s_xor_b64 s[8:9], exec, s[8:9]
; %bb.28:
	v_mov_b32_e32 v5, 0
	v_lshlrev_b64 v[2:3], 3, v[4:5]
	v_mov_b32_e32 v4, s30
	v_add_co_u32_e32 v2, vcc, s29, v2
	s_mov_b64 s[6:7], exec
	v_addc_co_u32_e32 v3, vcc, v4, v3, vcc
; %bb.29:
	s_or_b64 exec, exec, s[8:9]
	s_and_b64 s[6:7], s[6:7], exec
	s_andn2_saveexec_b64 s[2:3], s[2:3]
	s_cbranch_execnz .LBB8_52
.LBB8_30:
	s_or_b64 exec, exec, s[2:3]
	v_mad_u32_u24 v14, v0, 7, v0
	s_and_saveexec_b64 s[2:3], s[6:7]
	s_cbranch_execz .LBB8_32
.LBB8_31:
	global_load_dwordx2 v[2:3], v[2:3], off
	s_waitcnt vmcnt(0)
	ds_write_b64 v14, v[2:3]
.LBB8_32:
	s_or_b64 exec, exec, s[2:3]
	v_or_b32_e32 v2, 0x100, v0
	v_cmp_le_u32_e32 vcc, s27, v2
	s_mov_b64 s[6:7], -1
	v_pk_mov_b32 v[4:5], s[22:23], s[22:23] op_sel:[0,1]
	s_and_saveexec_b64 s[2:3], vcc
; %bb.33:
	v_subrev_u32_e32 v2, s27, v2
	v_cmp_gt_u32_e32 vcc, s28, v2
	v_pk_mov_b32 v[4:5], s[24:25], s[24:25] op_sel:[0,1]
	s_orn2_b64 s[6:7], vcc, exec
; %bb.34:
	s_or_b64 exec, exec, s[2:3]
	s_and_saveexec_b64 s[2:3], s[6:7]
	s_cbranch_execz .LBB8_36
; %bb.35:
	v_lshlrev_b64 v[4:5], 3, v[4:5]
	v_mov_b32_e32 v3, s13
	v_add_co_u32_e32 v4, vcc, s12, v4
	v_addc_co_u32_e32 v5, vcc, v3, v5, vcc
	v_mov_b32_e32 v3, 0
	v_lshlrev_b64 v[2:3], 3, v[2:3]
	v_add_co_u32_e32 v2, vcc, v4, v2
	v_addc_co_u32_e32 v3, vcc, v5, v3, vcc
	global_load_dwordx2 v[2:3], v[2:3], off
	s_waitcnt vmcnt(0)
	ds_write_b64 v14, v[2:3] offset:2048
.LBB8_36:
	s_or_b64 exec, exec, s[2:3]
	v_or_b32_e32 v2, 0x200, v0
	v_cmp_le_u32_e32 vcc, s27, v2
	s_mov_b64 s[6:7], -1
	v_pk_mov_b32 v[4:5], s[22:23], s[22:23] op_sel:[0,1]
	s_and_saveexec_b64 s[2:3], vcc
; %bb.37:
	v_subrev_u32_e32 v2, s27, v2
	v_cmp_gt_u32_e32 vcc, s28, v2
	v_pk_mov_b32 v[4:5], s[24:25], s[24:25] op_sel:[0,1]
	s_orn2_b64 s[6:7], vcc, exec
; %bb.38:
	s_or_b64 exec, exec, s[2:3]
	s_and_saveexec_b64 s[2:3], s[6:7]
	s_cbranch_execz .LBB8_40
; %bb.39:
	v_lshlrev_b64 v[4:5], 3, v[4:5]
	v_mov_b32_e32 v3, s13
	v_add_co_u32_e32 v4, vcc, s12, v4
	v_addc_co_u32_e32 v5, vcc, v3, v5, vcc
	v_mov_b32_e32 v3, 0
	v_lshlrev_b64 v[2:3], 3, v[2:3]
	v_add_co_u32_e32 v2, vcc, v4, v2
	v_addc_co_u32_e32 v3, vcc, v5, v3, vcc
	global_load_dwordx2 v[2:3], v[2:3], off
	s_waitcnt vmcnt(0)
	ds_write_b64 v14, v[2:3] offset:4096
.LBB8_40:
	s_or_b64 exec, exec, s[2:3]
	v_or_b32_e32 v4, 0x300, v0
	v_cmp_le_u32_e32 vcc, s27, v4
                                        ; implicit-def: $vgpr14
                                        ; implicit-def: $vgpr2_vgpr3
	s_and_saveexec_b64 s[2:3], vcc
	s_xor_b64 s[2:3], exec, s[2:3]
	s_cbranch_execz .LBB8_44
; %bb.41:
	v_subrev_u32_e32 v4, s27, v4
	v_cmp_gt_u32_e32 vcc, s28, v4
	s_mov_b64 s[8:9], s[4:5]
                                        ; implicit-def: $vgpr14
                                        ; implicit-def: $vgpr2_vgpr3
	s_and_saveexec_b64 s[6:7], vcc
; %bb.42:
	v_mul_u32_u24_e32 v2, 7, v0
	s_movk_i32 s8, 0x1800
	v_mov_b32_e32 v5, 0
	v_add3_u32 v14, v0, v2, s8
	v_lshlrev_b64 v[2:3], 3, v[4:5]
	v_mov_b32_e32 v4, s30
	v_add_co_u32_e32 v2, vcc, s29, v2
	v_addc_co_u32_e32 v3, vcc, v4, v3, vcc
	s_or_b64 s[8:9], s[4:5], exec
; %bb.43:
	s_or_b64 exec, exec, s[6:7]
	s_andn2_b64 s[4:5], s[4:5], exec
	s_and_b64 s[6:7], s[8:9], exec
	s_or_b64 s[4:5], s[4:5], s[6:7]
                                        ; implicit-def: $vgpr4
.LBB8_44:
	s_andn2_saveexec_b64 s[2:3], s[2:3]
; %bb.45:
	v_lshlrev_b32_e32 v2, 3, v4
	v_mov_b32_e32 v3, s26
	v_add_co_u32_e32 v2, vcc, s19, v2
	v_mul_u32_u24_e32 v4, 7, v0
	s_movk_i32 s6, 0x1800
	v_addc_co_u32_e32 v3, vcc, 0, v3, vcc
	v_add3_u32 v14, v0, v4, s6
	s_or_b64 s[4:5], s[4:5], exec
; %bb.46:
	s_or_b64 exec, exec, s[2:3]
.LBB8_47:
	s_and_saveexec_b64 s[2:3], s[4:5]
	s_cbranch_execz .LBB8_49
; %bb.48:
	global_load_dwordx2 v[2:3], v[2:3], off
	s_waitcnt vmcnt(0)
	ds_write_b64 v14, v[2:3]
.LBB8_49:
	s_or_b64 exec, exec, s[2:3]
	s_and_b64 vcc, exec, s[0:1]
	v_add_u32_e32 v2, s18, v8
	s_waitcnt lgkmcnt(0)
	s_barrier
	s_cbranch_vccnz .LBB8_53
; %bb.50:
	v_lshlrev_b32_e32 v14, 3, v13
	v_lshlrev_b32_e32 v16, 3, v12
	;; [unrolled: 1-line block ×3, first 2 shown]
	ds_read_b64 v[14:15], v14
	ds_read_b64 v[16:17], v16
	ds_read_b64 v[18:19], v18
	v_mov_b32_e32 v3, 0
	v_lshlrev_b64 v[4:5], 3, v[2:3]
	v_mov_b32_e32 v20, s15
	v_add_co_u32_e32 v4, vcc, s14, v4
	v_addc_co_u32_e32 v5, vcc, v20, v5, vcc
	s_mov_b64 s[0:1], -1
	s_waitcnt lgkmcnt(1)
	global_store_dwordx4 v[4:5], v[14:17], off
	s_waitcnt lgkmcnt(0)
	global_store_dwordx2 v[4:5], v[18:19], off offset:16
	s_cbranch_execz .LBB8_54
	s_branch .LBB8_63
.LBB8_51:
	s_andn2_saveexec_b64 s[2:3], s[2:3]
	s_cbranch_execz .LBB8_30
.LBB8_52:
	v_lshlrev_b32_e32 v2, 3, v0
	v_mov_b32_e32 v3, s26
	v_add_co_u32_e32 v2, vcc, s19, v2
	v_addc_co_u32_e32 v3, vcc, 0, v3, vcc
	s_or_b64 s[6:7], s[6:7], exec
	s_or_b64 exec, exec, s[2:3]
	v_mad_u32_u24 v14, v0, 7, v0
	s_and_saveexec_b64 s[2:3], s[6:7]
	s_cbranch_execnz .LBB8_31
	s_branch .LBB8_32
.LBB8_53:
	s_mov_b64 s[0:1], 0
.LBB8_54:
	v_cmp_gt_u32_e32 vcc, s17, v8
	s_and_saveexec_b64 s[2:3], vcc
	s_cbranch_execz .LBB8_56
; %bb.55:
	v_lshlrev_b32_e32 v13, 3, v13
	ds_read_b64 v[14:15], v13
	v_mov_b32_e32 v3, 0
	v_lshlrev_b64 v[4:5], 3, v[2:3]
	v_mov_b32_e32 v3, s15
	v_add_co_u32_e32 v4, vcc, s14, v4
	v_addc_co_u32_e32 v5, vcc, v3, v5, vcc
	s_waitcnt lgkmcnt(0)
	global_store_dwordx2 v[4:5], v[14:15], off
.LBB8_56:
	s_or_b64 exec, exec, s[2:3]
	v_or_b32_e32 v3, 1, v8
	v_cmp_gt_u32_e32 vcc, s17, v3
	s_and_saveexec_b64 s[2:3], vcc
	s_cbranch_execz .LBB8_58
; %bb.57:
	v_lshlrev_b32_e32 v12, 3, v12
	ds_read_b64 v[12:13], v12
	v_mov_b32_e32 v3, 0
	v_lshlrev_b64 v[4:5], 3, v[2:3]
	v_mov_b32_e32 v3, s15
	v_add_co_u32_e32 v4, vcc, s14, v4
	v_addc_co_u32_e32 v5, vcc, v3, v5, vcc
	s_waitcnt lgkmcnt(0)
	global_store_dwordx2 v[4:5], v[12:13], off offset:8
.LBB8_58:
	s_or_b64 exec, exec, s[2:3]
	v_or_b32_e32 v3, 2, v8
	v_cmp_gt_u32_e32 vcc, s17, v3
	s_and_saveexec_b64 s[2:3], vcc
	s_cbranch_execz .LBB8_60
; %bb.59:
	v_lshlrev_b32_e32 v11, 3, v11
	ds_read_b64 v[12:13], v11
	v_mov_b32_e32 v3, 0
	v_lshlrev_b64 v[4:5], 3, v[2:3]
	v_mov_b32_e32 v3, s15
	v_add_co_u32_e32 v4, vcc, s14, v4
	v_addc_co_u32_e32 v5, vcc, v3, v5, vcc
	s_waitcnt lgkmcnt(0)
	global_store_dwordx2 v[4:5], v[12:13], off offset:16
.LBB8_60:
	s_or_b64 exec, exec, s[2:3]
	v_or_b32_e32 v3, 3, v8
	v_cmp_gt_u32_e32 vcc, s17, v3
	s_and_saveexec_b64 s[2:3], vcc
; %bb.61:
	v_mov_b32_e32 v3, 0
	s_or_b64 s[0:1], s[0:1], exec
; %bb.62:
	s_or_b64 exec, exec, s[2:3]
.LBB8_63:
	s_and_saveexec_b64 s[2:3], s[0:1]
	s_cbranch_execz .LBB8_65
; %bb.64:
	v_lshlrev_b32_e32 v4, 3, v10
	ds_read_b64 v[4:5], v4
	v_lshlrev_b64 v[2:3], 3, v[2:3]
	v_mov_b32_e32 v11, s15
	v_add_co_u32_e32 v2, vcc, s14, v2
	v_addc_co_u32_e32 v3, vcc, v11, v3, vcc
	s_waitcnt lgkmcnt(0)
	global_store_dwordx2 v[2:3], v[4:5], off offset:24
.LBB8_65:
	s_or_b64 exec, exec, s[2:3]
	v_lshlrev_b16_e32 v3, 8, v6
	v_lshrrev_b32_e32 v2, 3, v0
	v_or_b32_sdwa v1, v1, v3 dst_sel:DWORD dst_unused:UNUSED_PAD src0_sel:BYTE_0 src1_sel:DWORD
	v_lshlrev_b16_e32 v3, 8, v9
	v_and_b32_e32 v2, 28, v2
	v_or_b32_sdwa v3, v7, v3 dst_sel:WORD_1 dst_unused:UNUSED_PAD src0_sel:BYTE_0 src1_sel:DWORD
	v_add_u32_e32 v2, v2, v8
	v_or_b32_sdwa v1, v1, v3 dst_sel:DWORD dst_unused:UNUSED_PAD src0_sel:WORD_0 src1_sel:DWORD
	s_barrier
	s_barrier
	ds_write_b32 v2, v1
	v_lshrrev_b32_e32 v1, 5, v0
	v_or_b32_e32 v5, 0x100, v0
	v_and_b32_e32 v6, 4, v1
	v_lshrrev_b32_e32 v1, 5, v5
	v_or_b32_e32 v4, 0x200, v0
	v_and_b32_e32 v7, 12, v1
	v_lshrrev_b32_e32 v1, 5, v4
	s_add_u32 s0, s10, s18
	v_and_b32_e32 v9, 20, v1
	v_or_b32_e32 v1, 0x300, v0
	s_addc_u32 s1, s11, 0
	v_lshrrev_b32_e32 v2, 5, v1
	v_and_b32_e32 v10, 28, v2
	v_mov_b32_e32 v3, s1
	v_add_co_u32_e32 v2, vcc, s0, v0
	v_addc_co_u32_e32 v3, vcc, 0, v3, vcc
	s_and_b64 vcc, exec, s[20:21]
	v_add_u32_e32 v8, v0, v7
	v_add_u32_e32 v9, v0, v9
	;; [unrolled: 1-line block ×3, first 2 shown]
	s_waitcnt lgkmcnt(0)
	s_cbranch_vccz .LBB8_67
; %bb.66:
	v_add_u32_e32 v7, v0, v6
	s_barrier
	ds_read_u8 v11, v7
	ds_read_u8 v12, v8 offset:256
	ds_read_u8 v13, v9 offset:512
	;; [unrolled: 1-line block ×3, first 2 shown]
	s_waitcnt lgkmcnt(3)
	global_store_byte v[2:3], v11, off
	s_waitcnt lgkmcnt(2)
	global_store_byte v[2:3], v12, off offset:256
	s_waitcnt lgkmcnt(1)
	global_store_byte v[2:3], v13, off offset:512
	s_mov_b64 s[0:1], -1
	s_cbranch_execz .LBB8_68
	s_branch .LBB8_73
.LBB8_67:
	s_mov_b64 s[0:1], 0
                                        ; implicit-def: $vgpr7
.LBB8_68:
	s_barrier
	s_waitcnt lgkmcnt(0)
	ds_read_u8 v11, v8 offset:256
	ds_read_u8 v8, v9 offset:512
	;; [unrolled: 1-line block ×3, first 2 shown]
	s_sub_i32 s2, s16, s18
	v_cmp_gt_u32_e32 vcc, s2, v0
	s_and_saveexec_b64 s[0:1], vcc
	s_cbranch_execz .LBB8_76
; %bb.69:
	v_add_u32_e32 v0, v0, v6
	ds_read_u8 v0, v0
	s_waitcnt lgkmcnt(0)
	global_store_byte v[2:3], v0, off
	s_or_b64 exec, exec, s[0:1]
	v_cmp_gt_u32_e32 vcc, s2, v5
	s_and_saveexec_b64 s[0:1], vcc
	s_cbranch_execnz .LBB8_77
.LBB8_70:
	s_or_b64 exec, exec, s[0:1]
	v_cmp_gt_u32_e32 vcc, s2, v4
	s_and_saveexec_b64 s[0:1], vcc
	s_cbranch_execz .LBB8_72
.LBB8_71:
	s_waitcnt lgkmcnt(1)
	global_store_byte v[2:3], v8, off offset:512
.LBB8_72:
	s_or_b64 exec, exec, s[0:1]
	v_cmp_gt_u32_e64 s[0:1], s2, v1
.LBB8_73:
	s_and_saveexec_b64 s[2:3], s[0:1]
	s_cbranch_execz .LBB8_75
; %bb.74:
	s_waitcnt lgkmcnt(0)
	global_store_byte v[2:3], v7, off offset:768
.LBB8_75:
	s_endpgm
.LBB8_76:
	s_or_b64 exec, exec, s[0:1]
	v_cmp_gt_u32_e32 vcc, s2, v5
	s_and_saveexec_b64 s[0:1], vcc
	s_cbranch_execz .LBB8_70
.LBB8_77:
	s_waitcnt lgkmcnt(2)
	global_store_byte v[2:3], v11, off offset:256
	s_or_b64 exec, exec, s[0:1]
	v_cmp_gt_u32_e32 vcc, s2, v4
	s_and_saveexec_b64 s[0:1], vcc
	s_cbranch_execnz .LBB8_71
	s_branch .LBB8_72
	.section	.rodata,"a",@progbits
	.p2align	6, 0x0
	.amdhsa_kernel _ZN7rocprim17ROCPRIM_304000_NS6detail35device_block_merge_mergepath_kernelINS1_37wrapped_merge_sort_block_merge_configINS0_14default_configEhN2at4cuda3cub6detail10OpaqueTypeILi8EEEEEPhSC_PSA_SD_jNS1_19radix_merge_compareILb1ELb1EhNS0_19identity_decomposerEEEEEvT0_T1_T2_T3_T4_SL_jT5_PKSL_NS1_7vsmem_tE
		.amdhsa_group_segment_fixed_size 8208
		.amdhsa_private_segment_fixed_size 0
		.amdhsa_kernarg_size 320
		.amdhsa_user_sgpr_count 6
		.amdhsa_user_sgpr_private_segment_buffer 1
		.amdhsa_user_sgpr_dispatch_ptr 0
		.amdhsa_user_sgpr_queue_ptr 0
		.amdhsa_user_sgpr_kernarg_segment_ptr 1
		.amdhsa_user_sgpr_dispatch_id 0
		.amdhsa_user_sgpr_flat_scratch_init 0
		.amdhsa_user_sgpr_kernarg_preload_length 0
		.amdhsa_user_sgpr_kernarg_preload_offset 0
		.amdhsa_user_sgpr_private_segment_size 0
		.amdhsa_uses_dynamic_stack 0
		.amdhsa_system_sgpr_private_segment_wavefront_offset 0
		.amdhsa_system_sgpr_workgroup_id_x 1
		.amdhsa_system_sgpr_workgroup_id_y 1
		.amdhsa_system_sgpr_workgroup_id_z 1
		.amdhsa_system_sgpr_workgroup_info 0
		.amdhsa_system_vgpr_workitem_id 0
		.amdhsa_next_free_vgpr 24
		.amdhsa_next_free_sgpr 31
		.amdhsa_accum_offset 24
		.amdhsa_reserve_vcc 1
		.amdhsa_reserve_flat_scratch 0
		.amdhsa_float_round_mode_32 0
		.amdhsa_float_round_mode_16_64 0
		.amdhsa_float_denorm_mode_32 3
		.amdhsa_float_denorm_mode_16_64 3
		.amdhsa_dx10_clamp 1
		.amdhsa_ieee_mode 1
		.amdhsa_fp16_overflow 0
		.amdhsa_tg_split 0
		.amdhsa_exception_fp_ieee_invalid_op 0
		.amdhsa_exception_fp_denorm_src 0
		.amdhsa_exception_fp_ieee_div_zero 0
		.amdhsa_exception_fp_ieee_overflow 0
		.amdhsa_exception_fp_ieee_underflow 0
		.amdhsa_exception_fp_ieee_inexact 0
		.amdhsa_exception_int_div_zero 0
	.end_amdhsa_kernel
	.section	.text._ZN7rocprim17ROCPRIM_304000_NS6detail35device_block_merge_mergepath_kernelINS1_37wrapped_merge_sort_block_merge_configINS0_14default_configEhN2at4cuda3cub6detail10OpaqueTypeILi8EEEEEPhSC_PSA_SD_jNS1_19radix_merge_compareILb1ELb1EhNS0_19identity_decomposerEEEEEvT0_T1_T2_T3_T4_SL_jT5_PKSL_NS1_7vsmem_tE,"axG",@progbits,_ZN7rocprim17ROCPRIM_304000_NS6detail35device_block_merge_mergepath_kernelINS1_37wrapped_merge_sort_block_merge_configINS0_14default_configEhN2at4cuda3cub6detail10OpaqueTypeILi8EEEEEPhSC_PSA_SD_jNS1_19radix_merge_compareILb1ELb1EhNS0_19identity_decomposerEEEEEvT0_T1_T2_T3_T4_SL_jT5_PKSL_NS1_7vsmem_tE,comdat
.Lfunc_end8:
	.size	_ZN7rocprim17ROCPRIM_304000_NS6detail35device_block_merge_mergepath_kernelINS1_37wrapped_merge_sort_block_merge_configINS0_14default_configEhN2at4cuda3cub6detail10OpaqueTypeILi8EEEEEPhSC_PSA_SD_jNS1_19radix_merge_compareILb1ELb1EhNS0_19identity_decomposerEEEEEvT0_T1_T2_T3_T4_SL_jT5_PKSL_NS1_7vsmem_tE, .Lfunc_end8-_ZN7rocprim17ROCPRIM_304000_NS6detail35device_block_merge_mergepath_kernelINS1_37wrapped_merge_sort_block_merge_configINS0_14default_configEhN2at4cuda3cub6detail10OpaqueTypeILi8EEEEEPhSC_PSA_SD_jNS1_19radix_merge_compareILb1ELb1EhNS0_19identity_decomposerEEEEEvT0_T1_T2_T3_T4_SL_jT5_PKSL_NS1_7vsmem_tE
                                        ; -- End function
	.section	.AMDGPU.csdata,"",@progbits
; Kernel info:
; codeLenInByte = 3300
; NumSgprs: 35
; NumVgprs: 24
; NumAgprs: 0
; TotalNumVgprs: 24
; ScratchSize: 0
; MemoryBound: 1
; FloatMode: 240
; IeeeMode: 1
; LDSByteSize: 8208 bytes/workgroup (compile time only)
; SGPRBlocks: 4
; VGPRBlocks: 2
; NumSGPRsForWavesPerEU: 35
; NumVGPRsForWavesPerEU: 24
; AccumOffset: 24
; Occupancy: 7
; WaveLimiterHint : 1
; COMPUTE_PGM_RSRC2:SCRATCH_EN: 0
; COMPUTE_PGM_RSRC2:USER_SGPR: 6
; COMPUTE_PGM_RSRC2:TRAP_HANDLER: 0
; COMPUTE_PGM_RSRC2:TGID_X_EN: 1
; COMPUTE_PGM_RSRC2:TGID_Y_EN: 1
; COMPUTE_PGM_RSRC2:TGID_Z_EN: 1
; COMPUTE_PGM_RSRC2:TIDIG_COMP_CNT: 0
; COMPUTE_PGM_RSRC3_GFX90A:ACCUM_OFFSET: 5
; COMPUTE_PGM_RSRC3_GFX90A:TG_SPLIT: 0
	.section	.text._ZN7rocprim17ROCPRIM_304000_NS6detail33device_block_merge_oddeven_kernelINS1_37wrapped_merge_sort_block_merge_configINS0_14default_configEhN2at4cuda3cub6detail10OpaqueTypeILi8EEEEEPhSC_PSA_SD_jNS1_19radix_merge_compareILb1ELb1EhNS0_19identity_decomposerEEEEEvT0_T1_T2_T3_T4_SL_T5_,"axG",@progbits,_ZN7rocprim17ROCPRIM_304000_NS6detail33device_block_merge_oddeven_kernelINS1_37wrapped_merge_sort_block_merge_configINS0_14default_configEhN2at4cuda3cub6detail10OpaqueTypeILi8EEEEEPhSC_PSA_SD_jNS1_19radix_merge_compareILb1ELb1EhNS0_19identity_decomposerEEEEEvT0_T1_T2_T3_T4_SL_T5_,comdat
	.protected	_ZN7rocprim17ROCPRIM_304000_NS6detail33device_block_merge_oddeven_kernelINS1_37wrapped_merge_sort_block_merge_configINS0_14default_configEhN2at4cuda3cub6detail10OpaqueTypeILi8EEEEEPhSC_PSA_SD_jNS1_19radix_merge_compareILb1ELb1EhNS0_19identity_decomposerEEEEEvT0_T1_T2_T3_T4_SL_T5_ ; -- Begin function _ZN7rocprim17ROCPRIM_304000_NS6detail33device_block_merge_oddeven_kernelINS1_37wrapped_merge_sort_block_merge_configINS0_14default_configEhN2at4cuda3cub6detail10OpaqueTypeILi8EEEEEPhSC_PSA_SD_jNS1_19radix_merge_compareILb1ELb1EhNS0_19identity_decomposerEEEEEvT0_T1_T2_T3_T4_SL_T5_
	.globl	_ZN7rocprim17ROCPRIM_304000_NS6detail33device_block_merge_oddeven_kernelINS1_37wrapped_merge_sort_block_merge_configINS0_14default_configEhN2at4cuda3cub6detail10OpaqueTypeILi8EEEEEPhSC_PSA_SD_jNS1_19radix_merge_compareILb1ELb1EhNS0_19identity_decomposerEEEEEvT0_T1_T2_T3_T4_SL_T5_
	.p2align	8
	.type	_ZN7rocprim17ROCPRIM_304000_NS6detail33device_block_merge_oddeven_kernelINS1_37wrapped_merge_sort_block_merge_configINS0_14default_configEhN2at4cuda3cub6detail10OpaqueTypeILi8EEEEEPhSC_PSA_SD_jNS1_19radix_merge_compareILb1ELb1EhNS0_19identity_decomposerEEEEEvT0_T1_T2_T3_T4_SL_T5_,@function
_ZN7rocprim17ROCPRIM_304000_NS6detail33device_block_merge_oddeven_kernelINS1_37wrapped_merge_sort_block_merge_configINS0_14default_configEhN2at4cuda3cub6detail10OpaqueTypeILi8EEEEEPhSC_PSA_SD_jNS1_19radix_merge_compareILb1ELb1EhNS0_19identity_decomposerEEEEEvT0_T1_T2_T3_T4_SL_T5_: ; @_ZN7rocprim17ROCPRIM_304000_NS6detail33device_block_merge_oddeven_kernelINS1_37wrapped_merge_sort_block_merge_configINS0_14default_configEhN2at4cuda3cub6detail10OpaqueTypeILi8EEEEEPhSC_PSA_SD_jNS1_19radix_merge_compareILb1ELb1EhNS0_19identity_decomposerEEEEEvT0_T1_T2_T3_T4_SL_T5_
; %bb.0:
	s_load_dwordx4 s[16:19], s[4:5], 0x20
	s_waitcnt lgkmcnt(0)
	s_lshr_b32 s2, s16, 8
	s_cmp_lg_u32 s6, s2
	s_cselect_b64 s[0:1], -1, 0
	s_cmp_eq_u32 s6, s2
	s_cselect_b64 s[20:21], -1, 0
	s_lshl_b32 s22, s6, 8
	s_sub_i32 s2, s16, s22
	v_cmp_gt_u32_e64 s[2:3], s2, v0
	s_or_b64 s[0:1], s[0:1], s[2:3]
	s_and_saveexec_b64 s[8:9], s[0:1]
	s_cbranch_execz .LBB9_26
; %bb.1:
	s_load_dwordx8 s[8:15], s[4:5], 0x0
	s_mov_b32 s23, 0
	v_lshlrev_b32_e32 v1, 3, v0
	v_add_u32_e32 v4, s22, v0
	s_waitcnt lgkmcnt(0)
	s_add_u32 s0, s8, s22
	s_addc_u32 s1, s9, 0
	s_lshl_b64 s[4:5], s[22:23], 3
	s_add_u32 s4, s12, s4
	s_addc_u32 s5, s13, s5
	global_load_dwordx2 v[2:3], v1, s[4:5]
	global_load_ubyte v6, v0, s[0:1]
	s_lshr_b32 s0, s17, 8
	s_sub_i32 s1, 0, s0
	s_and_b32 s1, s6, s1
	s_and_b32 s0, s1, s0
	s_lshl_b32 s23, s1, 8
	s_sub_i32 s6, 0, s17
	s_cmp_eq_u32 s0, 0
	s_cselect_b64 s[0:1], -1, 0
	s_and_b64 s[4:5], s[0:1], exec
	s_cselect_b32 s19, s17, s6
	s_add_i32 s19, s19, s23
	s_cmp_lt_u32 s19, s16
	s_cbranch_scc1 .LBB9_6
; %bb.2:
	s_and_b64 vcc, exec, s[20:21]
	s_cbranch_vccz .LBB9_7
; %bb.3:
	v_cmp_gt_u32_e32 vcc, s16, v4
	s_mov_b64 s[6:7], 0
	s_mov_b64 s[4:5], 0
                                        ; implicit-def: $vgpr0_vgpr1
	s_and_saveexec_b64 s[12:13], vcc
	s_cbranch_execz .LBB9_5
; %bb.4:
	v_mov_b32_e32 v5, 0
	v_lshlrev_b64 v[0:1], 3, v[4:5]
	v_mov_b32_e32 v5, s15
	v_add_co_u32_e32 v0, vcc, s14, v0
	s_mov_b64 s[4:5], exec
	v_addc_co_u32_e32 v1, vcc, v5, v1, vcc
	s_waitcnt vmcnt(0)
	global_store_byte v4, v6, s[10:11]
.LBB9_5:
	s_or_b64 exec, exec, s[12:13]
	s_and_b64 vcc, exec, s[6:7]
	s_cbranch_vccnz .LBB9_8
	s_branch .LBB9_9
.LBB9_6:
	s_mov_b64 s[4:5], 0
                                        ; implicit-def: $vgpr0_vgpr1
	s_cbranch_execnz .LBB9_10
	s_branch .LBB9_24
.LBB9_7:
	s_mov_b64 s[4:5], 0
                                        ; implicit-def: $vgpr0_vgpr1
	s_cbranch_execz .LBB9_9
.LBB9_8:
	v_mov_b32_e32 v5, 0
	v_lshlrev_b64 v[0:1], 3, v[4:5]
	v_mov_b32_e32 v5, s15
	v_add_co_u32_e32 v0, vcc, s14, v0
	v_addc_co_u32_e32 v1, vcc, v5, v1, vcc
	s_or_b64 s[4:5], s[4:5], exec
	s_waitcnt vmcnt(0)
	global_store_byte v4, v6, s[10:11]
.LBB9_9:
	s_branch .LBB9_24
.LBB9_10:
	s_min_u32 s12, s19, s16
	s_add_i32 s6, s12, s17
	s_min_u32 s13, s6, s16
	s_min_u32 s6, s23, s12
	s_add_i32 s23, s23, s12
	v_subrev_u32_e32 v0, s23, v4
	v_add_u32_e32 v4, s6, v0
	s_and_b64 vcc, exec, s[20:21]
	s_cbranch_vccz .LBB9_18
; %bb.11:
                                        ; implicit-def: $vgpr0_vgpr1
	s_and_saveexec_b64 s[6:7], s[2:3]
	s_cbranch_execz .LBB9_17
; %bb.12:
	s_cmp_ge_u32 s19, s13
	v_mov_b32_e32 v0, s12
	s_cbranch_scc1 .LBB9_16
; %bb.13:
	s_waitcnt vmcnt(0)
	v_and_b32_e32 v1, s18, v6
	s_mov_b64 s[2:3], 0
	v_mov_b32_e32 v5, s13
	v_mov_b32_e32 v0, s12
.LBB9_14:                               ; =>This Inner Loop Header: Depth=1
	v_add_u32_e32 v7, v0, v5
	v_lshrrev_b32_e32 v7, 1, v7
	global_load_ubyte v8, v7, s[8:9]
	v_add_u32_e32 v9, 1, v7
	s_waitcnt vmcnt(0)
	v_and_b32_sdwa v8, v8, s18 dst_sel:DWORD dst_unused:UNUSED_PAD src0_sel:DWORD src1_sel:BYTE_0
	v_cmp_gt_u16_sdwa s[16:17], v8, v1 src0_sel:DWORD src1_sel:BYTE_0
	v_cndmask_b32_e64 v10, 0, 1, s[16:17]
	v_cmp_le_u16_sdwa s[16:17], v1, v8 src0_sel:BYTE_0 src1_sel:DWORD
	v_cndmask_b32_e64 v8, 0, 1, s[16:17]
	v_cndmask_b32_e64 v8, v8, v10, s[0:1]
	v_and_b32_e32 v8, 1, v8
	v_cmp_eq_u32_e32 vcc, 1, v8
	v_cndmask_b32_e32 v5, v7, v5, vcc
	v_cndmask_b32_e32 v0, v0, v9, vcc
	v_cmp_ge_u32_e32 vcc, v0, v5
	s_or_b64 s[2:3], vcc, s[2:3]
	s_andn2_b64 exec, exec, s[2:3]
	s_cbranch_execnz .LBB9_14
; %bb.15:
	s_or_b64 exec, exec, s[2:3]
.LBB9_16:
	v_add_u32_e32 v0, v0, v4
	v_mov_b32_e32 v1, 0
	s_waitcnt vmcnt(0)
	global_store_byte v0, v6, s[10:11]
	v_lshlrev_b64 v[0:1], 3, v[0:1]
	v_mov_b32_e32 v5, s15
	v_add_co_u32_e32 v0, vcc, s14, v0
	v_addc_co_u32_e32 v1, vcc, v5, v1, vcc
	s_or_b64 s[4:5], s[4:5], exec
.LBB9_17:
	s_or_b64 exec, exec, s[6:7]
	s_branch .LBB9_24
.LBB9_18:
                                        ; implicit-def: $vgpr0_vgpr1
	s_cbranch_execz .LBB9_24
; %bb.19:
	s_cmp_ge_u32 s19, s13
	v_mov_b32_e32 v0, s12
	s_cbranch_scc1 .LBB9_23
; %bb.20:
	s_waitcnt vmcnt(0)
	v_and_b32_e32 v1, s18, v6
	s_mov_b64 s[2:3], 0
	v_mov_b32_e32 v5, s13
	v_mov_b32_e32 v0, s12
.LBB9_21:                               ; =>This Inner Loop Header: Depth=1
	v_add_u32_e32 v7, v0, v5
	v_lshrrev_b32_e32 v7, 1, v7
	global_load_ubyte v8, v7, s[8:9]
	v_add_u32_e32 v9, 1, v7
	s_waitcnt vmcnt(0)
	v_and_b32_sdwa v8, v8, s18 dst_sel:DWORD dst_unused:UNUSED_PAD src0_sel:DWORD src1_sel:BYTE_0
	v_cmp_gt_u16_sdwa s[4:5], v8, v1 src0_sel:DWORD src1_sel:BYTE_0
	v_cndmask_b32_e64 v10, 0, 1, s[4:5]
	v_cmp_le_u16_sdwa s[4:5], v1, v8 src0_sel:BYTE_0 src1_sel:DWORD
	v_cndmask_b32_e64 v8, 0, 1, s[4:5]
	v_cndmask_b32_e64 v8, v8, v10, s[0:1]
	v_and_b32_e32 v8, 1, v8
	v_cmp_eq_u32_e32 vcc, 1, v8
	v_cndmask_b32_e32 v5, v7, v5, vcc
	v_cndmask_b32_e32 v0, v0, v9, vcc
	v_cmp_ge_u32_e32 vcc, v0, v5
	s_or_b64 s[2:3], vcc, s[2:3]
	s_andn2_b64 exec, exec, s[2:3]
	s_cbranch_execnz .LBB9_21
; %bb.22:
	s_or_b64 exec, exec, s[2:3]
.LBB9_23:
	v_add_u32_e32 v0, v0, v4
	v_mov_b32_e32 v1, 0
	s_waitcnt vmcnt(0)
	global_store_byte v0, v6, s[10:11]
	v_lshlrev_b64 v[0:1], 3, v[0:1]
	v_mov_b32_e32 v4, s15
	v_add_co_u32_e32 v0, vcc, s14, v0
	v_addc_co_u32_e32 v1, vcc, v4, v1, vcc
	s_mov_b64 s[4:5], -1
.LBB9_24:
	s_and_b64 exec, exec, s[4:5]
	s_cbranch_execz .LBB9_26
; %bb.25:
	s_waitcnt vmcnt(1)
	global_store_dwordx2 v[0:1], v[2:3], off
.LBB9_26:
	s_endpgm
	.section	.rodata,"a",@progbits
	.p2align	6, 0x0
	.amdhsa_kernel _ZN7rocprim17ROCPRIM_304000_NS6detail33device_block_merge_oddeven_kernelINS1_37wrapped_merge_sort_block_merge_configINS0_14default_configEhN2at4cuda3cub6detail10OpaqueTypeILi8EEEEEPhSC_PSA_SD_jNS1_19radix_merge_compareILb1ELb1EhNS0_19identity_decomposerEEEEEvT0_T1_T2_T3_T4_SL_T5_
		.amdhsa_group_segment_fixed_size 0
		.amdhsa_private_segment_fixed_size 0
		.amdhsa_kernarg_size 44
		.amdhsa_user_sgpr_count 6
		.amdhsa_user_sgpr_private_segment_buffer 1
		.amdhsa_user_sgpr_dispatch_ptr 0
		.amdhsa_user_sgpr_queue_ptr 0
		.amdhsa_user_sgpr_kernarg_segment_ptr 1
		.amdhsa_user_sgpr_dispatch_id 0
		.amdhsa_user_sgpr_flat_scratch_init 0
		.amdhsa_user_sgpr_kernarg_preload_length 0
		.amdhsa_user_sgpr_kernarg_preload_offset 0
		.amdhsa_user_sgpr_private_segment_size 0
		.amdhsa_uses_dynamic_stack 0
		.amdhsa_system_sgpr_private_segment_wavefront_offset 0
		.amdhsa_system_sgpr_workgroup_id_x 1
		.amdhsa_system_sgpr_workgroup_id_y 0
		.amdhsa_system_sgpr_workgroup_id_z 0
		.amdhsa_system_sgpr_workgroup_info 0
		.amdhsa_system_vgpr_workitem_id 0
		.amdhsa_next_free_vgpr 11
		.amdhsa_next_free_sgpr 24
		.amdhsa_accum_offset 12
		.amdhsa_reserve_vcc 1
		.amdhsa_reserve_flat_scratch 0
		.amdhsa_float_round_mode_32 0
		.amdhsa_float_round_mode_16_64 0
		.amdhsa_float_denorm_mode_32 3
		.amdhsa_float_denorm_mode_16_64 3
		.amdhsa_dx10_clamp 1
		.amdhsa_ieee_mode 1
		.amdhsa_fp16_overflow 0
		.amdhsa_tg_split 0
		.amdhsa_exception_fp_ieee_invalid_op 0
		.amdhsa_exception_fp_denorm_src 0
		.amdhsa_exception_fp_ieee_div_zero 0
		.amdhsa_exception_fp_ieee_overflow 0
		.amdhsa_exception_fp_ieee_underflow 0
		.amdhsa_exception_fp_ieee_inexact 0
		.amdhsa_exception_int_div_zero 0
	.end_amdhsa_kernel
	.section	.text._ZN7rocprim17ROCPRIM_304000_NS6detail33device_block_merge_oddeven_kernelINS1_37wrapped_merge_sort_block_merge_configINS0_14default_configEhN2at4cuda3cub6detail10OpaqueTypeILi8EEEEEPhSC_PSA_SD_jNS1_19radix_merge_compareILb1ELb1EhNS0_19identity_decomposerEEEEEvT0_T1_T2_T3_T4_SL_T5_,"axG",@progbits,_ZN7rocprim17ROCPRIM_304000_NS6detail33device_block_merge_oddeven_kernelINS1_37wrapped_merge_sort_block_merge_configINS0_14default_configEhN2at4cuda3cub6detail10OpaqueTypeILi8EEEEEPhSC_PSA_SD_jNS1_19radix_merge_compareILb1ELb1EhNS0_19identity_decomposerEEEEEvT0_T1_T2_T3_T4_SL_T5_,comdat
.Lfunc_end9:
	.size	_ZN7rocprim17ROCPRIM_304000_NS6detail33device_block_merge_oddeven_kernelINS1_37wrapped_merge_sort_block_merge_configINS0_14default_configEhN2at4cuda3cub6detail10OpaqueTypeILi8EEEEEPhSC_PSA_SD_jNS1_19radix_merge_compareILb1ELb1EhNS0_19identity_decomposerEEEEEvT0_T1_T2_T3_T4_SL_T5_, .Lfunc_end9-_ZN7rocprim17ROCPRIM_304000_NS6detail33device_block_merge_oddeven_kernelINS1_37wrapped_merge_sort_block_merge_configINS0_14default_configEhN2at4cuda3cub6detail10OpaqueTypeILi8EEEEEPhSC_PSA_SD_jNS1_19radix_merge_compareILb1ELb1EhNS0_19identity_decomposerEEEEEvT0_T1_T2_T3_T4_SL_T5_
                                        ; -- End function
	.section	.AMDGPU.csdata,"",@progbits
; Kernel info:
; codeLenInByte = 768
; NumSgprs: 28
; NumVgprs: 11
; NumAgprs: 0
; TotalNumVgprs: 11
; ScratchSize: 0
; MemoryBound: 0
; FloatMode: 240
; IeeeMode: 1
; LDSByteSize: 0 bytes/workgroup (compile time only)
; SGPRBlocks: 3
; VGPRBlocks: 1
; NumSGPRsForWavesPerEU: 28
; NumVGPRsForWavesPerEU: 11
; AccumOffset: 12
; Occupancy: 8
; WaveLimiterHint : 0
; COMPUTE_PGM_RSRC2:SCRATCH_EN: 0
; COMPUTE_PGM_RSRC2:USER_SGPR: 6
; COMPUTE_PGM_RSRC2:TRAP_HANDLER: 0
; COMPUTE_PGM_RSRC2:TGID_X_EN: 1
; COMPUTE_PGM_RSRC2:TGID_Y_EN: 0
; COMPUTE_PGM_RSRC2:TGID_Z_EN: 0
; COMPUTE_PGM_RSRC2:TIDIG_COMP_CNT: 0
; COMPUTE_PGM_RSRC3_GFX90A:ACCUM_OFFSET: 2
; COMPUTE_PGM_RSRC3_GFX90A:TG_SPLIT: 0
	.section	.text._ZN7rocprim17ROCPRIM_304000_NS6detail26onesweep_histograms_kernelINS1_34wrapped_radix_sort_onesweep_configINS0_14default_configEhN2at4cuda3cub6detail10OpaqueTypeILi8EEEEELb1EPKhmNS0_19identity_decomposerEEEvT1_PT2_SG_SG_T3_jj,"axG",@progbits,_ZN7rocprim17ROCPRIM_304000_NS6detail26onesweep_histograms_kernelINS1_34wrapped_radix_sort_onesweep_configINS0_14default_configEhN2at4cuda3cub6detail10OpaqueTypeILi8EEEEELb1EPKhmNS0_19identity_decomposerEEEvT1_PT2_SG_SG_T3_jj,comdat
	.protected	_ZN7rocprim17ROCPRIM_304000_NS6detail26onesweep_histograms_kernelINS1_34wrapped_radix_sort_onesweep_configINS0_14default_configEhN2at4cuda3cub6detail10OpaqueTypeILi8EEEEELb1EPKhmNS0_19identity_decomposerEEEvT1_PT2_SG_SG_T3_jj ; -- Begin function _ZN7rocprim17ROCPRIM_304000_NS6detail26onesweep_histograms_kernelINS1_34wrapped_radix_sort_onesweep_configINS0_14default_configEhN2at4cuda3cub6detail10OpaqueTypeILi8EEEEELb1EPKhmNS0_19identity_decomposerEEEvT1_PT2_SG_SG_T3_jj
	.globl	_ZN7rocprim17ROCPRIM_304000_NS6detail26onesweep_histograms_kernelINS1_34wrapped_radix_sort_onesweep_configINS0_14default_configEhN2at4cuda3cub6detail10OpaqueTypeILi8EEEEELb1EPKhmNS0_19identity_decomposerEEEvT1_PT2_SG_SG_T3_jj
	.p2align	8
	.type	_ZN7rocprim17ROCPRIM_304000_NS6detail26onesweep_histograms_kernelINS1_34wrapped_radix_sort_onesweep_configINS0_14default_configEhN2at4cuda3cub6detail10OpaqueTypeILi8EEEEELb1EPKhmNS0_19identity_decomposerEEEvT1_PT2_SG_SG_T3_jj,@function
_ZN7rocprim17ROCPRIM_304000_NS6detail26onesweep_histograms_kernelINS1_34wrapped_radix_sort_onesweep_configINS0_14default_configEhN2at4cuda3cub6detail10OpaqueTypeILi8EEEEELb1EPKhmNS0_19identity_decomposerEEEvT1_PT2_SG_SG_T3_jj: ; @_ZN7rocprim17ROCPRIM_304000_NS6detail26onesweep_histograms_kernelINS1_34wrapped_radix_sort_onesweep_configINS0_14default_configEhN2at4cuda3cub6detail10OpaqueTypeILi8EEEEELb1EPKhmNS0_19identity_decomposerEEEvT1_PT2_SG_SG_T3_jj
; %bb.0:
	s_load_dwordx8 s[8:15], s[4:5], 0x0
	s_load_dwordx2 s[16:17], s[4:5], 0x24
	s_mov_b32 s7, 0
	s_mul_i32 s1, s6, 0xc00
	s_mul_hi_u32 s0, s6, 0xc00
	s_waitcnt lgkmcnt(0)
	v_pk_mov_b32 v[2:3], s[14:15], s[14:15] op_sel:[0,1]
	v_cmp_ge_u64_e32 vcc, s[6:7], v[2:3]
	s_add_u32 s18, s8, s1
	s_addc_u32 s19, s9, s0
	s_mov_b64 s[0:1], -1
	s_cbranch_vccz .LBB10_50
; %bb.1:
	s_mulk_i32 s14, 0xf400
	s_add_i32 s14, s14, s12
	v_mov_b32_e32 v1, s19
	v_add_co_u32_e32 v2, vcc, s18, v0
	v_addc_co_u32_e32 v3, vcc, 0, v1, vcc
	v_cmp_gt_u32_e64 s[8:9], s14, v0
                                        ; implicit-def: $vgpr8
	s_and_saveexec_b64 s[0:1], s[8:9]
	s_cbranch_execz .LBB10_3
; %bb.2:
	global_load_ubyte v8, v[2:3], off
.LBB10_3:
	s_or_b64 exec, exec, s[0:1]
	v_or_b32_e32 v1, 0x200, v0
	v_cmp_gt_u32_e64 s[6:7], s14, v1
                                        ; implicit-def: $vgpr7
	s_and_saveexec_b64 s[0:1], s[6:7]
	s_cbranch_execz .LBB10_5
; %bb.4:
	global_load_ubyte v7, v[2:3], off offset:512
.LBB10_5:
	s_or_b64 exec, exec, s[0:1]
	v_or_b32_e32 v1, 0x400, v0
	v_cmp_gt_u32_e64 s[4:5], s14, v1
                                        ; implicit-def: $vgpr6
	s_and_saveexec_b64 s[0:1], s[4:5]
	s_cbranch_execz .LBB10_7
; %bb.6:
	global_load_ubyte v6, v[2:3], off offset:1024
.LBB10_7:
	s_or_b64 exec, exec, s[0:1]
	v_or_b32_e32 v1, 0x600, v0
	v_cmp_gt_u32_e64 s[2:3], s14, v1
                                        ; implicit-def: $vgpr5
	s_and_saveexec_b64 s[0:1], s[2:3]
	s_cbranch_execz .LBB10_9
; %bb.8:
	global_load_ubyte v5, v[2:3], off offset:1536
.LBB10_9:
	s_or_b64 exec, exec, s[0:1]
	v_or_b32_e32 v1, 0x800, v0
	v_cmp_gt_u32_e64 s[0:1], s14, v1
                                        ; implicit-def: $vgpr4
	s_and_saveexec_b64 s[12:13], s[0:1]
	s_cbranch_execz .LBB10_11
; %bb.10:
	global_load_ubyte v4, v[2:3], off offset:2048
.LBB10_11:
	s_or_b64 exec, exec, s[12:13]
	v_or_b32_e32 v1, 0xa00, v0
	v_cmp_gt_u32_e32 vcc, s14, v1
                                        ; implicit-def: $vgpr1
	s_and_saveexec_b64 s[12:13], vcc
	s_cbranch_execz .LBB10_13
; %bb.12:
	global_load_ubyte v1, v[2:3], off offset:2560
.LBB10_13:
	s_or_b64 exec, exec, s[12:13]
	v_lshlrev_b32_e32 v2, 2, v0
	s_mov_b32 s22, 0
	s_mov_b64 s[12:13], 0
	v_mov_b32_e32 v3, 0
	s_branch .LBB10_15
.LBB10_14:                              ;   in Loop: Header=BB10_15 Depth=1
	s_or_b64 exec, exec, s[20:21]
	s_add_i32 s22, s22, 2
	v_cmp_eq_u32_e64 s[14:15], 2, s22
	s_or_b64 s[12:13], s[14:15], s[12:13]
	v_add_u32_e32 v2, 0x1000, v2
	s_andn2_b64 exec, exec, s[12:13]
	s_cbranch_execz .LBB10_19
.LBB10_15:                              ; =>This Inner Loop Header: Depth=1
	s_or_b32 s14, s22, 1
	v_cmp_le_u32_e64 s[14:15], s14, 1
	v_cmp_le_u32_e64 s[24:25], s22, 1
	s_and_saveexec_b64 s[20:21], s[24:25]
	s_cbranch_execz .LBB10_17
; %bb.16:                               ;   in Loop: Header=BB10_15 Depth=1
	ds_write_b32 v2, v3
.LBB10_17:                              ;   in Loop: Header=BB10_15 Depth=1
	s_or_b64 exec, exec, s[20:21]
	s_and_saveexec_b64 s[20:21], s[14:15]
	s_cbranch_execz .LBB10_14
; %bb.18:                               ;   in Loop: Header=BB10_15 Depth=1
	ds_write_b32 v2, v3 offset:2048
	s_branch .LBB10_14
.LBB10_19:
	s_or_b64 exec, exec, s[12:13]
	s_cmp_gt_u32 s17, s16
	s_cselect_b64 s[12:13], -1, 0
	s_cmp_le_u32 s17, s16
	s_waitcnt lgkmcnt(0)
	s_barrier
	s_cbranch_scc1 .LBB10_44
; %bb.20:
	v_and_b32_e32 v2, 3, v0
	v_lshlrev_b32_e32 v2, 2, v2
	s_sub_i32 s20, s17, s16
	s_waitcnt vmcnt(0)
	v_xor_b32_e32 v3, -1, v8
	v_mov_b32_e32 v8, 1
	s_mov_b32 s21, s20
	v_mov_b32_e32 v9, v2
	s_mov_b32 s22, s16
	s_branch .LBB10_22
.LBB10_21:                              ;   in Loop: Header=BB10_22 Depth=1
	s_or_b64 exec, exec, s[14:15]
	s_add_i32 s22, s22, 8
	s_add_i32 s21, s21, -8
	s_cmp_ge_u32 s22, s17
	v_add_u32_e32 v9, 0x1000, v9
	s_cbranch_scc1 .LBB10_24
.LBB10_22:                              ; =>This Inner Loop Header: Depth=1
	s_and_saveexec_b64 s[14:15], s[8:9]
	s_cbranch_execz .LBB10_21
; %bb.23:                               ;   in Loop: Header=BB10_22 Depth=1
	s_min_u32 s23, s21, 8
	v_lshrrev_b32_sdwa v10, s22, v3 dst_sel:DWORD dst_unused:UNUSED_PAD src0_sel:DWORD src1_sel:BYTE_0
	v_bfe_u32 v10, v10, 0, s23
	v_lshl_add_u32 v10, v10, 4, v9
	ds_add_u32 v10, v8
	s_branch .LBB10_21
.LBB10_24:
	v_xor_b32_e32 v3, -1, v7
	v_mov_b32_e32 v7, 1
	s_mov_b32 s14, s20
	v_mov_b32_e32 v8, v2
	s_mov_b32 s15, s16
	s_branch .LBB10_26
.LBB10_25:                              ;   in Loop: Header=BB10_26 Depth=1
	s_or_b64 exec, exec, s[8:9]
	s_add_i32 s15, s15, 8
	s_add_i32 s14, s14, -8
	s_cmp_lt_u32 s15, s17
	v_add_u32_e32 v8, 0x1000, v8
	s_cbranch_scc0 .LBB10_28
.LBB10_26:                              ; =>This Inner Loop Header: Depth=1
	s_and_saveexec_b64 s[8:9], s[6:7]
	s_cbranch_execz .LBB10_25
; %bb.27:                               ;   in Loop: Header=BB10_26 Depth=1
	s_min_u32 s21, s14, 8
	v_lshrrev_b32_sdwa v9, s15, v3 dst_sel:DWORD dst_unused:UNUSED_PAD src0_sel:DWORD src1_sel:BYTE_0
	v_bfe_u32 v9, v9, 0, s21
	v_lshl_add_u32 v9, v9, 4, v8
	ds_add_u32 v9, v7
	s_branch .LBB10_25
.LBB10_28:
	v_xor_b32_e32 v3, -1, v6
	v_mov_b32_e32 v6, 1
	s_mov_b32 s8, s20
	v_mov_b32_e32 v7, v2
	s_mov_b32 s9, s16
	s_branch .LBB10_30
.LBB10_29:                              ;   in Loop: Header=BB10_30 Depth=1
	s_or_b64 exec, exec, s[6:7]
	s_add_i32 s9, s9, 8
	s_add_i32 s8, s8, -8
	s_cmp_lt_u32 s9, s17
	v_add_u32_e32 v7, 0x1000, v7
	s_cbranch_scc0 .LBB10_32
.LBB10_30:                              ; =>This Inner Loop Header: Depth=1
	s_and_saveexec_b64 s[6:7], s[4:5]
	s_cbranch_execz .LBB10_29
; %bb.31:                               ;   in Loop: Header=BB10_30 Depth=1
	s_min_u32 s14, s8, 8
	v_lshrrev_b32_sdwa v8, s9, v3 dst_sel:DWORD dst_unused:UNUSED_PAD src0_sel:DWORD src1_sel:BYTE_0
	v_bfe_u32 v8, v8, 0, s14
	v_lshl_add_u32 v8, v8, 4, v7
	ds_add_u32 v8, v6
	s_branch .LBB10_29
.LBB10_32:
	;; [unrolled: 24-line block ×4, first 2 shown]
	v_xor_b32_e32 v1, -1, v1
	v_mov_b32_e32 v3, 1
	s_mov_b32 s2, s16
	s_branch .LBB10_42
.LBB10_41:                              ;   in Loop: Header=BB10_42 Depth=1
	s_or_b64 exec, exec, s[0:1]
	s_add_i32 s2, s2, 8
	s_add_i32 s20, s20, -8
	s_cmp_lt_u32 s2, s17
	v_add_u32_e32 v2, 0x1000, v2
	s_cbranch_scc0 .LBB10_44
.LBB10_42:                              ; =>This Inner Loop Header: Depth=1
	s_and_saveexec_b64 s[0:1], vcc
	s_cbranch_execz .LBB10_41
; %bb.43:                               ;   in Loop: Header=BB10_42 Depth=1
	s_min_u32 s3, s20, 8
	v_lshrrev_b32_sdwa v4, s2, v1 dst_sel:DWORD dst_unused:UNUSED_PAD src0_sel:DWORD src1_sel:BYTE_0
	v_bfe_u32 v4, v4, 0, s3
	v_lshl_add_u32 v4, v4, 4, v2
	ds_add_u32 v4, v3
	s_branch .LBB10_41
.LBB10_44:
	s_and_b64 vcc, exec, s[12:13]
	s_waitcnt lgkmcnt(0)
	s_barrier
	s_cbranch_vccz .LBB10_49
; %bb.45:
	s_movk_i32 s0, 0x100
	v_cmp_gt_u32_e32 vcc, s0, v0
	s_waitcnt vmcnt(0)
	v_lshlrev_b32_e32 v1, 4, v0
	v_mov_b32_e32 v3, 0
	v_mov_b32_e32 v2, v0
	s_mov_b32 s4, s16
	s_branch .LBB10_47
.LBB10_46:                              ;   in Loop: Header=BB10_47 Depth=1
	s_or_b64 exec, exec, s[2:3]
	s_add_i32 s4, s4, 8
	v_add_u32_e32 v2, 0x100, v2
	s_cmp_lt_u32 s4, s17
	v_add_u32_e32 v1, 0x1000, v1
	s_cbranch_scc0 .LBB10_49
.LBB10_47:                              ; =>This Inner Loop Header: Depth=1
	s_and_saveexec_b64 s[2:3], vcc
	s_cbranch_execz .LBB10_46
; %bb.48:                               ;   in Loop: Header=BB10_47 Depth=1
	ds_read2_b32 v[4:5], v1 offset1:1
	ds_read2_b32 v[6:7], v1 offset0:2 offset1:3
	v_lshlrev_b64 v[8:9], 3, v[2:3]
	v_mov_b32_e32 v10, s11
	s_waitcnt lgkmcnt(1)
	v_add_u32_e32 v4, v5, v4
	s_waitcnt lgkmcnt(0)
	v_add3_u32 v4, v4, v6, v7
	v_add_co_u32_e64 v6, s[0:1], s10, v8
	v_addc_co_u32_e64 v7, s[0:1], v10, v9, s[0:1]
	v_mov_b32_e32 v5, v3
	global_atomic_add_x2 v[6:7], v[4:5], off
	s_branch .LBB10_46
.LBB10_49:
	s_mov_b64 s[0:1], 0
.LBB10_50:
	s_and_b64 vcc, exec, s[0:1]
	s_cbranch_vccz .LBB10_86
; %bb.51:
	global_load_ubyte v4, v0, s[18:19]
	global_load_ubyte v5, v0, s[18:19] offset:512
	global_load_ubyte v6, v0, s[18:19] offset:1024
	;; [unrolled: 1-line block ×5, first 2 shown]
	s_cmp_eq_u32 s16, 0
	s_cselect_b64 s[0:1], -1, 0
	s_cmp_eq_u32 s17, 8
	s_cselect_b64 s[2:3], -1, 0
	s_and_b64 s[2:3], s[0:1], s[2:3]
	s_mov_b32 s6, 0
	v_mov_b32_e32 v2, 0
	s_mov_b64 s[0:1], -1
	s_and_b64 vcc, exec, s[2:3]
	s_waitcnt vmcnt(6)
	v_lshlrev_b32_e32 v1, 2, v0
	s_cbranch_vccnz .LBB10_77
; %bb.52:
	v_lshlrev_b32_e32 v3, 2, v0
	s_mov_b64 s[0:1], 0
	s_branch .LBB10_54
.LBB10_53:                              ;   in Loop: Header=BB10_54 Depth=1
	s_or_b64 exec, exec, s[4:5]
	s_add_i32 s6, s6, 2
	v_cmp_eq_u32_e64 s[2:3], 2, s6
	s_or_b64 s[0:1], s[2:3], s[0:1]
	v_add_u32_e32 v3, 0x1000, v3
	s_andn2_b64 exec, exec, s[0:1]
	s_cbranch_execz .LBB10_58
.LBB10_54:                              ; =>This Inner Loop Header: Depth=1
	s_or_b32 s2, s6, 1
	v_cmp_le_u32_e64 s[2:3], s2, 1
	v_cmp_le_u32_e64 s[8:9], s6, 1
	s_and_saveexec_b64 s[4:5], s[8:9]
	s_cbranch_execz .LBB10_56
; %bb.55:                               ;   in Loop: Header=BB10_54 Depth=1
	ds_write_b32 v3, v2
.LBB10_56:                              ;   in Loop: Header=BB10_54 Depth=1
	s_or_b64 exec, exec, s[4:5]
	s_and_saveexec_b64 s[4:5], s[2:3]
	s_cbranch_execz .LBB10_53
; %bb.57:                               ;   in Loop: Header=BB10_54 Depth=1
	ds_write_b32 v3, v2 offset:2048
	s_branch .LBB10_53
.LBB10_58:
	s_or_b64 exec, exec, s[0:1]
	s_cmp_gt_u32 s17, s16
	s_cselect_b64 s[0:1], -1, 0
	s_cmp_le_u32 s17, s16
	s_waitcnt lgkmcnt(0)
	s_barrier
	s_cbranch_scc1 .LBB10_71
; %bb.59:
	v_and_b32_e32 v2, 3, v0
	v_lshlrev_b32_e32 v2, 2, v2
	s_sub_i32 s2, s17, s16
	s_waitcnt vmcnt(5)
	v_xor_b32_e32 v3, -1, v4
	v_mov_b32_e32 v10, 1
	s_mov_b32 s3, s2
	v_mov_b32_e32 v11, v2
	s_mov_b32 s4, s16
.LBB10_60:                              ; =>This Inner Loop Header: Depth=1
	s_min_u32 s5, s3, 8
	v_lshrrev_b32_sdwa v12, s4, v3 dst_sel:DWORD dst_unused:UNUSED_PAD src0_sel:DWORD src1_sel:BYTE_0
	v_bfe_u32 v12, v12, 0, s5
	v_lshl_add_u32 v12, v12, 4, v11
	ds_add_u32 v12, v10
	s_add_i32 s4, s4, 8
	s_add_i32 s3, s3, -8
	s_cmp_ge_u32 s4, s17
	v_add_u32_e32 v11, 0x1000, v11
	s_cbranch_scc0 .LBB10_60
; %bb.61:
	s_waitcnt vmcnt(4)
	v_xor_b32_e32 v3, -1, v5
	v_mov_b32_e32 v10, 1
	s_mov_b32 s3, s2
	v_mov_b32_e32 v11, v2
	s_mov_b32 s4, s16
.LBB10_62:                              ; =>This Inner Loop Header: Depth=1
	s_min_u32 s5, s3, 8
	v_lshrrev_b32_sdwa v12, s4, v3 dst_sel:DWORD dst_unused:UNUSED_PAD src0_sel:DWORD src1_sel:BYTE_0
	v_bfe_u32 v12, v12, 0, s5
	v_lshl_add_u32 v12, v12, 4, v11
	ds_add_u32 v12, v10
	s_add_i32 s4, s4, 8
	s_add_i32 s3, s3, -8
	s_cmp_lt_u32 s4, s17
	v_add_u32_e32 v11, 0x1000, v11
	s_cbranch_scc1 .LBB10_62
; %bb.63:
	s_waitcnt vmcnt(3)
	v_xor_b32_e32 v3, -1, v6
	v_mov_b32_e32 v10, 1
	s_mov_b32 s3, s2
	v_mov_b32_e32 v11, v2
	s_mov_b32 s4, s16
.LBB10_64:                              ; =>This Inner Loop Header: Depth=1
	s_min_u32 s5, s3, 8
	v_lshrrev_b32_sdwa v12, s4, v3 dst_sel:DWORD dst_unused:UNUSED_PAD src0_sel:DWORD src1_sel:BYTE_0
	v_bfe_u32 v12, v12, 0, s5
	v_lshl_add_u32 v12, v12, 4, v11
	ds_add_u32 v12, v10
	s_add_i32 s4, s4, 8
	s_add_i32 s3, s3, -8
	s_cmp_lt_u32 s4, s17
	v_add_u32_e32 v11, 0x1000, v11
	s_cbranch_scc1 .LBB10_64
	;; [unrolled: 18-line block ×4, first 2 shown]
; %bb.69:
	s_waitcnt vmcnt(0)
	v_xor_b32_e32 v3, -1, v9
	v_mov_b32_e32 v10, 1
	s_mov_b32 s3, s16
.LBB10_70:                              ; =>This Inner Loop Header: Depth=1
	s_min_u32 s4, s2, 8
	v_lshrrev_b32_sdwa v11, s3, v3 dst_sel:DWORD dst_unused:UNUSED_PAD src0_sel:DWORD src1_sel:BYTE_0
	v_bfe_u32 v11, v11, 0, s4
	v_lshl_add_u32 v11, v11, 4, v2
	ds_add_u32 v11, v10
	s_add_i32 s3, s3, 8
	s_add_i32 s2, s2, -8
	s_cmp_lt_u32 s3, s17
	v_add_u32_e32 v2, 0x1000, v2
	s_cbranch_scc1 .LBB10_70
.LBB10_71:
	s_and_b64 vcc, exec, s[0:1]
	s_waitcnt lgkmcnt(0)
	s_barrier
	s_cbranch_vccz .LBB10_76
; %bb.72:
	s_movk_i32 s0, 0x100
	v_cmp_gt_u32_e32 vcc, s0, v0
	v_lshlrev_b32_e32 v10, 4, v0
	v_mov_b32_e32 v3, 0
	v_mov_b32_e32 v2, v0
	s_branch .LBB10_74
.LBB10_73:                              ;   in Loop: Header=BB10_74 Depth=1
	s_or_b64 exec, exec, s[2:3]
	s_add_i32 s16, s16, 8
	v_add_u32_e32 v2, 0x100, v2
	s_cmp_ge_u32 s16, s17
	v_add_u32_e32 v10, 0x1000, v10
	s_cbranch_scc1 .LBB10_76
.LBB10_74:                              ; =>This Inner Loop Header: Depth=1
	s_and_saveexec_b64 s[2:3], vcc
	s_cbranch_execz .LBB10_73
; %bb.75:                               ;   in Loop: Header=BB10_74 Depth=1
	ds_read2_b32 v[12:13], v10 offset1:1
	ds_read2_b32 v[14:15], v10 offset0:2 offset1:3
	v_lshlrev_b64 v[16:17], 3, v[2:3]
	v_mov_b32_e32 v11, s11
	s_waitcnt lgkmcnt(1)
	v_add_u32_e32 v12, v13, v12
	s_waitcnt lgkmcnt(0)
	v_add3_u32 v12, v12, v14, v15
	v_add_co_u32_e64 v14, s[0:1], s10, v16
	v_addc_co_u32_e64 v15, s[0:1], v11, v17, s[0:1]
	v_mov_b32_e32 v13, v3
	global_atomic_add_x2 v[14:15], v[12:13], off
	s_branch .LBB10_73
.LBB10_76:
	s_mov_b64 s[0:1], 0
.LBB10_77:
	s_and_b64 vcc, exec, s[0:1]
	s_cbranch_vccz .LBB10_86
; %bb.78:
	s_mov_b32 s6, 0
	s_mov_b64 s[0:1], 0
	v_mov_b32_e32 v2, 0
	v_mov_b32_e32 v3, v1
	s_branch .LBB10_80
.LBB10_79:                              ;   in Loop: Header=BB10_80 Depth=1
	s_or_b64 exec, exec, s[4:5]
	s_add_i32 s6, s6, 2
	v_cmp_eq_u32_e64 s[2:3], 2, s6
	s_or_b64 s[0:1], s[2:3], s[0:1]
	v_add_u32_e32 v3, 0x1000, v3
	s_andn2_b64 exec, exec, s[0:1]
	s_cbranch_execz .LBB10_84
.LBB10_80:                              ; =>This Inner Loop Header: Depth=1
	s_or_b32 s2, s6, 1
	v_cmp_le_u32_e64 s[2:3], s2, 1
	v_cmp_le_u32_e64 s[8:9], s6, 1
	s_and_saveexec_b64 s[4:5], s[8:9]
	s_cbranch_execz .LBB10_82
; %bb.81:                               ;   in Loop: Header=BB10_80 Depth=1
	ds_write_b32 v3, v2
.LBB10_82:                              ;   in Loop: Header=BB10_80 Depth=1
	s_or_b64 exec, exec, s[4:5]
	s_and_saveexec_b64 s[4:5], s[2:3]
	s_cbranch_execz .LBB10_79
; %bb.83:                               ;   in Loop: Header=BB10_80 Depth=1
	ds_write_b32 v3, v2 offset:2048
	s_branch .LBB10_79
.LBB10_84:
	s_or_b64 exec, exec, s[0:1]
	s_waitcnt vmcnt(5)
	v_xor_b32_e32 v2, -1, v4
	s_waitcnt vmcnt(3)
	v_xor_b32_e32 v4, -1, v6
	;; [unrolled: 2-line block ×3, first 2 shown]
	v_and_b32_e32 v8, 3, v0
	v_and_b32_e32 v2, 0xff, v2
	v_lshlrev_b32_e32 v8, 2, v8
	v_xor_b32_e32 v3, -1, v5
	v_xor_b32_e32 v5, -1, v7
	s_waitcnt vmcnt(0)
	v_xor_b32_e32 v7, -1, v9
	v_lshl_or_b32 v2, v2, 4, v8
	v_mov_b32_e32 v9, 1
	s_waitcnt lgkmcnt(0)
	s_barrier
	ds_add_u32 v2, v9
	v_and_b32_e32 v2, 0xff, v3
	v_lshl_or_b32 v2, v2, 4, v8
	ds_add_u32 v2, v9
	v_and_b32_e32 v2, 0xff, v4
	v_lshl_or_b32 v2, v2, 4, v8
	;; [unrolled: 3-line block ×5, first 2 shown]
	ds_add_u32 v2, v9
	s_movk_i32 s0, 0x100
	v_cmp_gt_u32_e32 vcc, s0, v0
	s_waitcnt lgkmcnt(0)
	s_barrier
	s_and_saveexec_b64 s[0:1], vcc
	s_cbranch_execz .LBB10_86
; %bb.85:
	v_lshlrev_b32_e32 v1, 2, v1
	ds_read2_b32 v[2:3], v1 offset1:1
	ds_read2_b32 v[4:5], v1 offset0:2 offset1:3
	v_lshlrev_b32_e32 v6, 3, v0
	v_mov_b32_e32 v1, 0
	s_waitcnt lgkmcnt(1)
	v_add_u32_e32 v0, v3, v2
	s_waitcnt lgkmcnt(0)
	v_add3_u32 v0, v0, v4, v5
	global_atomic_add_x2 v6, v[0:1], s[10:11]
.LBB10_86:
	s_endpgm
	.section	.rodata,"a",@progbits
	.p2align	6, 0x0
	.amdhsa_kernel _ZN7rocprim17ROCPRIM_304000_NS6detail26onesweep_histograms_kernelINS1_34wrapped_radix_sort_onesweep_configINS0_14default_configEhN2at4cuda3cub6detail10OpaqueTypeILi8EEEEELb1EPKhmNS0_19identity_decomposerEEEvT1_PT2_SG_SG_T3_jj
		.amdhsa_group_segment_fixed_size 4096
		.amdhsa_private_segment_fixed_size 0
		.amdhsa_kernarg_size 44
		.amdhsa_user_sgpr_count 6
		.amdhsa_user_sgpr_private_segment_buffer 1
		.amdhsa_user_sgpr_dispatch_ptr 0
		.amdhsa_user_sgpr_queue_ptr 0
		.amdhsa_user_sgpr_kernarg_segment_ptr 1
		.amdhsa_user_sgpr_dispatch_id 0
		.amdhsa_user_sgpr_flat_scratch_init 0
		.amdhsa_user_sgpr_kernarg_preload_length 0
		.amdhsa_user_sgpr_kernarg_preload_offset 0
		.amdhsa_user_sgpr_private_segment_size 0
		.amdhsa_uses_dynamic_stack 0
		.amdhsa_system_sgpr_private_segment_wavefront_offset 0
		.amdhsa_system_sgpr_workgroup_id_x 1
		.amdhsa_system_sgpr_workgroup_id_y 0
		.amdhsa_system_sgpr_workgroup_id_z 0
		.amdhsa_system_sgpr_workgroup_info 0
		.amdhsa_system_vgpr_workitem_id 0
		.amdhsa_next_free_vgpr 18
		.amdhsa_next_free_sgpr 26
		.amdhsa_accum_offset 20
		.amdhsa_reserve_vcc 1
		.amdhsa_reserve_flat_scratch 0
		.amdhsa_float_round_mode_32 0
		.amdhsa_float_round_mode_16_64 0
		.amdhsa_float_denorm_mode_32 3
		.amdhsa_float_denorm_mode_16_64 3
		.amdhsa_dx10_clamp 1
		.amdhsa_ieee_mode 1
		.amdhsa_fp16_overflow 0
		.amdhsa_tg_split 0
		.amdhsa_exception_fp_ieee_invalid_op 0
		.amdhsa_exception_fp_denorm_src 0
		.amdhsa_exception_fp_ieee_div_zero 0
		.amdhsa_exception_fp_ieee_overflow 0
		.amdhsa_exception_fp_ieee_underflow 0
		.amdhsa_exception_fp_ieee_inexact 0
		.amdhsa_exception_int_div_zero 0
	.end_amdhsa_kernel
	.section	.text._ZN7rocprim17ROCPRIM_304000_NS6detail26onesweep_histograms_kernelINS1_34wrapped_radix_sort_onesweep_configINS0_14default_configEhN2at4cuda3cub6detail10OpaqueTypeILi8EEEEELb1EPKhmNS0_19identity_decomposerEEEvT1_PT2_SG_SG_T3_jj,"axG",@progbits,_ZN7rocprim17ROCPRIM_304000_NS6detail26onesweep_histograms_kernelINS1_34wrapped_radix_sort_onesweep_configINS0_14default_configEhN2at4cuda3cub6detail10OpaqueTypeILi8EEEEELb1EPKhmNS0_19identity_decomposerEEEvT1_PT2_SG_SG_T3_jj,comdat
.Lfunc_end10:
	.size	_ZN7rocprim17ROCPRIM_304000_NS6detail26onesweep_histograms_kernelINS1_34wrapped_radix_sort_onesweep_configINS0_14default_configEhN2at4cuda3cub6detail10OpaqueTypeILi8EEEEELb1EPKhmNS0_19identity_decomposerEEEvT1_PT2_SG_SG_T3_jj, .Lfunc_end10-_ZN7rocprim17ROCPRIM_304000_NS6detail26onesweep_histograms_kernelINS1_34wrapped_radix_sort_onesweep_configINS0_14default_configEhN2at4cuda3cub6detail10OpaqueTypeILi8EEEEELb1EPKhmNS0_19identity_decomposerEEEvT1_PT2_SG_SG_T3_jj
                                        ; -- End function
	.section	.AMDGPU.csdata,"",@progbits
; Kernel info:
; codeLenInByte = 2544
; NumSgprs: 30
; NumVgprs: 18
; NumAgprs: 0
; TotalNumVgprs: 18
; ScratchSize: 0
; MemoryBound: 0
; FloatMode: 240
; IeeeMode: 1
; LDSByteSize: 4096 bytes/workgroup (compile time only)
; SGPRBlocks: 3
; VGPRBlocks: 2
; NumSGPRsForWavesPerEU: 30
; NumVGPRsForWavesPerEU: 18
; AccumOffset: 20
; Occupancy: 8
; WaveLimiterHint : 1
; COMPUTE_PGM_RSRC2:SCRATCH_EN: 0
; COMPUTE_PGM_RSRC2:USER_SGPR: 6
; COMPUTE_PGM_RSRC2:TRAP_HANDLER: 0
; COMPUTE_PGM_RSRC2:TGID_X_EN: 1
; COMPUTE_PGM_RSRC2:TGID_Y_EN: 0
; COMPUTE_PGM_RSRC2:TGID_Z_EN: 0
; COMPUTE_PGM_RSRC2:TIDIG_COMP_CNT: 0
; COMPUTE_PGM_RSRC3_GFX90A:ACCUM_OFFSET: 4
; COMPUTE_PGM_RSRC3_GFX90A:TG_SPLIT: 0
	.section	.text._ZN7rocprim17ROCPRIM_304000_NS6detail31onesweep_scan_histograms_kernelINS1_34wrapped_radix_sort_onesweep_configINS0_14default_configEhN2at4cuda3cub6detail10OpaqueTypeILi8EEEEEmEEvPT0_,"axG",@progbits,_ZN7rocprim17ROCPRIM_304000_NS6detail31onesweep_scan_histograms_kernelINS1_34wrapped_radix_sort_onesweep_configINS0_14default_configEhN2at4cuda3cub6detail10OpaqueTypeILi8EEEEEmEEvPT0_,comdat
	.protected	_ZN7rocprim17ROCPRIM_304000_NS6detail31onesweep_scan_histograms_kernelINS1_34wrapped_radix_sort_onesweep_configINS0_14default_configEhN2at4cuda3cub6detail10OpaqueTypeILi8EEEEEmEEvPT0_ ; -- Begin function _ZN7rocprim17ROCPRIM_304000_NS6detail31onesweep_scan_histograms_kernelINS1_34wrapped_radix_sort_onesweep_configINS0_14default_configEhN2at4cuda3cub6detail10OpaqueTypeILi8EEEEEmEEvPT0_
	.globl	_ZN7rocprim17ROCPRIM_304000_NS6detail31onesweep_scan_histograms_kernelINS1_34wrapped_radix_sort_onesweep_configINS0_14default_configEhN2at4cuda3cub6detail10OpaqueTypeILi8EEEEEmEEvPT0_
	.p2align	8
	.type	_ZN7rocprim17ROCPRIM_304000_NS6detail31onesweep_scan_histograms_kernelINS1_34wrapped_radix_sort_onesweep_configINS0_14default_configEhN2at4cuda3cub6detail10OpaqueTypeILi8EEEEEmEEvPT0_,@function
_ZN7rocprim17ROCPRIM_304000_NS6detail31onesweep_scan_histograms_kernelINS1_34wrapped_radix_sort_onesweep_configINS0_14default_configEhN2at4cuda3cub6detail10OpaqueTypeILi8EEEEEmEEvPT0_: ; @_ZN7rocprim17ROCPRIM_304000_NS6detail31onesweep_scan_histograms_kernelINS1_34wrapped_radix_sort_onesweep_configINS0_14default_configEhN2at4cuda3cub6detail10OpaqueTypeILi8EEEEEmEEvPT0_
; %bb.0:
	s_load_dwordx2 s[0:1], s[4:5], 0x0
	s_lshl_b32 s2, s6, 8
	s_mov_b32 s3, 0
	s_lshl_b64 s[2:3], s[2:3], 3
	v_lshlrev_b32_e32 v5, 3, v0
	s_waitcnt lgkmcnt(0)
	s_add_u32 s6, s0, s2
	s_movk_i32 s0, 0x100
	s_addc_u32 s7, s1, s3
	v_cmp_gt_u32_e32 vcc, s0, v0
                                        ; implicit-def: $vgpr2_vgpr3
	s_and_saveexec_b64 s[0:1], vcc
	s_cbranch_execz .LBB11_2
; %bb.1:
	global_load_dwordx2 v[2:3], v5, s[6:7]
.LBB11_2:
	s_or_b64 exec, exec, s[0:1]
	s_waitcnt vmcnt(0)
	v_mov_b32_dpp v4, v2 row_shr:1 row_mask:0xf bank_mask:0xf
	v_add_co_u32_e64 v4, s[0:1], v2, v4
	v_mbcnt_lo_u32_b32 v1, -1, 0
	v_addc_co_u32_e64 v8, s[0:1], 0, v3, s[0:1]
	v_mbcnt_hi_u32_b32 v6, -1, v1
	v_mov_b32_dpp v7, v3 row_shr:1 row_mask:0xf bank_mask:0xf
	v_add_co_u32_e64 v9, s[0:1], 0, v4
	v_and_b32_e32 v1, 15, v6
	v_addc_co_u32_e64 v7, s[0:1], v7, v8, s[0:1]
	v_cmp_eq_u32_e64 s[0:1], 0, v1
	v_cndmask_b32_e64 v4, v4, v2, s[0:1]
	v_cndmask_b32_e64 v7, v7, v3, s[0:1]
	v_cndmask_b32_e64 v8, v9, v2, s[0:1]
	v_mov_b32_dpp v9, v4 row_shr:2 row_mask:0xf bank_mask:0xf
	v_mov_b32_dpp v10, v7 row_shr:2 row_mask:0xf bank_mask:0xf
	v_add_co_u32_e64 v9, s[0:1], v9, v8
	v_addc_co_u32_e64 v10, s[0:1], v10, v7, s[0:1]
	v_cmp_lt_u32_e64 s[0:1], 1, v1
	v_cndmask_b32_e64 v4, v4, v9, s[0:1]
	v_cndmask_b32_e64 v7, v7, v10, s[0:1]
	v_cndmask_b32_e64 v8, v8, v9, s[0:1]
	v_mov_b32_dpp v9, v4 row_shr:4 row_mask:0xf bank_mask:0xf
	v_mov_b32_dpp v10, v7 row_shr:4 row_mask:0xf bank_mask:0xf
	v_add_co_u32_e64 v9, s[0:1], v9, v8
	v_addc_co_u32_e64 v10, s[0:1], v10, v7, s[0:1]
	v_cmp_lt_u32_e64 s[0:1], 3, v1
	;; [unrolled: 8-line block ×3, first 2 shown]
	v_cndmask_b32_e64 v11, v4, v9, s[0:1]
	v_cndmask_b32_e64 v1, v7, v10, s[0:1]
	;; [unrolled: 1-line block ×3, first 2 shown]
	v_mov_b32_dpp v7, v11 row_bcast:15 row_mask:0xf bank_mask:0xf
	v_mov_b32_dpp v8, v1 row_bcast:15 row_mask:0xf bank_mask:0xf
	v_and_b32_e32 v10, 16, v6
	v_add_co_u32_e64 v7, s[0:1], v7, v4
	v_addc_co_u32_e64 v9, s[0:1], v8, v1, s[0:1]
	v_cmp_eq_u32_e64 s[2:3], 0, v10
	v_cndmask_b32_e64 v10, v9, v1, s[2:3]
	v_cndmask_b32_e64 v8, v7, v11, s[2:3]
	v_cmp_eq_u32_e64 s[0:1], 0, v6
	v_mov_b32_dpp v10, v10 row_bcast:31 row_mask:0xf bank_mask:0xf
	v_mov_b32_dpp v8, v8 row_bcast:31 row_mask:0xf bank_mask:0xf
	v_cmp_ne_u32_e64 s[4:5], 0, v6
	s_and_saveexec_b64 s[8:9], s[4:5]
; %bb.3:
	v_cndmask_b32_e64 v1, v9, v1, s[2:3]
	v_cndmask_b32_e64 v2, v7, v4, s[2:3]
	v_cmp_lt_u32_e64 s[2:3], 31, v6
	v_cndmask_b32_e64 v4, 0, v8, s[2:3]
	v_cndmask_b32_e64 v3, 0, v10, s[2:3]
	v_add_co_u32_e64 v2, s[2:3], v4, v2
	v_addc_co_u32_e64 v3, s[2:3], v3, v1, s[2:3]
; %bb.4:
	s_or_b64 exec, exec, s[8:9]
	v_or_b32_e32 v1, 63, v0
	v_lshrrev_b32_e32 v4, 6, v0
	v_cmp_eq_u32_e64 s[2:3], v1, v0
	s_and_saveexec_b64 s[4:5], s[2:3]
	s_cbranch_execz .LBB11_6
; %bb.5:
	v_lshlrev_b32_e32 v1, 3, v4
	ds_write_b64 v1, v[2:3]
.LBB11_6:
	s_or_b64 exec, exec, s[4:5]
	v_cmp_gt_u32_e64 s[2:3], 8, v0
	s_waitcnt lgkmcnt(0)
	s_barrier
	s_and_saveexec_b64 s[4:5], s[2:3]
	s_cbranch_execz .LBB11_8
; %bb.7:
	ds_read_b64 v[8:9], v5
	v_and_b32_e32 v1, 7, v6
	s_waitcnt lgkmcnt(0)
	v_mov_b32_dpp v7, v8 row_shr:1 row_mask:0xf bank_mask:0xf
	v_add_co_u32_e64 v7, s[2:3], v8, v7
	v_addc_co_u32_e64 v11, s[2:3], 0, v9, s[2:3]
	v_mov_b32_dpp v10, v9 row_shr:1 row_mask:0xf bank_mask:0xf
	v_add_co_u32_e64 v12, s[2:3], 0, v7
	v_addc_co_u32_e64 v10, s[2:3], v10, v11, s[2:3]
	v_cmp_eq_u32_e64 s[2:3], 0, v1
	v_cndmask_b32_e64 v7, v7, v8, s[2:3]
	v_cndmask_b32_e64 v9, v10, v9, s[2:3]
	;; [unrolled: 1-line block ×3, first 2 shown]
	v_mov_b32_dpp v8, v7 row_shr:2 row_mask:0xf bank_mask:0xf
	v_add_co_u32_e64 v8, s[2:3], v10, v8
	v_addc_co_u32_e64 v12, s[2:3], 0, v9, s[2:3]
	v_mov_b32_dpp v11, v9 row_shr:2 row_mask:0xf bank_mask:0xf
	v_add_co_u32_e64 v13, s[2:3], 0, v8
	v_addc_co_u32_e64 v11, s[2:3], v12, v11, s[2:3]
	v_cmp_lt_u32_e64 s[2:3], 1, v1
	v_cndmask_b32_e64 v7, v7, v8, s[2:3]
	v_cndmask_b32_e64 v9, v9, v11, s[2:3]
	;; [unrolled: 1-line block ×3, first 2 shown]
	v_mov_b32_dpp v7, v7 row_shr:4 row_mask:0xf bank_mask:0xf
	v_cmp_lt_u32_e64 s[2:3], 3, v1
	v_mov_b32_dpp v8, v9 row_shr:4 row_mask:0xf bank_mask:0xf
	v_cndmask_b32_e64 v1, 0, v7, s[2:3]
	v_cndmask_b32_e64 v7, 0, v8, s[2:3]
	v_add_co_u32_e64 v8, s[2:3], v1, v10
	v_addc_co_u32_e64 v9, s[2:3], v7, v9, s[2:3]
	ds_write_b64 v5, v[8:9]
.LBB11_8:
	s_or_b64 exec, exec, s[4:5]
	v_cmp_lt_u32_e64 s[2:3], 63, v0
	v_pk_mov_b32 v[0:1], 0, 0
	s_waitcnt lgkmcnt(0)
	s_barrier
	s_and_saveexec_b64 s[4:5], s[2:3]
	s_cbranch_execz .LBB11_10
; %bb.9:
	v_lshl_add_u32 v0, v4, 3, -8
	ds_read_b64 v[0:1], v0
.LBB11_10:
	s_or_b64 exec, exec, s[4:5]
	s_waitcnt lgkmcnt(0)
	v_add_co_u32_e64 v2, s[2:3], v0, v2
	v_addc_co_u32_e64 v3, s[2:3], v1, v3, s[2:3]
	v_add_u32_e32 v4, -1, v6
	v_and_b32_e32 v7, 64, v6
	v_cmp_lt_i32_e64 s[2:3], v4, v7
	v_cndmask_b32_e64 v4, v4, v6, s[2:3]
	v_lshlrev_b32_e32 v4, 2, v4
	ds_bpermute_b32 v2, v4, v2
	ds_bpermute_b32 v3, v4, v3
	s_and_saveexec_b64 s[2:3], vcc
	s_cbranch_execz .LBB11_12
; %bb.11:
	s_waitcnt lgkmcnt(0)
	v_cndmask_b32_e64 v1, v3, v1, s[0:1]
	v_cndmask_b32_e64 v0, v2, v0, s[0:1]
	global_store_dwordx2 v5, v[0:1], s[6:7]
.LBB11_12:
	s_endpgm
	.section	.rodata,"a",@progbits
	.p2align	6, 0x0
	.amdhsa_kernel _ZN7rocprim17ROCPRIM_304000_NS6detail31onesweep_scan_histograms_kernelINS1_34wrapped_radix_sort_onesweep_configINS0_14default_configEhN2at4cuda3cub6detail10OpaqueTypeILi8EEEEEmEEvPT0_
		.amdhsa_group_segment_fixed_size 64
		.amdhsa_private_segment_fixed_size 0
		.amdhsa_kernarg_size 8
		.amdhsa_user_sgpr_count 6
		.amdhsa_user_sgpr_private_segment_buffer 1
		.amdhsa_user_sgpr_dispatch_ptr 0
		.amdhsa_user_sgpr_queue_ptr 0
		.amdhsa_user_sgpr_kernarg_segment_ptr 1
		.amdhsa_user_sgpr_dispatch_id 0
		.amdhsa_user_sgpr_flat_scratch_init 0
		.amdhsa_user_sgpr_kernarg_preload_length 0
		.amdhsa_user_sgpr_kernarg_preload_offset 0
		.amdhsa_user_sgpr_private_segment_size 0
		.amdhsa_uses_dynamic_stack 0
		.amdhsa_system_sgpr_private_segment_wavefront_offset 0
		.amdhsa_system_sgpr_workgroup_id_x 1
		.amdhsa_system_sgpr_workgroup_id_y 0
		.amdhsa_system_sgpr_workgroup_id_z 0
		.amdhsa_system_sgpr_workgroup_info 0
		.amdhsa_system_vgpr_workitem_id 0
		.amdhsa_next_free_vgpr 14
		.amdhsa_next_free_sgpr 10
		.amdhsa_accum_offset 16
		.amdhsa_reserve_vcc 1
		.amdhsa_reserve_flat_scratch 0
		.amdhsa_float_round_mode_32 0
		.amdhsa_float_round_mode_16_64 0
		.amdhsa_float_denorm_mode_32 3
		.amdhsa_float_denorm_mode_16_64 3
		.amdhsa_dx10_clamp 1
		.amdhsa_ieee_mode 1
		.amdhsa_fp16_overflow 0
		.amdhsa_tg_split 0
		.amdhsa_exception_fp_ieee_invalid_op 0
		.amdhsa_exception_fp_denorm_src 0
		.amdhsa_exception_fp_ieee_div_zero 0
		.amdhsa_exception_fp_ieee_overflow 0
		.amdhsa_exception_fp_ieee_underflow 0
		.amdhsa_exception_fp_ieee_inexact 0
		.amdhsa_exception_int_div_zero 0
	.end_amdhsa_kernel
	.section	.text._ZN7rocprim17ROCPRIM_304000_NS6detail31onesweep_scan_histograms_kernelINS1_34wrapped_radix_sort_onesweep_configINS0_14default_configEhN2at4cuda3cub6detail10OpaqueTypeILi8EEEEEmEEvPT0_,"axG",@progbits,_ZN7rocprim17ROCPRIM_304000_NS6detail31onesweep_scan_histograms_kernelINS1_34wrapped_radix_sort_onesweep_configINS0_14default_configEhN2at4cuda3cub6detail10OpaqueTypeILi8EEEEEmEEvPT0_,comdat
.Lfunc_end11:
	.size	_ZN7rocprim17ROCPRIM_304000_NS6detail31onesweep_scan_histograms_kernelINS1_34wrapped_radix_sort_onesweep_configINS0_14default_configEhN2at4cuda3cub6detail10OpaqueTypeILi8EEEEEmEEvPT0_, .Lfunc_end11-_ZN7rocprim17ROCPRIM_304000_NS6detail31onesweep_scan_histograms_kernelINS1_34wrapped_radix_sort_onesweep_configINS0_14default_configEhN2at4cuda3cub6detail10OpaqueTypeILi8EEEEEmEEvPT0_
                                        ; -- End function
	.section	.AMDGPU.csdata,"",@progbits
; Kernel info:
; codeLenInByte = 980
; NumSgprs: 14
; NumVgprs: 14
; NumAgprs: 0
; TotalNumVgprs: 14
; ScratchSize: 0
; MemoryBound: 0
; FloatMode: 240
; IeeeMode: 1
; LDSByteSize: 64 bytes/workgroup (compile time only)
; SGPRBlocks: 1
; VGPRBlocks: 1
; NumSGPRsForWavesPerEU: 14
; NumVGPRsForWavesPerEU: 14
; AccumOffset: 16
; Occupancy: 8
; WaveLimiterHint : 0
; COMPUTE_PGM_RSRC2:SCRATCH_EN: 0
; COMPUTE_PGM_RSRC2:USER_SGPR: 6
; COMPUTE_PGM_RSRC2:TRAP_HANDLER: 0
; COMPUTE_PGM_RSRC2:TGID_X_EN: 1
; COMPUTE_PGM_RSRC2:TGID_Y_EN: 0
; COMPUTE_PGM_RSRC2:TGID_Z_EN: 0
; COMPUTE_PGM_RSRC2:TIDIG_COMP_CNT: 0
; COMPUTE_PGM_RSRC3_GFX90A:ACCUM_OFFSET: 3
; COMPUTE_PGM_RSRC3_GFX90A:TG_SPLIT: 0
	.section	.text._ZN7rocprim17ROCPRIM_304000_NS6detail16transform_kernelINS1_24wrapped_transform_configINS0_14default_configEhEEhPKhPhNS0_8identityIhEEEEvT1_mT2_T3_,"axG",@progbits,_ZN7rocprim17ROCPRIM_304000_NS6detail16transform_kernelINS1_24wrapped_transform_configINS0_14default_configEhEEhPKhPhNS0_8identityIhEEEEvT1_mT2_T3_,comdat
	.protected	_ZN7rocprim17ROCPRIM_304000_NS6detail16transform_kernelINS1_24wrapped_transform_configINS0_14default_configEhEEhPKhPhNS0_8identityIhEEEEvT1_mT2_T3_ ; -- Begin function _ZN7rocprim17ROCPRIM_304000_NS6detail16transform_kernelINS1_24wrapped_transform_configINS0_14default_configEhEEhPKhPhNS0_8identityIhEEEEvT1_mT2_T3_
	.globl	_ZN7rocprim17ROCPRIM_304000_NS6detail16transform_kernelINS1_24wrapped_transform_configINS0_14default_configEhEEhPKhPhNS0_8identityIhEEEEvT1_mT2_T3_
	.p2align	8
	.type	_ZN7rocprim17ROCPRIM_304000_NS6detail16transform_kernelINS1_24wrapped_transform_configINS0_14default_configEhEEhPKhPhNS0_8identityIhEEEEvT1_mT2_T3_,@function
_ZN7rocprim17ROCPRIM_304000_NS6detail16transform_kernelINS1_24wrapped_transform_configINS0_14default_configEhEEhPKhPhNS0_8identityIhEEEEvT1_mT2_T3_: ; @_ZN7rocprim17ROCPRIM_304000_NS6detail16transform_kernelINS1_24wrapped_transform_configINS0_14default_configEhEEhPKhPhNS0_8identityIhEEEEvT1_mT2_T3_
; %bb.0:
	s_load_dword s7, s[4:5], 0x20
	s_load_dwordx4 s[0:3], s[4:5], 0x0
	s_load_dwordx2 s[34:35], s[4:5], 0x10
	s_lshl_b32 s33, s6, 10
	s_waitcnt lgkmcnt(0)
	s_add_i32 s7, s7, -1
	s_add_u32 s0, s0, s33
	s_addc_u32 s1, s1, 0
	v_mov_b32_e32 v1, s1
	v_add_co_u32_e32 v2, vcc, s0, v0
	s_cmp_lg_u32 s6, s7
	v_addc_co_u32_e32 v3, vcc, 0, v1, vcc
	s_cbranch_scc0 .LBB12_2
; %bb.1:
	global_load_ubyte v1, v[2:3], off
	global_load_ubyte v5, v[2:3], off offset:64
	global_load_ubyte v8, v[2:3], off offset:128
	;; [unrolled: 1-line block ×15, first 2 shown]
	s_add_u32 s3, s34, s33
	s_addc_u32 s4, s35, 0
	v_mov_b32_e32 v7, s4
	v_add_co_u32_e32 v6, vcc, s3, v0
	v_addc_co_u32_e32 v7, vcc, 0, v7, vcc
	s_mov_b64 s[36:37], -1
	s_waitcnt vmcnt(15)
	global_store_byte v[6:7], v1, off
	s_waitcnt vmcnt(15)
	global_store_byte v[6:7], v5, off offset:64
	s_waitcnt vmcnt(15)
	global_store_byte v[6:7], v8, off offset:128
	;; [unrolled: 2-line block ×14, first 2 shown]
	s_cbranch_execz .LBB12_3
	s_branch .LBB12_68
.LBB12_2:
	s_mov_b64 s[36:37], 0
                                        ; implicit-def: $vgpr4
.LBB12_3:
	s_sub_i32 s30, s2, s33
	v_cmp_gt_u32_e32 vcc, s30, v0
                                        ; implicit-def: $vgpr1
	s_and_saveexec_b64 s[0:1], vcc
	s_cbranch_execz .LBB12_5
; %bb.4:
	global_load_ubyte v1, v[2:3], off
.LBB12_5:
	s_or_b64 exec, exec, s[0:1]
	s_waitcnt vmcnt(15)
	v_or_b32_e32 v4, 64, v0
	v_cmp_gt_u32_e64 s[0:1], s30, v4
                                        ; implicit-def: $vgpr4
	s_and_saveexec_b64 s[2:3], s[0:1]
	s_cbranch_execz .LBB12_7
; %bb.6:
	global_load_ubyte v4, v[2:3], off offset:64
.LBB12_7:
	s_or_b64 exec, exec, s[2:3]
	v_or_b32_e32 v5, 0x80, v0
	v_cmp_gt_u32_e64 s[2:3], s30, v5
                                        ; implicit-def: $vgpr5
	s_and_saveexec_b64 s[4:5], s[2:3]
	s_cbranch_execz .LBB12_9
; %bb.8:
	global_load_ubyte v5, v[2:3], off offset:128
.LBB12_9:
	s_or_b64 exec, exec, s[4:5]
	v_or_b32_e32 v6, 0xc0, v0
	v_cmp_gt_u32_e64 s[4:5], s30, v6
                                        ; implicit-def: $vgpr6
	s_and_saveexec_b64 s[6:7], s[4:5]
	s_cbranch_execz .LBB12_11
; %bb.10:
	global_load_ubyte v6, v[2:3], off offset:192
.LBB12_11:
	s_or_b64 exec, exec, s[6:7]
	v_or_b32_e32 v7, 0x100, v0
	v_cmp_gt_u32_e64 s[6:7], s30, v7
                                        ; implicit-def: $vgpr7
	s_and_saveexec_b64 s[8:9], s[6:7]
	s_cbranch_execz .LBB12_13
; %bb.12:
	global_load_ubyte v7, v[2:3], off offset:256
.LBB12_13:
	s_or_b64 exec, exec, s[8:9]
	v_or_b32_e32 v8, 0x140, v0
	v_cmp_gt_u32_e64 s[8:9], s30, v8
                                        ; implicit-def: $vgpr8
	s_and_saveexec_b64 s[10:11], s[8:9]
	s_cbranch_execz .LBB12_15
; %bb.14:
	global_load_ubyte v8, v[2:3], off offset:320
.LBB12_15:
	s_or_b64 exec, exec, s[10:11]
	v_or_b32_e32 v9, 0x180, v0
	v_cmp_gt_u32_e64 s[10:11], s30, v9
                                        ; implicit-def: $vgpr9
	s_and_saveexec_b64 s[12:13], s[10:11]
	s_cbranch_execz .LBB12_17
; %bb.16:
	global_load_ubyte v9, v[2:3], off offset:384
.LBB12_17:
	s_or_b64 exec, exec, s[12:13]
	v_or_b32_e32 v10, 0x1c0, v0
	v_cmp_gt_u32_e64 s[12:13], s30, v10
                                        ; implicit-def: $vgpr10
	s_and_saveexec_b64 s[14:15], s[12:13]
	s_cbranch_execz .LBB12_19
; %bb.18:
	global_load_ubyte v10, v[2:3], off offset:448
.LBB12_19:
	s_or_b64 exec, exec, s[14:15]
	v_or_b32_e32 v11, 0x200, v0
	v_cmp_gt_u32_e64 s[14:15], s30, v11
                                        ; implicit-def: $vgpr11
	s_and_saveexec_b64 s[16:17], s[14:15]
	s_cbranch_execz .LBB12_21
; %bb.20:
	global_load_ubyte v11, v[2:3], off offset:512
.LBB12_21:
	s_or_b64 exec, exec, s[16:17]
	v_or_b32_e32 v12, 0x240, v0
	v_cmp_gt_u32_e64 s[16:17], s30, v12
                                        ; implicit-def: $vgpr12
	s_and_saveexec_b64 s[18:19], s[16:17]
	s_cbranch_execz .LBB12_23
; %bb.22:
	global_load_ubyte v12, v[2:3], off offset:576
.LBB12_23:
	s_or_b64 exec, exec, s[18:19]
	v_or_b32_e32 v13, 0x280, v0
	v_cmp_gt_u32_e64 s[18:19], s30, v13
                                        ; implicit-def: $vgpr13
	s_and_saveexec_b64 s[20:21], s[18:19]
	s_cbranch_execz .LBB12_25
; %bb.24:
	global_load_ubyte v13, v[2:3], off offset:640
.LBB12_25:
	s_or_b64 exec, exec, s[20:21]
	v_or_b32_e32 v14, 0x2c0, v0
	v_cmp_gt_u32_e64 s[20:21], s30, v14
                                        ; implicit-def: $vgpr14
	s_and_saveexec_b64 s[22:23], s[20:21]
	s_cbranch_execz .LBB12_27
; %bb.26:
	global_load_ubyte v14, v[2:3], off offset:704
.LBB12_27:
	s_or_b64 exec, exec, s[22:23]
	v_or_b32_e32 v15, 0x300, v0
	v_cmp_gt_u32_e64 s[22:23], s30, v15
                                        ; implicit-def: $vgpr15
	s_and_saveexec_b64 s[24:25], s[22:23]
	s_cbranch_execz .LBB12_29
; %bb.28:
	global_load_ubyte v15, v[2:3], off offset:768
.LBB12_29:
	s_or_b64 exec, exec, s[24:25]
	v_or_b32_e32 v16, 0x340, v0
	v_cmp_gt_u32_e64 s[24:25], s30, v16
                                        ; implicit-def: $vgpr16
	s_and_saveexec_b64 s[26:27], s[24:25]
	s_cbranch_execz .LBB12_31
; %bb.30:
	global_load_ubyte v16, v[2:3], off offset:832
.LBB12_31:
	s_or_b64 exec, exec, s[26:27]
	v_or_b32_e32 v17, 0x380, v0
	v_cmp_gt_u32_e64 s[26:27], s30, v17
                                        ; implicit-def: $vgpr17
	s_and_saveexec_b64 s[28:29], s[26:27]
	s_cbranch_execz .LBB12_33
; %bb.32:
	global_load_ubyte v17, v[2:3], off offset:896
.LBB12_33:
	s_or_b64 exec, exec, s[28:29]
	v_or_b32_e32 v18, 0x3c0, v0
	v_cmp_gt_u32_e64 s[28:29], s30, v18
                                        ; implicit-def: $vgpr18
	s_and_saveexec_b64 s[30:31], s[28:29]
	s_cbranch_execz .LBB12_35
; %bb.34:
	global_load_ubyte v18, v[2:3], off offset:960
.LBB12_35:
	s_or_b64 exec, exec, s[30:31]
	s_waitcnt vmcnt(0)
	v_lshlrev_b16_e32 v2, 8, v4
	v_or_b32_sdwa v1, v1, v2 dst_sel:DWORD dst_unused:UNUSED_PAD src0_sel:BYTE_0 src1_sel:DWORD
	v_lshlrev_b16_e32 v2, 8, v6
	v_or_b32_sdwa v2, v5, v2 dst_sel:WORD_1 dst_unused:UNUSED_PAD src0_sel:BYTE_0 src1_sel:DWORD
	v_or_b32_sdwa v6, v1, v2 dst_sel:DWORD dst_unused:UNUSED_PAD src0_sel:WORD_0 src1_sel:DWORD
	v_lshlrev_b16_e32 v1, 8, v8
	v_lshlrev_b16_e32 v2, 8, v10
	v_or_b32_sdwa v1, v7, v1 dst_sel:DWORD dst_unused:UNUSED_PAD src0_sel:BYTE_0 src1_sel:DWORD
	v_or_b32_sdwa v2, v9, v2 dst_sel:WORD_1 dst_unused:UNUSED_PAD src0_sel:BYTE_0 src1_sel:DWORD
	v_or_b32_sdwa v5, v1, v2 dst_sel:DWORD dst_unused:UNUSED_PAD src0_sel:WORD_0 src1_sel:DWORD
	v_lshlrev_b16_e32 v1, 8, v12
	v_lshlrev_b16_e32 v2, 8, v14
	v_or_b32_sdwa v1, v11, v1 dst_sel:DWORD dst_unused:UNUSED_PAD src0_sel:BYTE_0 src1_sel:DWORD
	v_or_b32_sdwa v2, v13, v2 dst_sel:WORD_1 dst_unused:UNUSED_PAD src0_sel:BYTE_0 src1_sel:DWORD
	v_or_b32_sdwa v4, v1, v2 dst_sel:DWORD dst_unused:UNUSED_PAD src0_sel:WORD_0 src1_sel:DWORD
	v_lshlrev_b16_e32 v1, 8, v16
	v_lshlrev_b16_e32 v2, 8, v18
	s_add_u32 s30, s34, s33
	v_or_b32_sdwa v1, v15, v1 dst_sel:DWORD dst_unused:UNUSED_PAD src0_sel:BYTE_0 src1_sel:DWORD
	v_or_b32_sdwa v2, v17, v2 dst_sel:WORD_1 dst_unused:UNUSED_PAD src0_sel:BYTE_0 src1_sel:DWORD
	s_addc_u32 s31, s35, 0
	v_or_b32_sdwa v1, v1, v2 dst_sel:DWORD dst_unused:UNUSED_PAD src0_sel:WORD_0 src1_sel:DWORD
	v_mov_b32_e32 v3, s31
	v_add_co_u32_e64 v2, s[30:31], s30, v0
	v_addc_co_u32_e64 v3, s[30:31], 0, v3, s[30:31]
	s_and_saveexec_b64 s[30:31], vcc
	s_cbranch_execz .LBB12_37
; %bb.36:
	global_store_byte v[2:3], v6, off
.LBB12_37:
	s_or_b64 exec, exec, s[30:31]
	s_and_saveexec_b64 s[30:31], s[0:1]
	s_cbranch_execz .LBB12_39
; %bb.38:
	v_lshrrev_b32_e32 v7, 8, v6
	global_store_byte v[2:3], v7, off offset:64
.LBB12_39:
	s_or_b64 exec, exec, s[30:31]
	s_mov_b32 s0, 0x7060104
	v_perm_b32 v7, v6, v6, s0
	v_cndmask_b32_e64 v8, v7, v6, s[2:3]
	s_and_saveexec_b64 s[0:1], s[2:3]
	s_cbranch_execz .LBB12_41
; %bb.40:
	global_store_byte_d16_hi v[2:3], v8, off offset:128
.LBB12_41:
	s_or_b64 exec, exec, s[0:1]
	s_mov_b32 s0, 0x7020504
	v_perm_b32 v7, v7, v8, s0
	v_cndmask_b32_e64 v6, v7, v6, s[4:5]
	s_and_saveexec_b64 s[0:1], s[4:5]
	s_cbranch_execz .LBB12_43
; %bb.42:
	v_lshrrev_b32_e32 v6, 24, v6
	global_store_byte v[2:3], v6, off offset:192
.LBB12_43:
	s_or_b64 exec, exec, s[0:1]
	s_and_saveexec_b64 s[0:1], s[6:7]
	s_cbranch_execz .LBB12_45
; %bb.44:
	global_store_byte v[2:3], v5, off offset:256
.LBB12_45:
	s_or_b64 exec, exec, s[0:1]
	s_mov_b32 s0, 0x3020104
	v_perm_b32 v6, v5, v5, s0
	v_cndmask_b32_e64 v7, v6, v5, s[8:9]
	s_and_saveexec_b64 s[0:1], s[8:9]
	s_cbranch_execz .LBB12_47
; %bb.46:
	v_lshrrev_b32_e32 v8, 8, v7
	global_store_byte v[2:3], v8, off offset:320
.LBB12_47:
	s_or_b64 exec, exec, s[0:1]
	s_mov_b32 s0, 0x7060104
	v_perm_b32 v6, v6, v7, s0
	v_cndmask_b32_e64 v7, v6, v5, s[10:11]
	s_and_saveexec_b64 s[0:1], s[10:11]
	s_cbranch_execz .LBB12_49
; %bb.48:
	global_store_byte_d16_hi v[2:3], v7, off offset:384
.LBB12_49:
	s_or_b64 exec, exec, s[0:1]
	s_mov_b32 s0, 0x7020504
	v_perm_b32 v6, v6, v7, s0
	v_cndmask_b32_e64 v5, v6, v5, s[12:13]
	s_and_saveexec_b64 s[0:1], s[12:13]
	s_cbranch_execz .LBB12_51
; %bb.50:
	v_lshrrev_b32_e32 v5, 24, v5
	global_store_byte v[2:3], v5, off offset:448
.LBB12_51:
	s_or_b64 exec, exec, s[0:1]
	s_and_saveexec_b64 s[0:1], s[14:15]
	s_cbranch_execz .LBB12_53
; %bb.52:
	global_store_byte v[2:3], v4, off offset:512
.LBB12_53:
	s_or_b64 exec, exec, s[0:1]
	s_mov_b32 s0, 0x3020104
	v_perm_b32 v5, v4, v4, s0
	v_cndmask_b32_e64 v6, v5, v4, s[16:17]
	;; [unrolled: 35-line block ×3, first 2 shown]
	s_and_saveexec_b64 s[0:1], s[24:25]
	s_cbranch_execz .LBB12_63
; %bb.62:
	v_lshrrev_b32_e32 v6, 8, v5
	global_store_byte v[2:3], v6, off offset:832
.LBB12_63:
	s_or_b64 exec, exec, s[0:1]
	s_mov_b32 s0, 0x7060104
	v_perm_b32 v5, v4, v5, s0
	s_and_saveexec_b64 s[0:1], s[26:27]
	s_cbranch_execz .LBB12_65
; %bb.64:
	v_cndmask_b32_e64 v4, v5, v1, s[26:27]
	global_store_byte_d16_hi v[2:3], v4, off offset:896
.LBB12_65:
	s_or_b64 exec, exec, s[0:1]
                                        ; implicit-def: $vgpr4
	s_and_saveexec_b64 s[0:1], s[28:29]
; %bb.66:
	v_cndmask_b32_e64 v1, v5, v1, s[28:29]
	v_lshrrev_b32_e32 v4, 24, v1
	s_or_b64 s[36:37], s[36:37], exec
; %bb.67:
	s_or_b64 exec, exec, s[0:1]
.LBB12_68:
	s_and_saveexec_b64 s[0:1], s[36:37]
	s_cbranch_execnz .LBB12_70
; %bb.69:
	s_endpgm
.LBB12_70:
	s_add_u32 s0, s34, s33
	s_addc_u32 s1, s35, 0
	v_mov_b32_e32 v1, s1
	v_add_co_u32_e32 v0, vcc, s0, v0
	v_addc_co_u32_e32 v1, vcc, 0, v1, vcc
	s_waitcnt vmcnt(15)
	global_store_byte v[0:1], v4, off offset:960
	s_endpgm
	.section	.rodata,"a",@progbits
	.p2align	6, 0x0
	.amdhsa_kernel _ZN7rocprim17ROCPRIM_304000_NS6detail16transform_kernelINS1_24wrapped_transform_configINS0_14default_configEhEEhPKhPhNS0_8identityIhEEEEvT1_mT2_T3_
		.amdhsa_group_segment_fixed_size 0
		.amdhsa_private_segment_fixed_size 0
		.amdhsa_kernarg_size 288
		.amdhsa_user_sgpr_count 6
		.amdhsa_user_sgpr_private_segment_buffer 1
		.amdhsa_user_sgpr_dispatch_ptr 0
		.amdhsa_user_sgpr_queue_ptr 0
		.amdhsa_user_sgpr_kernarg_segment_ptr 1
		.amdhsa_user_sgpr_dispatch_id 0
		.amdhsa_user_sgpr_flat_scratch_init 0
		.amdhsa_user_sgpr_kernarg_preload_length 0
		.amdhsa_user_sgpr_kernarg_preload_offset 0
		.amdhsa_user_sgpr_private_segment_size 0
		.amdhsa_uses_dynamic_stack 0
		.amdhsa_system_sgpr_private_segment_wavefront_offset 0
		.amdhsa_system_sgpr_workgroup_id_x 1
		.amdhsa_system_sgpr_workgroup_id_y 0
		.amdhsa_system_sgpr_workgroup_id_z 0
		.amdhsa_system_sgpr_workgroup_info 0
		.amdhsa_system_vgpr_workitem_id 0
		.amdhsa_next_free_vgpr 21
		.amdhsa_next_free_sgpr 38
		.amdhsa_accum_offset 24
		.amdhsa_reserve_vcc 1
		.amdhsa_reserve_flat_scratch 0
		.amdhsa_float_round_mode_32 0
		.amdhsa_float_round_mode_16_64 0
		.amdhsa_float_denorm_mode_32 3
		.amdhsa_float_denorm_mode_16_64 3
		.amdhsa_dx10_clamp 1
		.amdhsa_ieee_mode 1
		.amdhsa_fp16_overflow 0
		.amdhsa_tg_split 0
		.amdhsa_exception_fp_ieee_invalid_op 0
		.amdhsa_exception_fp_denorm_src 0
		.amdhsa_exception_fp_ieee_div_zero 0
		.amdhsa_exception_fp_ieee_overflow 0
		.amdhsa_exception_fp_ieee_underflow 0
		.amdhsa_exception_fp_ieee_inexact 0
		.amdhsa_exception_int_div_zero 0
	.end_amdhsa_kernel
	.section	.text._ZN7rocprim17ROCPRIM_304000_NS6detail16transform_kernelINS1_24wrapped_transform_configINS0_14default_configEhEEhPKhPhNS0_8identityIhEEEEvT1_mT2_T3_,"axG",@progbits,_ZN7rocprim17ROCPRIM_304000_NS6detail16transform_kernelINS1_24wrapped_transform_configINS0_14default_configEhEEhPKhPhNS0_8identityIhEEEEvT1_mT2_T3_,comdat
.Lfunc_end12:
	.size	_ZN7rocprim17ROCPRIM_304000_NS6detail16transform_kernelINS1_24wrapped_transform_configINS0_14default_configEhEEhPKhPhNS0_8identityIhEEEEvT1_mT2_T3_, .Lfunc_end12-_ZN7rocprim17ROCPRIM_304000_NS6detail16transform_kernelINS1_24wrapped_transform_configINS0_14default_configEhEEhPKhPhNS0_8identityIhEEEEvT1_mT2_T3_
                                        ; -- End function
	.section	.AMDGPU.csdata,"",@progbits
; Kernel info:
; codeLenInByte = 1776
; NumSgprs: 42
; NumVgprs: 21
; NumAgprs: 0
; TotalNumVgprs: 21
; ScratchSize: 0
; MemoryBound: 0
; FloatMode: 240
; IeeeMode: 1
; LDSByteSize: 0 bytes/workgroup (compile time only)
; SGPRBlocks: 5
; VGPRBlocks: 2
; NumSGPRsForWavesPerEU: 42
; NumVGPRsForWavesPerEU: 21
; AccumOffset: 24
; Occupancy: 8
; WaveLimiterHint : 0
; COMPUTE_PGM_RSRC2:SCRATCH_EN: 0
; COMPUTE_PGM_RSRC2:USER_SGPR: 6
; COMPUTE_PGM_RSRC2:TRAP_HANDLER: 0
; COMPUTE_PGM_RSRC2:TGID_X_EN: 1
; COMPUTE_PGM_RSRC2:TGID_Y_EN: 0
; COMPUTE_PGM_RSRC2:TGID_Z_EN: 0
; COMPUTE_PGM_RSRC2:TIDIG_COMP_CNT: 0
; COMPUTE_PGM_RSRC3_GFX90A:ACCUM_OFFSET: 5
; COMPUTE_PGM_RSRC3_GFX90A:TG_SPLIT: 0
	.section	.text._ZN7rocprim17ROCPRIM_304000_NS6detail16transform_kernelINS1_24wrapped_transform_configINS0_14default_configEN2at4cuda3cub6detail10OpaqueTypeILi8EEEEESA_PKSA_PSA_NS0_8identityISA_EEEEvT1_mT2_T3_,"axG",@progbits,_ZN7rocprim17ROCPRIM_304000_NS6detail16transform_kernelINS1_24wrapped_transform_configINS0_14default_configEN2at4cuda3cub6detail10OpaqueTypeILi8EEEEESA_PKSA_PSA_NS0_8identityISA_EEEEvT1_mT2_T3_,comdat
	.protected	_ZN7rocprim17ROCPRIM_304000_NS6detail16transform_kernelINS1_24wrapped_transform_configINS0_14default_configEN2at4cuda3cub6detail10OpaqueTypeILi8EEEEESA_PKSA_PSA_NS0_8identityISA_EEEEvT1_mT2_T3_ ; -- Begin function _ZN7rocprim17ROCPRIM_304000_NS6detail16transform_kernelINS1_24wrapped_transform_configINS0_14default_configEN2at4cuda3cub6detail10OpaqueTypeILi8EEEEESA_PKSA_PSA_NS0_8identityISA_EEEEvT1_mT2_T3_
	.globl	_ZN7rocprim17ROCPRIM_304000_NS6detail16transform_kernelINS1_24wrapped_transform_configINS0_14default_configEN2at4cuda3cub6detail10OpaqueTypeILi8EEEEESA_PKSA_PSA_NS0_8identityISA_EEEEvT1_mT2_T3_
	.p2align	8
	.type	_ZN7rocprim17ROCPRIM_304000_NS6detail16transform_kernelINS1_24wrapped_transform_configINS0_14default_configEN2at4cuda3cub6detail10OpaqueTypeILi8EEEEESA_PKSA_PSA_NS0_8identityISA_EEEEvT1_mT2_T3_,@function
_ZN7rocprim17ROCPRIM_304000_NS6detail16transform_kernelINS1_24wrapped_transform_configINS0_14default_configEN2at4cuda3cub6detail10OpaqueTypeILi8EEEEESA_PKSA_PSA_NS0_8identityISA_EEEEvT1_mT2_T3_: ; @_ZN7rocprim17ROCPRIM_304000_NS6detail16transform_kernelINS1_24wrapped_transform_configINS0_14default_configEN2at4cuda3cub6detail10OpaqueTypeILi8EEEEESA_PKSA_PSA_NS0_8identityISA_EEEEvT1_mT2_T3_
; %bb.0:
	s_load_dword s7, s[4:5], 0x20
	s_load_dwordx4 s[0:3], s[4:5], 0x0
	s_load_dwordx2 s[8:9], s[4:5], 0x10
	s_lshl_b32 s10, s6, 9
	s_mov_b32 s11, 0
	s_waitcnt lgkmcnt(0)
	s_add_i32 s7, s7, -1
	s_lshl_b64 s[4:5], s[10:11], 3
	s_add_u32 s0, s0, s4
	s_addc_u32 s1, s1, s5
	v_lshlrev_b32_e32 v1, 3, v0
	v_mov_b32_e32 v2, s1
	v_add_co_u32_e32 v4, vcc, s0, v1
	s_cmp_lg_u32 s6, s7
	v_addc_co_u32_e32 v5, vcc, 0, v2, vcc
	s_cbranch_scc0 .LBB13_2
; %bb.1:
	global_load_dwordx2 v[6:7], v[4:5], off
	global_load_dwordx2 v[2:3], v[4:5], off offset:2048
	s_add_u32 s0, s8, s4
	s_addc_u32 s1, s9, s5
	s_waitcnt vmcnt(1)
	global_store_dwordx2 v1, v[6:7], s[0:1]
	s_mov_b64 s[0:1], -1
	s_cbranch_execz .LBB13_3
	s_branch .LBB13_10
.LBB13_2:
	s_mov_b64 s[0:1], 0
                                        ; implicit-def: $vgpr2_vgpr3
.LBB13_3:
	s_sub_i32 s2, s2, s10
	v_cmp_gt_u32_e32 vcc, s2, v0
                                        ; implicit-def: $vgpr6_vgpr7
	s_and_saveexec_b64 s[0:1], vcc
	s_cbranch_execz .LBB13_5
; %bb.4:
	global_load_dwordx2 v[6:7], v[4:5], off
.LBB13_5:
	s_or_b64 exec, exec, s[0:1]
	v_or_b32_e32 v0, 0x100, v0
	v_cmp_gt_u32_e64 s[0:1], s2, v0
                                        ; implicit-def: $vgpr2_vgpr3
	s_and_saveexec_b64 s[2:3], s[0:1]
	s_cbranch_execz .LBB13_7
; %bb.6:
	global_load_dwordx2 v[2:3], v[4:5], off offset:2048
.LBB13_7:
	s_or_b64 exec, exec, s[2:3]
	s_and_saveexec_b64 s[2:3], vcc
	s_xor_b64 s[2:3], exec, s[2:3]
	s_cbranch_execz .LBB13_9
; %bb.8:
	s_add_u32 s6, s8, s4
	s_addc_u32 s7, s9, s5
	s_waitcnt vmcnt(0)
	global_store_dwordx2 v1, v[6:7], s[6:7]
.LBB13_9:
	s_or_b64 exec, exec, s[2:3]
.LBB13_10:
	s_and_saveexec_b64 s[2:3], s[0:1]
	s_cbranch_execnz .LBB13_12
; %bb.11:
	s_endpgm
.LBB13_12:
	s_add_u32 s0, s8, s4
	s_addc_u32 s1, s9, s5
	s_waitcnt vmcnt(0)
	global_store_dwordx2 v1, v[2:3], s[0:1] offset:2048
	s_endpgm
	.section	.rodata,"a",@progbits
	.p2align	6, 0x0
	.amdhsa_kernel _ZN7rocprim17ROCPRIM_304000_NS6detail16transform_kernelINS1_24wrapped_transform_configINS0_14default_configEN2at4cuda3cub6detail10OpaqueTypeILi8EEEEESA_PKSA_PSA_NS0_8identityISA_EEEEvT1_mT2_T3_
		.amdhsa_group_segment_fixed_size 0
		.amdhsa_private_segment_fixed_size 0
		.amdhsa_kernarg_size 288
		.amdhsa_user_sgpr_count 6
		.amdhsa_user_sgpr_private_segment_buffer 1
		.amdhsa_user_sgpr_dispatch_ptr 0
		.amdhsa_user_sgpr_queue_ptr 0
		.amdhsa_user_sgpr_kernarg_segment_ptr 1
		.amdhsa_user_sgpr_dispatch_id 0
		.amdhsa_user_sgpr_flat_scratch_init 0
		.amdhsa_user_sgpr_kernarg_preload_length 0
		.amdhsa_user_sgpr_kernarg_preload_offset 0
		.amdhsa_user_sgpr_private_segment_size 0
		.amdhsa_uses_dynamic_stack 0
		.amdhsa_system_sgpr_private_segment_wavefront_offset 0
		.amdhsa_system_sgpr_workgroup_id_x 1
		.amdhsa_system_sgpr_workgroup_id_y 0
		.amdhsa_system_sgpr_workgroup_id_z 0
		.amdhsa_system_sgpr_workgroup_info 0
		.amdhsa_system_vgpr_workitem_id 0
		.amdhsa_next_free_vgpr 8
		.amdhsa_next_free_sgpr 12
		.amdhsa_accum_offset 8
		.amdhsa_reserve_vcc 1
		.amdhsa_reserve_flat_scratch 0
		.amdhsa_float_round_mode_32 0
		.amdhsa_float_round_mode_16_64 0
		.amdhsa_float_denorm_mode_32 3
		.amdhsa_float_denorm_mode_16_64 3
		.amdhsa_dx10_clamp 1
		.amdhsa_ieee_mode 1
		.amdhsa_fp16_overflow 0
		.amdhsa_tg_split 0
		.amdhsa_exception_fp_ieee_invalid_op 0
		.amdhsa_exception_fp_denorm_src 0
		.amdhsa_exception_fp_ieee_div_zero 0
		.amdhsa_exception_fp_ieee_overflow 0
		.amdhsa_exception_fp_ieee_underflow 0
		.amdhsa_exception_fp_ieee_inexact 0
		.amdhsa_exception_int_div_zero 0
	.end_amdhsa_kernel
	.section	.text._ZN7rocprim17ROCPRIM_304000_NS6detail16transform_kernelINS1_24wrapped_transform_configINS0_14default_configEN2at4cuda3cub6detail10OpaqueTypeILi8EEEEESA_PKSA_PSA_NS0_8identityISA_EEEEvT1_mT2_T3_,"axG",@progbits,_ZN7rocprim17ROCPRIM_304000_NS6detail16transform_kernelINS1_24wrapped_transform_configINS0_14default_configEN2at4cuda3cub6detail10OpaqueTypeILi8EEEEESA_PKSA_PSA_NS0_8identityISA_EEEEvT1_mT2_T3_,comdat
.Lfunc_end13:
	.size	_ZN7rocprim17ROCPRIM_304000_NS6detail16transform_kernelINS1_24wrapped_transform_configINS0_14default_configEN2at4cuda3cub6detail10OpaqueTypeILi8EEEEESA_PKSA_PSA_NS0_8identityISA_EEEEvT1_mT2_T3_, .Lfunc_end13-_ZN7rocprim17ROCPRIM_304000_NS6detail16transform_kernelINS1_24wrapped_transform_configINS0_14default_configEN2at4cuda3cub6detail10OpaqueTypeILi8EEEEESA_PKSA_PSA_NS0_8identityISA_EEEEvT1_mT2_T3_
                                        ; -- End function
	.section	.AMDGPU.csdata,"",@progbits
; Kernel info:
; codeLenInByte = 264
; NumSgprs: 16
; NumVgprs: 8
; NumAgprs: 0
; TotalNumVgprs: 8
; ScratchSize: 0
; MemoryBound: 0
; FloatMode: 240
; IeeeMode: 1
; LDSByteSize: 0 bytes/workgroup (compile time only)
; SGPRBlocks: 1
; VGPRBlocks: 0
; NumSGPRsForWavesPerEU: 16
; NumVGPRsForWavesPerEU: 8
; AccumOffset: 8
; Occupancy: 8
; WaveLimiterHint : 1
; COMPUTE_PGM_RSRC2:SCRATCH_EN: 0
; COMPUTE_PGM_RSRC2:USER_SGPR: 6
; COMPUTE_PGM_RSRC2:TRAP_HANDLER: 0
; COMPUTE_PGM_RSRC2:TGID_X_EN: 1
; COMPUTE_PGM_RSRC2:TGID_Y_EN: 0
; COMPUTE_PGM_RSRC2:TGID_Z_EN: 0
; COMPUTE_PGM_RSRC2:TIDIG_COMP_CNT: 0
; COMPUTE_PGM_RSRC3_GFX90A:ACCUM_OFFSET: 1
; COMPUTE_PGM_RSRC3_GFX90A:TG_SPLIT: 0
	.section	.text._ZN7rocprim17ROCPRIM_304000_NS6detail25onesweep_iteration_kernelINS1_34wrapped_radix_sort_onesweep_configINS0_14default_configEhN2at4cuda3cub6detail10OpaqueTypeILi8EEEEELb1EPKhPhPKSA_PSA_mNS0_19identity_decomposerEEEvT1_T2_T3_T4_jPT5_SO_PNS1_23onesweep_lookback_stateET6_jjj,"axG",@progbits,_ZN7rocprim17ROCPRIM_304000_NS6detail25onesweep_iteration_kernelINS1_34wrapped_radix_sort_onesweep_configINS0_14default_configEhN2at4cuda3cub6detail10OpaqueTypeILi8EEEEELb1EPKhPhPKSA_PSA_mNS0_19identity_decomposerEEEvT1_T2_T3_T4_jPT5_SO_PNS1_23onesweep_lookback_stateET6_jjj,comdat
	.protected	_ZN7rocprim17ROCPRIM_304000_NS6detail25onesweep_iteration_kernelINS1_34wrapped_radix_sort_onesweep_configINS0_14default_configEhN2at4cuda3cub6detail10OpaqueTypeILi8EEEEELb1EPKhPhPKSA_PSA_mNS0_19identity_decomposerEEEvT1_T2_T3_T4_jPT5_SO_PNS1_23onesweep_lookback_stateET6_jjj ; -- Begin function _ZN7rocprim17ROCPRIM_304000_NS6detail25onesweep_iteration_kernelINS1_34wrapped_radix_sort_onesweep_configINS0_14default_configEhN2at4cuda3cub6detail10OpaqueTypeILi8EEEEELb1EPKhPhPKSA_PSA_mNS0_19identity_decomposerEEEvT1_T2_T3_T4_jPT5_SO_PNS1_23onesweep_lookback_stateET6_jjj
	.globl	_ZN7rocprim17ROCPRIM_304000_NS6detail25onesweep_iteration_kernelINS1_34wrapped_radix_sort_onesweep_configINS0_14default_configEhN2at4cuda3cub6detail10OpaqueTypeILi8EEEEELb1EPKhPhPKSA_PSA_mNS0_19identity_decomposerEEEvT1_T2_T3_T4_jPT5_SO_PNS1_23onesweep_lookback_stateET6_jjj
	.p2align	8
	.type	_ZN7rocprim17ROCPRIM_304000_NS6detail25onesweep_iteration_kernelINS1_34wrapped_radix_sort_onesweep_configINS0_14default_configEhN2at4cuda3cub6detail10OpaqueTypeILi8EEEEELb1EPKhPhPKSA_PSA_mNS0_19identity_decomposerEEEvT1_T2_T3_T4_jPT5_SO_PNS1_23onesweep_lookback_stateET6_jjj,@function
_ZN7rocprim17ROCPRIM_304000_NS6detail25onesweep_iteration_kernelINS1_34wrapped_radix_sort_onesweep_configINS0_14default_configEhN2at4cuda3cub6detail10OpaqueTypeILi8EEEEELb1EPKhPhPKSA_PSA_mNS0_19identity_decomposerEEEvT1_T2_T3_T4_jPT5_SO_PNS1_23onesweep_lookback_stateET6_jjj: ; @_ZN7rocprim17ROCPRIM_304000_NS6detail25onesweep_iteration_kernelINS1_34wrapped_radix_sort_onesweep_configINS0_14default_configEhN2at4cuda3cub6detail10OpaqueTypeILi8EEEEELb1EPKhPhPKSA_PSA_mNS0_19identity_decomposerEEEvT1_T2_T3_T4_jPT5_SO_PNS1_23onesweep_lookback_stateET6_jjj
; %bb.0:
	s_load_dwordx4 s[48:51], s[4:5], 0x44
	s_load_dwordx8 s[36:43], s[4:5], 0x0
	s_load_dwordx4 s[44:47], s[4:5], 0x28
	s_load_dwordx2 s[34:35], s[4:5], 0x38
	s_mul_i32 s30, s6, 0xc00
	s_waitcnt lgkmcnt(0)
	s_cmp_ge_u32 s6, s50
	v_mbcnt_lo_u32_b32 v1, -1, 0
	s_cbranch_scc0 .LBB14_86
; %bb.1:
	s_load_dword s0, s[4:5], 0x20
	s_mul_i32 s33, s50, 0xfffff400
	v_and_b32_e32 v2, 0x3ff, v0
	v_mbcnt_hi_u32_b32 v6, -1, v1
	v_and_b32_e32 v3, 0x1c0, v2
	s_waitcnt lgkmcnt(0)
	s_add_i32 s33, s33, s0
	s_add_u32 s0, s36, s30
	s_addc_u32 s1, s37, 0
	v_mov_b32_e32 v5, s1
	v_add_co_u32_e32 v7, vcc, s0, v6
	v_mul_u32_u24_e32 v4, 6, v3
	v_addc_co_u32_e32 v5, vcc, 0, v5, vcc
	s_mov_b32 s31, 0
	v_add_co_u32_e32 v10, vcc, v7, v4
	v_addc_co_u32_e32 v11, vcc, 0, v5, vcc
	v_or_b32_e32 v5, v6, v4
	s_mov_b32 s0, s31
	s_mov_b32 s1, s31
	v_cmp_gt_u32_e32 vcc, s33, v5
	v_pk_mov_b32 v[8:9], s[0:1], s[0:1] op_sel:[0,1]
	s_and_saveexec_b64 s[0:1], vcc
	s_cbranch_execz .LBB14_3
; %bb.2:
	global_load_ubyte v7, v[10:11], off
	v_mov_b32_e32 v9, s31
	s_waitcnt vmcnt(0)
	v_and_b32_e32 v8, 0xffff, v7
.LBB14_3:
	s_or_b64 exec, exec, s[0:1]
	v_add_u32_e32 v7, 64, v5
	v_cmp_gt_u32_e64 s[0:1], s33, v7
	s_and_saveexec_b64 s[2:3], s[0:1]
	s_cbranch_execz .LBB14_5
; %bb.4:
	global_load_ubyte v7, v[10:11], off offset:64
	s_movk_i32 s7, 0xff
	v_lshrrev_b32_e32 v12, 24, v8
	v_mov_b32_e32 v13, 8
	v_lshlrev_b16_e32 v12, 8, v12
	v_and_b32_sdwa v14, v8, s7 dst_sel:DWORD dst_unused:UNUSED_PAD src0_sel:WORD_1 src1_sel:DWORD
	v_lshrrev_b32_sdwa v13, v13, v9 dst_sel:BYTE_1 dst_unused:UNUSED_PAD src0_sel:DWORD src1_sel:DWORD
	v_or_b32_sdwa v12, v14, v12 dst_sel:WORD_1 dst_unused:UNUSED_PAD src0_sel:DWORD src1_sel:DWORD
	v_or_b32_sdwa v9, v9, v13 dst_sel:DWORD dst_unused:UNUSED_PAD src0_sel:BYTE_0 src1_sel:DWORD
	v_and_b32_e32 v9, 0xffff, v9
	s_waitcnt vmcnt(0)
	v_lshlrev_b16_e32 v7, 8, v7
	v_or_b32_sdwa v7, v8, v7 dst_sel:DWORD dst_unused:UNUSED_PAD src0_sel:BYTE_0 src1_sel:DWORD
	v_or_b32_sdwa v8, v7, v12 dst_sel:DWORD dst_unused:UNUSED_PAD src0_sel:WORD_0 src1_sel:DWORD
.LBB14_5:
	s_or_b64 exec, exec, s[2:3]
	v_add_u32_e32 v7, 0x80, v5
	v_cmp_gt_u32_e64 s[2:3], s33, v7
	s_and_saveexec_b64 s[8:9], s[2:3]
	s_cbranch_execz .LBB14_7
; %bb.6:
	global_load_ubyte v7, v[10:11], off offset:128
	v_mov_b32_e32 v12, 8
	v_lshrrev_b32_sdwa v13, v12, v9 dst_sel:BYTE_1 dst_unused:UNUSED_PAD src0_sel:DWORD src1_sel:DWORD
	v_lshrrev_b32_sdwa v12, v12, v8 dst_sel:BYTE_1 dst_unused:UNUSED_PAD src0_sel:DWORD src1_sel:DWORD
	v_or_b32_sdwa v12, v8, v12 dst_sel:DWORD dst_unused:UNUSED_PAD src0_sel:BYTE_0 src1_sel:DWORD
	v_lshrrev_b32_e32 v8, 24, v8
	v_lshlrev_b16_e32 v8, 8, v8
	v_or_b32_sdwa v9, v9, v13 dst_sel:DWORD dst_unused:UNUSED_PAD src0_sel:BYTE_0 src1_sel:DWORD
	v_and_b32_e32 v9, 0xffff, v9
	s_waitcnt vmcnt(0)
	v_or_b32_sdwa v7, v7, v8 dst_sel:WORD_1 dst_unused:UNUSED_PAD src0_sel:DWORD src1_sel:DWORD
	v_or_b32_sdwa v8, v12, v7 dst_sel:DWORD dst_unused:UNUSED_PAD src0_sel:WORD_0 src1_sel:DWORD
.LBB14_7:
	s_or_b64 exec, exec, s[8:9]
	v_add_u32_e32 v7, 0xc0, v5
	v_cmp_gt_u32_e64 s[26:27], s33, v7
	s_and_saveexec_b64 s[8:9], s[26:27]
	s_cbranch_execz .LBB14_9
; %bb.8:
	global_load_ubyte v7, v[10:11], off offset:192
	s_movk_i32 s7, 0xff
	v_mov_b32_e32 v12, 8
	v_lshrrev_b32_sdwa v13, v12, v8 dst_sel:BYTE_1 dst_unused:UNUSED_PAD src0_sel:DWORD src1_sel:DWORD
	v_and_b32_sdwa v14, v8, s7 dst_sel:DWORD dst_unused:UNUSED_PAD src0_sel:WORD_1 src1_sel:DWORD
	v_lshrrev_b32_sdwa v12, v12, v9 dst_sel:BYTE_1 dst_unused:UNUSED_PAD src0_sel:DWORD src1_sel:DWORD
	v_or_b32_sdwa v8, v8, v13 dst_sel:DWORD dst_unused:UNUSED_PAD src0_sel:BYTE_0 src1_sel:DWORD
	v_or_b32_sdwa v9, v9, v12 dst_sel:DWORD dst_unused:UNUSED_PAD src0_sel:BYTE_0 src1_sel:DWORD
	v_and_b32_e32 v9, 0xffff, v9
	s_waitcnt vmcnt(0)
	v_lshlrev_b16_e32 v7, 8, v7
	v_or_b32_sdwa v7, v14, v7 dst_sel:WORD_1 dst_unused:UNUSED_PAD src0_sel:DWORD src1_sel:DWORD
	v_or_b32_sdwa v8, v8, v7 dst_sel:DWORD dst_unused:UNUSED_PAD src0_sel:WORD_0 src1_sel:DWORD
.LBB14_9:
	s_or_b64 exec, exec, s[8:9]
	v_add_u32_e32 v7, 0x100, v5
	v_cmp_gt_u32_e64 s[8:9], s33, v7
	s_and_saveexec_b64 s[10:11], s[8:9]
	s_cbranch_execz .LBB14_11
; %bb.10:
	global_load_ubyte v7, v[10:11], off offset:256
	v_mov_b32_e32 v12, 8
	v_lshrrev_b32_sdwa v9, v12, v9 dst_sel:BYTE_1 dst_unused:UNUSED_PAD src0_sel:DWORD src1_sel:DWORD
	s_mov_b32 s7, 0x3020104
	v_perm_b32 v8, v8, v8, s7
	s_waitcnt vmcnt(0)
	v_or_b32_e32 v7, v7, v9
	v_and_b32_e32 v9, 0xffff, v7
.LBB14_11:
	s_or_b64 exec, exec, s[10:11]
	v_add_u32_e32 v5, 0x140, v5
	v_cmp_gt_u32_e64 s[10:11], s33, v5
	s_and_saveexec_b64 s[12:13], s[10:11]
	s_cbranch_execz .LBB14_13
; %bb.12:
	global_load_ubyte v5, v[10:11], off offset:320
	s_mov_b32 s7, 0x3020104
	v_perm_b32 v8, v8, v8, s7
	s_waitcnt vmcnt(0)
	v_lshlrev_b16_e32 v5, 8, v5
	v_or_b32_sdwa v5, v9, v5 dst_sel:DWORD dst_unused:UNUSED_PAD src0_sel:BYTE_0 src1_sel:DWORD
	v_and_b32_e32 v9, 0xffff, v5
.LBB14_13:
	s_or_b64 exec, exec, s[12:13]
	s_load_dword s12, s[4:5], 0x5c
	s_load_dword s7, s[4:5], 0x50
	s_add_u32 s13, s4, 0x50
	s_addc_u32 s14, s5, 0
	v_mov_b32_e32 v10, 0
	s_waitcnt lgkmcnt(0)
	s_lshr_b32 s15, s12, 16
	s_cmp_lt_u32 s6, s7
	s_cselect_b32 s12, 12, 18
	s_add_u32 s12, s13, s12
	s_addc_u32 s13, s14, 0
	global_load_ushort v12, v10, s[12:13]
	v_xor_b32_e32 v5, -1, v8
	s_lshl_b32 s12, -1, s49
	v_lshrrev_b32_sdwa v14, s48, v5 dst_sel:DWORD dst_unused:UNUSED_PAD src0_sel:DWORD src1_sel:BYTE_0
	s_not_b32 s52, s12
	v_and_b32_e32 v14, s52, v14
	v_and_b32_e32 v16, 1, v14
	v_bfe_u32 v11, v0, 10, 10
	v_bfe_u32 v13, v0, 20, 10
	v_add_co_u32_e64 v17, s[12:13], -1, v16
	v_mad_u32_u24 v13, v13, s15, v11
	v_lshlrev_b32_e32 v11, 30, v14
	v_addc_co_u32_e64 v18, s[12:13], 0, -1, s[12:13]
	v_cmp_ne_u32_e64 s[12:13], 0, v16
	v_cmp_gt_i64_e64 s[14:15], 0, v[10:11]
	v_not_b32_e32 v16, v11
	v_lshlrev_b32_e32 v11, 29, v14
	v_xor_b32_e32 v18, s13, v18
	v_xor_b32_e32 v17, s12, v17
	v_ashrrev_i32_e32 v16, 31, v16
	v_cmp_gt_i64_e64 s[12:13], 0, v[10:11]
	v_not_b32_e32 v19, v11
	v_lshlrev_b32_e32 v11, 28, v14
	v_and_b32_e32 v18, exec_hi, v18
	v_and_b32_e32 v17, exec_lo, v17
	v_xor_b32_e32 v20, s15, v16
	v_xor_b32_e32 v16, s14, v16
	v_ashrrev_i32_e32 v19, 31, v19
	v_cmp_gt_i64_e64 s[14:15], 0, v[10:11]
	v_not_b32_e32 v21, v11
	v_lshlrev_b32_e32 v11, 27, v14
	v_and_b32_e32 v18, v18, v20
	v_and_b32_e32 v16, v17, v16
	v_xor_b32_e32 v17, s13, v19
	v_xor_b32_e32 v19, s12, v19
	v_ashrrev_i32_e32 v20, 31, v21
	v_cmp_gt_i64_e64 s[12:13], 0, v[10:11]
	v_not_b32_e32 v21, v11
	v_lshlrev_b32_e32 v11, 26, v14
	v_and_b32_e32 v17, v18, v17
	v_and_b32_e32 v16, v16, v19
	;; [unrolled: 8-line block ×3, first 2 shown]
	v_xor_b32_e32 v18, s13, v20
	v_xor_b32_e32 v19, s12, v20
	v_ashrrev_i32_e32 v20, 31, v21
	v_cmp_gt_i64_e64 s[12:13], 0, v[10:11]
	v_not_b32_e32 v21, v11
	v_lshlrev_b32_e32 v11, 24, v14
	v_mul_u32_u24_e32 v15, 9, v14
	v_and_b32_e32 v14, v17, v18
	v_and_b32_e32 v16, v16, v19
	v_xor_b32_e32 v17, s15, v20
	v_xor_b32_e32 v18, s14, v20
	v_ashrrev_i32_e32 v19, 31, v21
	v_cmp_gt_i64_e64 s[14:15], 0, v[10:11]
	v_not_b32_e32 v11, v11
	v_and_b32_e32 v14, v14, v17
	v_and_b32_e32 v16, v16, v18
	v_xor_b32_e32 v17, s13, v19
	v_xor_b32_e32 v18, s12, v19
	v_ashrrev_i32_e32 v11, 31, v11
	v_and_b32_e32 v14, v14, v17
	v_and_b32_e32 v16, v16, v18
	v_mul_u32_u24_e32 v7, 5, v2
	v_lshlrev_b32_e32 v7, 2, v7
	ds_write2_b32 v7, v10, v10 offset0:8 offset1:9
	ds_write2_b32 v7, v10, v10 offset0:10 offset1:11
	ds_write_b32 v7, v10 offset:48
	s_waitcnt lgkmcnt(0)
	s_barrier
	s_waitcnt lgkmcnt(0)
	; wave barrier
	s_waitcnt vmcnt(0)
	v_mad_u64_u32 v[12:13], s[12:13], v13, v12, v[2:3]
	v_lshrrev_b32_e32 v26, 6, v12
	v_xor_b32_e32 v12, s15, v11
	v_xor_b32_e32 v11, s14, v11
	v_and_b32_e32 v13, v14, v12
	v_and_b32_e32 v12, v16, v11
	v_mbcnt_lo_u32_b32 v11, v12, 0
	v_mbcnt_hi_u32_b32 v14, v13, v11
	v_cmp_eq_u32_e64 s[12:13], 0, v14
	v_cmp_ne_u64_e64 s[14:15], 0, v[12:13]
	v_add_lshl_u32 v17, v26, v15, 2
	s_and_b64 s[14:15], s[14:15], s[12:13]
	s_and_saveexec_b64 s[12:13], s[14:15]
	s_cbranch_execz .LBB14_15
; %bb.14:
	v_bcnt_u32_b32 v11, v12, 0
	v_bcnt_u32_b32 v11, v13, v11
	ds_write_b32 v17, v11 offset:32
.LBB14_15:
	s_or_b64 exec, exec, s[12:13]
	v_lshrrev_b32_e32 v11, 8, v8
	v_xor_b32_e32 v15, -1, v11
	v_lshrrev_b32_sdwa v11, s48, v15 dst_sel:DWORD dst_unused:UNUSED_PAD src0_sel:DWORD src1_sel:BYTE_0
	v_and_b32_e32 v12, s52, v11
	v_mul_u32_u24_e32 v11, 9, v12
	v_add_lshl_u32 v18, v26, v11, 2
	v_and_b32_e32 v11, 1, v12
	v_add_co_u32_e64 v13, s[12:13], -1, v11
	v_addc_co_u32_e64 v19, s[12:13], 0, -1, s[12:13]
	v_cmp_ne_u32_e64 s[12:13], 0, v11
	v_xor_b32_e32 v11, s13, v19
	v_and_b32_e32 v19, exec_hi, v11
	v_lshlrev_b32_e32 v11, 30, v12
	v_xor_b32_e32 v13, s12, v13
	v_cmp_gt_i64_e64 s[12:13], 0, v[10:11]
	v_not_b32_e32 v11, v11
	v_ashrrev_i32_e32 v11, 31, v11
	v_and_b32_e32 v13, exec_lo, v13
	v_xor_b32_e32 v20, s13, v11
	v_xor_b32_e32 v11, s12, v11
	v_and_b32_e32 v13, v13, v11
	v_lshlrev_b32_e32 v11, 29, v12
	v_cmp_gt_i64_e64 s[12:13], 0, v[10:11]
	v_not_b32_e32 v11, v11
	v_ashrrev_i32_e32 v11, 31, v11
	v_and_b32_e32 v19, v19, v20
	v_xor_b32_e32 v20, s13, v11
	v_xor_b32_e32 v11, s12, v11
	v_and_b32_e32 v13, v13, v11
	v_lshlrev_b32_e32 v11, 28, v12
	v_cmp_gt_i64_e64 s[12:13], 0, v[10:11]
	v_not_b32_e32 v11, v11
	v_ashrrev_i32_e32 v11, 31, v11
	v_and_b32_e32 v19, v19, v20
	;; [unrolled: 8-line block ×5, first 2 shown]
	v_xor_b32_e32 v20, s13, v11
	v_xor_b32_e32 v11, s12, v11
	v_and_b32_e32 v13, v13, v11
	v_lshlrev_b32_e32 v11, 24, v12
	v_cmp_gt_i64_e64 s[12:13], 0, v[10:11]
	v_not_b32_e32 v10, v11
	v_ashrrev_i32_e32 v10, 31, v10
	v_xor_b32_e32 v11, s13, v10
	v_xor_b32_e32 v10, s12, v10
	; wave barrier
	ds_read_b32 v16, v18 offset:32
	v_and_b32_e32 v19, v19, v20
	v_and_b32_e32 v10, v13, v10
	;; [unrolled: 1-line block ×3, first 2 shown]
	v_mbcnt_lo_u32_b32 v12, v10, 0
	v_mbcnt_hi_u32_b32 v19, v11, v12
	v_cmp_eq_u32_e64 s[12:13], 0, v19
	v_cmp_ne_u64_e64 s[14:15], 0, v[10:11]
	s_and_b64 s[14:15], s[14:15], s[12:13]
	; wave barrier
	s_and_saveexec_b64 s[12:13], s[14:15]
	s_cbranch_execz .LBB14_17
; %bb.16:
	v_bcnt_u32_b32 v10, v10, 0
	v_bcnt_u32_b32 v10, v11, v10
	s_waitcnt lgkmcnt(0)
	v_add_u32_e32 v10, v16, v10
	ds_write_b32 v18, v10 offset:32
.LBB14_17:
	s_or_b64 exec, exec, s[12:13]
	v_mov_b32_e32 v10, -1
	v_xor_b32_sdwa v21, v8, v10 dst_sel:DWORD dst_unused:UNUSED_PAD src0_sel:WORD_1 src1_sel:DWORD
	v_lshrrev_b32_sdwa v10, s48, v21 dst_sel:DWORD dst_unused:UNUSED_PAD src0_sel:DWORD src1_sel:BYTE_0
	v_and_b32_e32 v12, s52, v10
	v_and_b32_e32 v11, 1, v12
	v_add_co_u32_e64 v13, s[12:13], -1, v11
	v_addc_co_u32_e64 v23, s[12:13], 0, -1, s[12:13]
	v_cmp_ne_u32_e64 s[12:13], 0, v11
	v_mul_u32_u24_e32 v10, 9, v12
	v_xor_b32_e32 v11, s13, v23
	v_add_lshl_u32 v20, v26, v10, 2
	v_mov_b32_e32 v10, 0
	v_and_b32_e32 v23, exec_hi, v11
	v_lshlrev_b32_e32 v11, 30, v12
	v_xor_b32_e32 v13, s12, v13
	v_cmp_gt_i64_e64 s[12:13], 0, v[10:11]
	v_not_b32_e32 v11, v11
	v_ashrrev_i32_e32 v11, 31, v11
	v_and_b32_e32 v13, exec_lo, v13
	v_xor_b32_e32 v24, s13, v11
	v_xor_b32_e32 v11, s12, v11
	v_and_b32_e32 v13, v13, v11
	v_lshlrev_b32_e32 v11, 29, v12
	v_cmp_gt_i64_e64 s[12:13], 0, v[10:11]
	v_not_b32_e32 v11, v11
	v_ashrrev_i32_e32 v11, 31, v11
	v_and_b32_e32 v23, v23, v24
	v_xor_b32_e32 v24, s13, v11
	v_xor_b32_e32 v11, s12, v11
	v_and_b32_e32 v13, v13, v11
	v_lshlrev_b32_e32 v11, 28, v12
	v_cmp_gt_i64_e64 s[12:13], 0, v[10:11]
	v_not_b32_e32 v11, v11
	v_ashrrev_i32_e32 v11, 31, v11
	v_and_b32_e32 v23, v23, v24
	;; [unrolled: 8-line block ×5, first 2 shown]
	v_xor_b32_e32 v24, s13, v11
	v_xor_b32_e32 v11, s12, v11
	v_and_b32_e32 v23, v23, v24
	v_and_b32_e32 v24, v13, v11
	v_lshlrev_b32_e32 v11, 24, v12
	v_cmp_gt_i64_e64 s[12:13], 0, v[10:11]
	v_not_b32_e32 v11, v11
	v_ashrrev_i32_e32 v11, 31, v11
	v_xor_b32_e32 v12, s13, v11
	v_xor_b32_e32 v11, s12, v11
	; wave barrier
	ds_read_b32 v22, v20 offset:32
	v_and_b32_e32 v13, v23, v12
	v_and_b32_e32 v12, v24, v11
	v_mbcnt_lo_u32_b32 v11, v12, 0
	v_mbcnt_hi_u32_b32 v23, v13, v11
	v_cmp_eq_u32_e64 s[12:13], 0, v23
	v_cmp_ne_u64_e64 s[14:15], 0, v[12:13]
	s_and_b64 s[14:15], s[14:15], s[12:13]
	; wave barrier
	s_and_saveexec_b64 s[12:13], s[14:15]
	s_cbranch_execz .LBB14_19
; %bb.18:
	v_bcnt_u32_b32 v11, v12, 0
	v_bcnt_u32_b32 v11, v13, v11
	s_waitcnt lgkmcnt(0)
	v_add_u32_e32 v11, v22, v11
	ds_write_b32 v20, v11 offset:32
.LBB14_19:
	s_or_b64 exec, exec, s[12:13]
	v_lshrrev_b64 v[12:13], 24, v[8:9]
	v_xor_b32_e32 v24, -1, v12
	v_lshrrev_b32_sdwa v8, s48, v24 dst_sel:DWORD dst_unused:UNUSED_PAD src0_sel:DWORD src1_sel:BYTE_0
	v_and_b32_e32 v8, s52, v8
	v_mul_u32_u24_e32 v11, 9, v8
	v_add_lshl_u32 v27, v26, v11, 2
	v_and_b32_e32 v11, 1, v8
	v_add_co_u32_e64 v12, s[12:13], -1, v11
	v_addc_co_u32_e64 v13, s[12:13], 0, -1, s[12:13]
	v_cmp_ne_u32_e64 s[12:13], 0, v11
	v_xor_b32_e32 v11, s13, v13
	v_and_b32_e32 v13, exec_hi, v11
	v_lshlrev_b32_e32 v11, 30, v8
	v_xor_b32_e32 v12, s12, v12
	v_cmp_gt_i64_e64 s[12:13], 0, v[10:11]
	v_not_b32_e32 v11, v11
	v_ashrrev_i32_e32 v11, 31, v11
	v_and_b32_e32 v12, exec_lo, v12
	v_xor_b32_e32 v28, s13, v11
	v_xor_b32_e32 v11, s12, v11
	v_and_b32_e32 v12, v12, v11
	v_lshlrev_b32_e32 v11, 29, v8
	v_cmp_gt_i64_e64 s[12:13], 0, v[10:11]
	v_not_b32_e32 v11, v11
	v_ashrrev_i32_e32 v11, 31, v11
	v_and_b32_e32 v13, v13, v28
	v_xor_b32_e32 v28, s13, v11
	v_xor_b32_e32 v11, s12, v11
	v_and_b32_e32 v12, v12, v11
	v_lshlrev_b32_e32 v11, 28, v8
	v_cmp_gt_i64_e64 s[12:13], 0, v[10:11]
	v_not_b32_e32 v11, v11
	v_ashrrev_i32_e32 v11, 31, v11
	v_and_b32_e32 v13, v13, v28
	;; [unrolled: 8-line block ×5, first 2 shown]
	v_xor_b32_e32 v28, s13, v11
	v_xor_b32_e32 v11, s12, v11
	v_and_b32_e32 v12, v12, v11
	v_lshlrev_b32_e32 v11, 24, v8
	v_not_b32_e32 v8, v11
	v_cmp_gt_i64_e64 s[12:13], 0, v[10:11]
	v_ashrrev_i32_e32 v8, 31, v8
	v_and_b32_e32 v13, v13, v28
	v_xor_b32_e32 v10, s13, v8
	v_xor_b32_e32 v8, s12, v8
	; wave barrier
	ds_read_b32 v25, v27 offset:32
	v_and_b32_e32 v11, v13, v10
	v_and_b32_e32 v10, v12, v8
	v_mbcnt_lo_u32_b32 v8, v10, 0
	v_mbcnt_hi_u32_b32 v29, v11, v8
	v_cmp_eq_u32_e64 s[12:13], 0, v29
	v_cmp_ne_u64_e64 s[14:15], 0, v[10:11]
	s_and_b64 s[14:15], s[14:15], s[12:13]
	; wave barrier
	s_and_saveexec_b64 s[12:13], s[14:15]
	s_cbranch_execz .LBB14_21
; %bb.20:
	v_bcnt_u32_b32 v8, v10, 0
	v_bcnt_u32_b32 v8, v11, v8
	s_waitcnt lgkmcnt(0)
	v_add_u32_e32 v8, v25, v8
	ds_write_b32 v27, v8 offset:32
.LBB14_21:
	s_or_b64 exec, exec, s[12:13]
	v_xor_b32_e32 v30, -1, v9
	v_lshrrev_b32_sdwa v8, s48, v30 dst_sel:DWORD dst_unused:UNUSED_PAD src0_sel:DWORD src1_sel:BYTE_0
	v_and_b32_e32 v8, s52, v8
	v_and_b32_e32 v11, 1, v8
	v_add_co_u32_e64 v12, s[12:13], -1, v11
	v_addc_co_u32_e64 v13, s[12:13], 0, -1, s[12:13]
	v_cmp_ne_u32_e64 s[12:13], 0, v11
	v_mul_u32_u24_e32 v10, 9, v8
	v_xor_b32_e32 v11, s13, v13
	v_add_lshl_u32 v28, v26, v10, 2
	v_mov_b32_e32 v10, 0
	v_and_b32_e32 v13, exec_hi, v11
	v_lshlrev_b32_e32 v11, 30, v8
	v_xor_b32_e32 v12, s12, v12
	v_cmp_gt_i64_e64 s[12:13], 0, v[10:11]
	v_not_b32_e32 v11, v11
	v_ashrrev_i32_e32 v11, 31, v11
	v_and_b32_e32 v12, exec_lo, v12
	v_xor_b32_e32 v32, s13, v11
	v_xor_b32_e32 v11, s12, v11
	v_and_b32_e32 v12, v12, v11
	v_lshlrev_b32_e32 v11, 29, v8
	v_cmp_gt_i64_e64 s[12:13], 0, v[10:11]
	v_not_b32_e32 v11, v11
	v_ashrrev_i32_e32 v11, 31, v11
	v_and_b32_e32 v13, v13, v32
	v_xor_b32_e32 v32, s13, v11
	v_xor_b32_e32 v11, s12, v11
	v_and_b32_e32 v12, v12, v11
	v_lshlrev_b32_e32 v11, 28, v8
	v_cmp_gt_i64_e64 s[12:13], 0, v[10:11]
	v_not_b32_e32 v11, v11
	v_ashrrev_i32_e32 v11, 31, v11
	v_and_b32_e32 v13, v13, v32
	;; [unrolled: 8-line block ×5, first 2 shown]
	v_xor_b32_e32 v32, s13, v11
	v_xor_b32_e32 v11, s12, v11
	v_and_b32_e32 v12, v12, v11
	v_lshlrev_b32_e32 v11, 24, v8
	v_not_b32_e32 v8, v11
	v_cmp_gt_i64_e64 s[12:13], 0, v[10:11]
	v_ashrrev_i32_e32 v8, 31, v8
	v_xor_b32_e32 v11, s13, v8
	v_xor_b32_e32 v8, s12, v8
	; wave barrier
	ds_read_b32 v31, v28 offset:32
	v_and_b32_e32 v13, v13, v32
	v_and_b32_e32 v12, v12, v8
	;; [unrolled: 1-line block ×3, first 2 shown]
	v_mbcnt_lo_u32_b32 v8, v12, 0
	v_mbcnt_hi_u32_b32 v32, v13, v8
	v_cmp_eq_u32_e64 s[12:13], 0, v32
	v_cmp_ne_u64_e64 s[14:15], 0, v[12:13]
	s_and_b64 s[14:15], s[14:15], s[12:13]
	; wave barrier
	s_and_saveexec_b64 s[12:13], s[14:15]
	s_cbranch_execz .LBB14_23
; %bb.22:
	v_bcnt_u32_b32 v8, v12, 0
	v_bcnt_u32_b32 v8, v13, v8
	s_waitcnt lgkmcnt(0)
	v_add_u32_e32 v8, v31, v8
	ds_write_b32 v28, v8 offset:32
.LBB14_23:
	s_or_b64 exec, exec, s[12:13]
	v_lshrrev_b32_e32 v8, 8, v9
	v_xor_b32_e32 v12, -1, v8
	v_lshrrev_b32_sdwa v8, s48, v12 dst_sel:DWORD dst_unused:UNUSED_PAD src0_sel:DWORD src1_sel:BYTE_0
	v_and_b32_e32 v8, s52, v8
	v_mul_u32_u24_e32 v9, 9, v8
	v_add_lshl_u32 v26, v26, v9, 2
	v_and_b32_e32 v9, 1, v8
	v_add_co_u32_e64 v11, s[12:13], -1, v9
	v_addc_co_u32_e64 v34, s[12:13], 0, -1, s[12:13]
	v_cmp_ne_u32_e64 s[12:13], 0, v9
	v_xor_b32_e32 v11, s12, v11
	v_xor_b32_e32 v9, s13, v34
	v_and_b32_e32 v34, exec_lo, v11
	v_lshlrev_b32_e32 v11, 30, v8
	v_cmp_gt_i64_e64 s[12:13], 0, v[10:11]
	v_not_b32_e32 v11, v11
	v_ashrrev_i32_e32 v11, 31, v11
	v_xor_b32_e32 v35, s13, v11
	v_xor_b32_e32 v11, s12, v11
	v_and_b32_e32 v34, v34, v11
	v_lshlrev_b32_e32 v11, 29, v8
	v_cmp_gt_i64_e64 s[12:13], 0, v[10:11]
	v_not_b32_e32 v11, v11
	v_and_b32_e32 v9, exec_hi, v9
	v_ashrrev_i32_e32 v11, 31, v11
	v_and_b32_e32 v9, v9, v35
	v_xor_b32_e32 v35, s13, v11
	v_xor_b32_e32 v11, s12, v11
	v_and_b32_e32 v34, v34, v11
	v_lshlrev_b32_e32 v11, 28, v8
	v_cmp_gt_i64_e64 s[12:13], 0, v[10:11]
	v_not_b32_e32 v11, v11
	v_ashrrev_i32_e32 v11, 31, v11
	v_and_b32_e32 v9, v9, v35
	v_xor_b32_e32 v35, s13, v11
	v_xor_b32_e32 v11, s12, v11
	v_and_b32_e32 v34, v34, v11
	v_lshlrev_b32_e32 v11, 27, v8
	v_cmp_gt_i64_e64 s[12:13], 0, v[10:11]
	v_not_b32_e32 v11, v11
	;; [unrolled: 8-line block ×4, first 2 shown]
	v_ashrrev_i32_e32 v11, 31, v11
	v_and_b32_e32 v9, v9, v35
	v_xor_b32_e32 v35, s13, v11
	v_xor_b32_e32 v11, s12, v11
	v_and_b32_e32 v34, v34, v11
	v_lshlrev_b32_e32 v11, 24, v8
	v_not_b32_e32 v8, v11
	v_cmp_gt_i64_e64 s[12:13], 0, v[10:11]
	v_ashrrev_i32_e32 v8, 31, v8
	v_xor_b32_e32 v10, s13, v8
	v_xor_b32_e32 v8, s12, v8
	; wave barrier
	ds_read_b32 v13, v26 offset:32
	v_and_b32_e32 v9, v9, v35
	v_and_b32_e32 v8, v34, v8
	;; [unrolled: 1-line block ×3, first 2 shown]
	v_mbcnt_lo_u32_b32 v10, v8, 0
	v_mbcnt_hi_u32_b32 v34, v9, v10
	v_cmp_eq_u32_e64 s[12:13], 0, v34
	v_cmp_ne_u64_e64 s[14:15], 0, v[8:9]
	v_add_u32_e32 v33, 32, v7
	s_and_b64 s[14:15], s[14:15], s[12:13]
	; wave barrier
	s_and_saveexec_b64 s[12:13], s[14:15]
	s_cbranch_execz .LBB14_25
; %bb.24:
	v_bcnt_u32_b32 v8, v8, 0
	v_bcnt_u32_b32 v8, v9, v8
	s_waitcnt lgkmcnt(0)
	v_add_u32_e32 v8, v13, v8
	ds_write_b32 v26, v8 offset:32
.LBB14_25:
	s_or_b64 exec, exec, s[12:13]
	; wave barrier
	s_waitcnt lgkmcnt(0)
	s_barrier
	ds_read2_b32 v[10:11], v7 offset0:8 offset1:9
	ds_read2_b32 v[8:9], v33 offset0:2 offset1:3
	ds_read_b32 v35, v33 offset:16
	v_min_u32_e32 v3, 0x1c0, v3
	v_or_b32_e32 v3, 63, v3
	s_waitcnt lgkmcnt(1)
	v_add3_u32 v36, v11, v10, v8
	s_waitcnt lgkmcnt(0)
	v_add3_u32 v35, v36, v9, v35
	v_and_b32_e32 v36, 15, v6
	v_cmp_ne_u32_e64 s[12:13], 0, v36
	v_mov_b32_dpp v37, v35 row_shr:1 row_mask:0xf bank_mask:0xf
	v_cndmask_b32_e64 v37, 0, v37, s[12:13]
	v_add_u32_e32 v35, v37, v35
	v_cmp_lt_u32_e64 s[12:13], 1, v36
	s_nop 0
	v_mov_b32_dpp v37, v35 row_shr:2 row_mask:0xf bank_mask:0xf
	v_cndmask_b32_e64 v37, 0, v37, s[12:13]
	v_add_u32_e32 v35, v35, v37
	v_cmp_lt_u32_e64 s[12:13], 3, v36
	s_nop 0
	v_mov_b32_dpp v37, v35 row_shr:4 row_mask:0xf bank_mask:0xf
	v_cndmask_b32_e64 v37, 0, v37, s[12:13]
	v_add_u32_e32 v35, v35, v37
	v_cmp_lt_u32_e64 s[12:13], 7, v36
	s_nop 0
	v_mov_b32_dpp v37, v35 row_shr:8 row_mask:0xf bank_mask:0xf
	v_cndmask_b32_e64 v36, 0, v37, s[12:13]
	v_add_u32_e32 v35, v35, v36
	v_bfe_i32 v37, v6, 4, 1
	v_cmp_lt_u32_e64 s[12:13], 31, v6
	v_mov_b32_dpp v36, v35 row_bcast:15 row_mask:0xf bank_mask:0xf
	v_and_b32_e32 v36, v37, v36
	v_add_u32_e32 v35, v35, v36
	s_nop 1
	v_mov_b32_dpp v36, v35 row_bcast:31 row_mask:0xf bank_mask:0xf
	v_cndmask_b32_e64 v36, 0, v36, s[12:13]
	v_add_u32_e32 v35, v35, v36
	v_lshrrev_b32_e32 v36, 6, v2
	v_cmp_eq_u32_e64 s[12:13], v3, v2
	s_and_saveexec_b64 s[14:15], s[12:13]
	s_cbranch_execz .LBB14_27
; %bb.26:
	v_lshlrev_b32_e32 v3, 2, v36
	ds_write_b32 v3, v35
.LBB14_27:
	s_or_b64 exec, exec, s[14:15]
	v_cmp_gt_u32_e64 s[12:13], 8, v2
	s_waitcnt lgkmcnt(0)
	s_barrier
	s_and_saveexec_b64 s[14:15], s[12:13]
	s_cbranch_execz .LBB14_29
; %bb.28:
	v_lshlrev_b32_e32 v3, 2, v2
	ds_read_b32 v37, v3
	v_and_b32_e32 v38, 7, v6
	v_cmp_ne_u32_e64 s[12:13], 0, v38
	s_waitcnt lgkmcnt(0)
	v_mov_b32_dpp v39, v37 row_shr:1 row_mask:0xf bank_mask:0xf
	v_cndmask_b32_e64 v39, 0, v39, s[12:13]
	v_add_u32_e32 v37, v39, v37
	v_cmp_lt_u32_e64 s[12:13], 1, v38
	s_nop 0
	v_mov_b32_dpp v39, v37 row_shr:2 row_mask:0xf bank_mask:0xf
	v_cndmask_b32_e64 v39, 0, v39, s[12:13]
	v_add_u32_e32 v37, v37, v39
	v_cmp_lt_u32_e64 s[12:13], 3, v38
	s_nop 0
	v_mov_b32_dpp v39, v37 row_shr:4 row_mask:0xf bank_mask:0xf
	v_cndmask_b32_e64 v38, 0, v39, s[12:13]
	v_add_u32_e32 v37, v37, v38
	ds_write_b32 v3, v37
.LBB14_29:
	s_or_b64 exec, exec, s[14:15]
	v_cmp_lt_u32_e64 s[12:13], 63, v2
	v_mov_b32_e32 v3, 0
	s_waitcnt lgkmcnt(0)
	s_barrier
	s_and_saveexec_b64 s[14:15], s[12:13]
	s_cbranch_execz .LBB14_31
; %bb.30:
	v_lshl_add_u32 v3, v36, 2, -4
	ds_read_b32 v3, v3
.LBB14_31:
	s_or_b64 exec, exec, s[14:15]
	v_add_u32_e32 v36, -1, v6
	v_and_b32_e32 v37, 64, v6
	v_cmp_lt_i32_e64 s[12:13], v36, v37
	v_cndmask_b32_e64 v36, v36, v6, s[12:13]
	s_waitcnt lgkmcnt(0)
	v_add_u32_e32 v35, v3, v35
	v_lshlrev_b32_e32 v36, 2, v36
	ds_bpermute_b32 v35, v36, v35
	v_cmp_eq_u32_e64 s[12:13], 0, v6
	s_waitcnt lgkmcnt(0)
	v_cndmask_b32_e64 v3, v35, v3, s[12:13]
	v_cmp_ne_u32_e64 s[12:13], 0, v2
	v_cndmask_b32_e64 v3, 0, v3, s[12:13]
	v_add_u32_e32 v10, v3, v10
	v_add_u32_e32 v11, v10, v11
	;; [unrolled: 1-line block ×4, first 2 shown]
	ds_write2_b32 v7, v3, v10 offset0:8 offset1:9
	ds_write2_b32 v33, v11, v8 offset0:2 offset1:3
	ds_write_b32 v33, v9 offset:16
	s_waitcnt lgkmcnt(0)
	s_barrier
	ds_read_b32 v3, v17 offset:32
	ds_read_b32 v7, v18 offset:32
	;; [unrolled: 1-line block ×6, first 2 shown]
	s_movk_i32 s12, 0x100
	v_cmp_gt_u32_e64 s[12:13], s12, v2
	v_pk_mov_b32 v[8:9], 0, 0
                                        ; implicit-def: $vgpr20
	s_and_saveexec_b64 s[16:17], s[12:13]
	s_cbranch_execz .LBB14_35
; %bb.32:
	v_mul_u32_u24_e32 v8, 9, v2
	v_lshlrev_b32_e32 v20, 2, v8
	ds_read_b32 v8, v20 offset:32
	s_movk_i32 s14, 0xff
	v_cmp_ne_u32_e64 s[14:15], s14, v2
	v_mov_b32_e32 v9, 0xc00
	s_and_saveexec_b64 s[18:19], s[14:15]
	s_cbranch_execz .LBB14_34
; %bb.33:
	ds_read_b32 v9, v20 offset:68
.LBB14_34:
	s_or_b64 exec, exec, s[18:19]
	s_waitcnt lgkmcnt(0)
	v_sub_u32_e32 v20, v9, v8
	v_mov_b32_e32 v9, 0
.LBB14_35:
	s_or_b64 exec, exec, s[16:17]
	s_waitcnt lgkmcnt(5)
	v_add_u32_e32 v28, v3, v14
	s_waitcnt lgkmcnt(4)
	v_add3_u32 v27, v19, v16, v7
	s_waitcnt lgkmcnt(3)
	v_add3_u32 v26, v23, v22, v10
	;; [unrolled: 2-line block ×5, first 2 shown]
	s_barrier
	ds_write_b8 v28, v5 offset:2048
	ds_write_b8 v27, v15 offset:2048
	;; [unrolled: 1-line block ×6, first 2 shown]
	s_waitcnt lgkmcnt(0)
	s_barrier
	s_and_saveexec_b64 s[16:17], s[12:13]
	s_cbranch_execz .LBB14_45
; %bb.36:
	v_lshl_or_b32 v10, s6, 8, v2
	v_mov_b32_e32 v11, 0
	v_lshlrev_b64 v[12:13], 2, v[10:11]
	v_mov_b32_e32 v5, s35
	v_add_co_u32_e64 v12, s[14:15], s34, v12
	v_addc_co_u32_e64 v13, s[14:15], v5, v13, s[14:15]
	v_or_b32_e32 v7, 2.0, v20
	global_store_dword v[12:13], v7, off
	s_mov_b64 s[18:19], 0
	s_brev_b32 s24, 1
	s_mov_b32 s25, s6
	v_mov_b32_e32 v7, 0
                                        ; implicit-def: $sgpr14_sgpr15
	s_branch .LBB14_38
.LBB14_37:                              ;   in Loop: Header=BB14_38 Depth=1
	s_or_b64 exec, exec, s[20:21]
	v_and_b32_e32 v14, 0x3fffffff, v16
	v_add_u32_e32 v7, v14, v7
	v_cmp_eq_u32_e64 s[14:15], s24, v10
	s_and_b64 s[20:21], exec, s[14:15]
	s_or_b64 s[18:19], s[20:21], s[18:19]
	s_andn2_b64 exec, exec, s[18:19]
	s_cbranch_execz .LBB14_44
.LBB14_38:                              ; =>This Loop Header: Depth=1
                                        ;     Child Loop BB14_41 Depth 2
	s_or_b64 s[14:15], s[14:15], exec
	s_cmp_eq_u32 s25, 0
	s_cbranch_scc1 .LBB14_43
; %bb.39:                               ;   in Loop: Header=BB14_38 Depth=1
	s_add_i32 s25, s25, -1
	v_lshl_or_b32 v10, s25, 8, v2
	v_lshlrev_b64 v[14:15], 2, v[10:11]
	v_add_co_u32_e64 v14, s[14:15], s34, v14
	v_addc_co_u32_e64 v15, s[14:15], v5, v15, s[14:15]
	global_load_dword v16, v[14:15], off glc
	s_waitcnt vmcnt(0)
	v_and_b32_e32 v10, -2.0, v16
	v_cmp_eq_u32_e64 s[14:15], 0, v10
	s_and_saveexec_b64 s[20:21], s[14:15]
	s_cbranch_execz .LBB14_37
; %bb.40:                               ;   in Loop: Header=BB14_38 Depth=1
	s_mov_b64 s[22:23], 0
.LBB14_41:                              ;   Parent Loop BB14_38 Depth=1
                                        ; =>  This Inner Loop Header: Depth=2
	global_load_dword v16, v[14:15], off glc
	s_waitcnt vmcnt(0)
	v_and_b32_e32 v10, -2.0, v16
	v_cmp_ne_u32_e64 s[14:15], 0, v10
	s_or_b64 s[22:23], s[14:15], s[22:23]
	s_andn2_b64 exec, exec, s[22:23]
	s_cbranch_execnz .LBB14_41
; %bb.42:                               ;   in Loop: Header=BB14_38 Depth=1
	s_or_b64 exec, exec, s[22:23]
	s_branch .LBB14_37
.LBB14_43:                              ;   in Loop: Header=BB14_38 Depth=1
                                        ; implicit-def: $sgpr25
	s_and_b64 s[20:21], exec, s[14:15]
	s_or_b64 s[18:19], s[20:21], s[18:19]
	s_andn2_b64 exec, exec, s[18:19]
	s_cbranch_execnz .LBB14_38
.LBB14_44:
	s_or_b64 exec, exec, s[18:19]
	v_add_u32_e32 v5, v7, v20
	v_or_b32_e32 v5, 0x80000000, v5
	global_store_dword v[12:13], v5, off
	v_lshlrev_b32_e32 v5, 3, v2
	global_load_dwordx2 v[10:11], v5, s[44:45]
	v_sub_co_u32_e64 v7, s[14:15], v7, v8
	v_subb_co_u32_e64 v12, s[14:15], 0, v9, s[14:15]
	s_waitcnt vmcnt(0)
	v_add_co_u32_e64 v10, s[14:15], v7, v10
	v_addc_co_u32_e64 v11, s[14:15], v12, v11, s[14:15]
	ds_write_b64 v5, v[10:11]
.LBB14_45:
	s_or_b64 exec, exec, s[16:17]
	v_cmp_gt_u32_e64 s[14:15], s33, v2
	s_waitcnt lgkmcnt(0)
	s_barrier
	s_and_saveexec_b64 s[18:19], s[14:15]
	s_cbranch_execz .LBB14_47
; %bb.46:
	ds_read_u8 v5, v2 offset:2048
	s_waitcnt lgkmcnt(0)
	v_lshrrev_b32_sdwa v7, s48, v5 dst_sel:DWORD dst_unused:UNUSED_PAD src0_sel:DWORD src1_sel:BYTE_0
	v_and_b32_e32 v7, s52, v7
	v_lshlrev_b32_e32 v7, 3, v7
	ds_read_b64 v[10:11], v7
	v_mov_b32_e32 v7, s39
	v_xor_b32_e32 v5, -1, v5
	s_waitcnt lgkmcnt(0)
	v_add_co_u32_e64 v10, s[16:17], s38, v10
	v_addc_co_u32_e64 v7, s[16:17], v7, v11, s[16:17]
	v_add_co_u32_e64 v10, s[16:17], v10, v2
	v_addc_co_u32_e64 v11, s[16:17], 0, v7, s[16:17]
	global_store_byte v[10:11], v5, off
.LBB14_47:
	s_or_b64 exec, exec, s[18:19]
	v_add_u32_e32 v21, 0x200, v2
	v_cmp_gt_u32_e64 s[16:17], s33, v21
	s_and_saveexec_b64 s[20:21], s[16:17]
	s_cbranch_execz .LBB14_49
; %bb.48:
	ds_read_u8 v5, v2 offset:2560
	s_waitcnt lgkmcnt(0)
	v_lshrrev_b32_sdwa v7, s48, v5 dst_sel:DWORD dst_unused:UNUSED_PAD src0_sel:DWORD src1_sel:BYTE_0
	v_and_b32_e32 v7, s52, v7
	v_lshlrev_b32_e32 v7, 3, v7
	ds_read_b64 v[10:11], v7
	v_mov_b32_e32 v7, s39
	v_xor_b32_e32 v5, -1, v5
	s_waitcnt lgkmcnt(0)
	v_add_co_u32_e64 v10, s[18:19], s38, v10
	v_addc_co_u32_e64 v7, s[18:19], v7, v11, s[18:19]
	v_add_co_u32_e64 v10, s[18:19], v10, v2
	v_addc_co_u32_e64 v11, s[18:19], 0, v7, s[18:19]
	global_store_byte v[10:11], v5, off offset:512
.LBB14_49:
	s_or_b64 exec, exec, s[20:21]
	v_or_b32_e32 v24, 0x400, v2
	v_cmp_gt_u32_e64 s[18:19], s33, v24
	s_and_saveexec_b64 s[22:23], s[18:19]
	s_cbranch_execz .LBB14_51
; %bb.50:
	ds_read_u8 v5, v2 offset:3072
	s_waitcnt lgkmcnt(0)
	v_lshrrev_b32_sdwa v7, s48, v5 dst_sel:DWORD dst_unused:UNUSED_PAD src0_sel:DWORD src1_sel:BYTE_0
	v_and_b32_e32 v7, s52, v7
	v_lshlrev_b32_e32 v7, 3, v7
	ds_read_b64 v[10:11], v7
	v_mov_b32_e32 v7, s39
	v_xor_b32_e32 v5, -1, v5
	s_waitcnt lgkmcnt(0)
	v_add_co_u32_e64 v10, s[20:21], s38, v10
	v_addc_co_u32_e64 v7, s[20:21], v7, v11, s[20:21]
	v_add_co_u32_e64 v10, s[20:21], v10, v2
	v_addc_co_u32_e64 v11, s[20:21], 0, v7, s[20:21]
	global_store_byte v[10:11], v5, off offset:1024
.LBB14_51:
	s_or_b64 exec, exec, s[22:23]
	v_add_u32_e32 v25, 0x600, v2
	v_cmp_gt_u32_e64 s[20:21], s33, v25
	s_and_saveexec_b64 s[24:25], s[20:21]
	s_cbranch_execz .LBB14_53
; %bb.52:
	ds_read_u8 v5, v2 offset:3584
	s_waitcnt lgkmcnt(0)
	v_lshrrev_b32_sdwa v7, s48, v5 dst_sel:DWORD dst_unused:UNUSED_PAD src0_sel:DWORD src1_sel:BYTE_0
	v_and_b32_e32 v7, s52, v7
	v_lshlrev_b32_e32 v7, 3, v7
	ds_read_b64 v[10:11], v7
	v_mov_b32_e32 v7, s39
	v_xor_b32_e32 v5, -1, v5
	s_waitcnt lgkmcnt(0)
	v_add_co_u32_e64 v10, s[22:23], s38, v10
	v_addc_co_u32_e64 v7, s[22:23], v7, v11, s[22:23]
	v_add_co_u32_e64 v10, s[22:23], v10, v2
	v_addc_co_u32_e64 v11, s[22:23], 0, v7, s[22:23]
	global_store_byte v[10:11], v5, off offset:1536
.LBB14_53:
	s_or_b64 exec, exec, s[24:25]
	v_or_b32_e32 v29, 0x800, v2
	v_cmp_gt_u32_e64 s[22:23], s33, v29
	s_and_saveexec_b64 s[28:29], s[22:23]
	s_cbranch_execz .LBB14_55
; %bb.54:
	ds_read_u8 v5, v2 offset:4096
	s_waitcnt lgkmcnt(0)
	v_lshrrev_b32_sdwa v7, s48, v5 dst_sel:DWORD dst_unused:UNUSED_PAD src0_sel:DWORD src1_sel:BYTE_0
	v_and_b32_e32 v7, s52, v7
	v_lshlrev_b32_e32 v7, 3, v7
	ds_read_b64 v[10:11], v7
	v_mov_b32_e32 v7, s39
	v_xor_b32_e32 v5, -1, v5
	s_waitcnt lgkmcnt(0)
	v_add_co_u32_e64 v10, s[24:25], s38, v10
	v_addc_co_u32_e64 v7, s[24:25], v7, v11, s[24:25]
	v_add_co_u32_e64 v10, s[24:25], v10, v2
	v_addc_co_u32_e64 v11, s[24:25], 0, v7, s[24:25]
	global_store_byte v[10:11], v5, off offset:2048
.LBB14_55:
	s_or_b64 exec, exec, s[28:29]
	v_add_u32_e32 v30, 0xa00, v2
	v_cmp_gt_u32_e64 s[24:25], s33, v30
	s_and_saveexec_b64 s[50:51], s[24:25]
	s_cbranch_execz .LBB14_57
; %bb.56:
	ds_read_u8 v5, v2 offset:4608
	s_waitcnt lgkmcnt(0)
	v_lshrrev_b32_sdwa v7, s48, v5 dst_sel:DWORD dst_unused:UNUSED_PAD src0_sel:DWORD src1_sel:BYTE_0
	v_and_b32_e32 v7, s52, v7
	v_lshlrev_b32_e32 v7, 3, v7
	ds_read_b64 v[10:11], v7
	v_mov_b32_e32 v7, s39
	v_xor_b32_e32 v5, -1, v5
	s_waitcnt lgkmcnt(0)
	v_add_co_u32_e64 v10, s[28:29], s38, v10
	v_addc_co_u32_e64 v7, s[28:29], v7, v11, s[28:29]
	v_add_co_u32_e64 v10, s[28:29], v10, v2
	v_addc_co_u32_e64 v11, s[28:29], 0, v7, s[28:29]
	global_store_byte v[10:11], v5, off offset:2560
.LBB14_57:
	s_or_b64 exec, exec, s[50:51]
	s_lshl_b64 s[28:29], s[30:31], 3
	s_add_u32 s28, s40, s28
	s_addc_u32 s29, s41, s29
	v_lshlrev_b32_e32 v5, 3, v6
	v_mov_b32_e32 v6, s29
	v_add_co_u32_e64 v5, s[28:29], s28, v5
	v_addc_co_u32_e64 v6, s[28:29], 0, v6, s[28:29]
	v_lshlrev_b32_e32 v4, 3, v4
	v_add_co_u32_e64 v18, s[28:29], v5, v4
	v_addc_co_u32_e64 v19, s[28:29], 0, v6, s[28:29]
                                        ; implicit-def: $vgpr4_vgpr5
	s_and_saveexec_b64 s[28:29], vcc
	s_xor_b64 s[28:29], exec, s[28:29]
	s_cbranch_execnz .LBB14_127
; %bb.58:
	s_or_b64 exec, exec, s[28:29]
                                        ; implicit-def: $vgpr6_vgpr7
	s_and_saveexec_b64 s[28:29], s[0:1]
	s_cbranch_execnz .LBB14_128
.LBB14_59:
	s_or_b64 exec, exec, s[28:29]
                                        ; implicit-def: $vgpr10_vgpr11
	s_and_saveexec_b64 s[0:1], s[2:3]
	s_cbranch_execnz .LBB14_129
.LBB14_60:
	s_or_b64 exec, exec, s[0:1]
                                        ; implicit-def: $vgpr12_vgpr13
	s_and_saveexec_b64 s[0:1], s[26:27]
	s_cbranch_execnz .LBB14_130
.LBB14_61:
	s_or_b64 exec, exec, s[0:1]
                                        ; implicit-def: $vgpr14_vgpr15
	s_and_saveexec_b64 s[0:1], s[8:9]
	s_cbranch_execnz .LBB14_131
.LBB14_62:
	s_or_b64 exec, exec, s[0:1]
                                        ; implicit-def: $vgpr16_vgpr17
	s_and_saveexec_b64 s[0:1], s[10:11]
	s_cbranch_execz .LBB14_64
.LBB14_63:
	global_load_dwordx2 v[16:17], v[18:19], off offset:2560
.LBB14_64:
	s_or_b64 exec, exec, s[0:1]
	v_mov_b32_e32 v32, 0
	v_mov_b32_e32 v34, 0
	s_and_saveexec_b64 s[0:1], s[14:15]
	s_cbranch_execz .LBB14_66
; %bb.65:
	ds_read_u8 v18, v2 offset:2048
	s_waitcnt lgkmcnt(0)
	v_lshrrev_b32_e32 v18, s48, v18
	v_and_b32_e32 v34, s52, v18
.LBB14_66:
	s_or_b64 exec, exec, s[0:1]
	s_and_saveexec_b64 s[0:1], s[16:17]
	s_cbranch_execz .LBB14_68
; %bb.67:
	ds_read_u8 v18, v2 offset:2560
	s_waitcnt lgkmcnt(0)
	v_lshrrev_b32_e32 v18, s48, v18
	v_and_b32_e32 v32, s52, v18
.LBB14_68:
	s_or_b64 exec, exec, s[0:1]
	v_mov_b32_e32 v19, 0
	v_mov_b32_e32 v33, 0
	s_and_saveexec_b64 s[0:1], s[18:19]
	s_cbranch_execz .LBB14_70
; %bb.69:
	ds_read_u8 v18, v2 offset:3072
	s_waitcnt lgkmcnt(0)
	v_lshrrev_b32_e32 v18, s48, v18
	v_and_b32_e32 v33, s52, v18
.LBB14_70:
	s_or_b64 exec, exec, s[0:1]
	s_and_saveexec_b64 s[0:1], s[20:21]
	s_cbranch_execz .LBB14_72
; %bb.71:
	ds_read_u8 v18, v2 offset:3584
	s_waitcnt lgkmcnt(0)
	v_lshrrev_b32_e32 v18, s48, v18
	v_and_b32_e32 v19, s52, v18
.LBB14_72:
	;; [unrolled: 20-line block ×3, first 2 shown]
	s_or_b64 exec, exec, s[0:1]
	v_lshlrev_b32_e32 v28, 3, v28
	s_barrier
	s_waitcnt vmcnt(0)
	ds_write_b64 v28, v[4:5] offset:2048
	v_lshlrev_b32_e32 v4, 3, v27
	ds_write_b64 v4, v[6:7] offset:2048
	v_lshlrev_b32_e32 v4, 3, v26
	;; [unrolled: 2-line block ×4, first 2 shown]
	v_lshlrev_b32_e32 v3, 3, v3
	ds_write_b64 v4, v[14:15] offset:2048
	ds_write_b64 v3, v[16:17] offset:2048
	v_lshlrev_b32_e32 v3, 3, v2
	s_waitcnt lgkmcnt(0)
	s_barrier
	s_and_saveexec_b64 s[0:1], s[14:15]
	s_cbranch_execnz .LBB14_132
; %bb.77:
	s_or_b64 exec, exec, s[0:1]
	s_and_saveexec_b64 s[0:1], s[16:17]
	s_cbranch_execnz .LBB14_133
.LBB14_78:
	s_or_b64 exec, exec, s[0:1]
	s_and_saveexec_b64 s[0:1], s[18:19]
	s_cbranch_execnz .LBB14_134
.LBB14_79:
	s_or_b64 exec, exec, s[0:1]
	s_and_saveexec_b64 s[0:1], s[20:21]
	s_cbranch_execnz .LBB14_135
.LBB14_80:
	s_or_b64 exec, exec, s[0:1]
	s_and_saveexec_b64 s[0:1], s[22:23]
	s_cbranch_execnz .LBB14_136
.LBB14_81:
	s_or_b64 exec, exec, s[0:1]
	s_and_saveexec_b64 s[0:1], s[24:25]
	s_cbranch_execz .LBB14_83
.LBB14_82:
	v_lshlrev_b32_e32 v4, 3, v18
	ds_read_b64 v[4:5], v4
	ds_read_b64 v[6:7], v3 offset:22528
	v_mov_b32_e32 v3, s43
	s_waitcnt lgkmcnt(1)
	v_lshlrev_b64 v[4:5], 3, v[4:5]
	v_add_co_u32_e32 v4, vcc, s42, v4
	v_addc_co_u32_e32 v3, vcc, v3, v5, vcc
	v_lshlrev_b32_e32 v5, 3, v30
	v_add_co_u32_e32 v4, vcc, v4, v5
	v_addc_co_u32_e32 v5, vcc, 0, v3, vcc
	s_waitcnt lgkmcnt(0)
	global_store_dwordx2 v[4:5], v[6:7], off
.LBB14_83:
	s_or_b64 exec, exec, s[0:1]
	s_add_i32 s7, s7, -1
	s_cmp_eq_u32 s6, s7
	s_cselect_b64 s[0:1], -1, 0
	s_and_b64 s[2:3], s[12:13], s[0:1]
	s_mov_b64 s[0:1], 0
	s_mov_b64 s[8:9], 0
                                        ; implicit-def: $vgpr4_vgpr5
	s_and_saveexec_b64 s[10:11], s[2:3]
	s_xor_b64 s[2:3], exec, s[10:11]
; %bb.84:
	v_add_co_u32_e32 v4, vcc, v8, v20
	s_mov_b64 s[8:9], exec
	v_mov_b32_e32 v3, 0
	v_addc_co_u32_e32 v5, vcc, 0, v9, vcc
; %bb.85:
	s_or_b64 exec, exec, s[2:3]
	s_and_b64 vcc, exec, s[0:1]
	s_cbranch_vccnz .LBB14_87
	s_branch .LBB14_124
.LBB14_86:
	s_mov_b64 s[8:9], 0
                                        ; implicit-def: $vgpr4_vgpr5
                                        ; implicit-def: $vgpr2_vgpr3
	s_cbranch_execz .LBB14_124
.LBB14_87:
	s_add_u32 s0, s36, s30
	v_and_b32_e32 v2, 0x3ff, v0
	s_addc_u32 s1, s37, 0
	v_mbcnt_hi_u32_b32 v6, -1, v1
	v_and_b32_e32 v7, 0x1c0, v2
	v_mov_b32_e32 v1, s1
	v_add_co_u32_e32 v3, vcc, s0, v6
	v_mul_u32_u24_e32 v4, 6, v7
	v_addc_co_u32_e32 v1, vcc, 0, v1, vcc
	v_add_co_u32_e32 v10, vcc, v3, v4
	v_addc_co_u32_e32 v11, vcc, 0, v1, vcc
	global_load_ubyte v1, v[10:11], off
	s_load_dword s0, s[4:5], 0x5c
	s_load_dword s7, s[4:5], 0x50
	s_add_u32 s1, s4, 0x50
	s_addc_u32 s2, s5, 0
	v_mov_b32_e32 v8, 0
	s_waitcnt lgkmcnt(0)
	s_lshr_b32 s3, s0, 16
	s_cmp_lt_u32 s6, s7
	s_cselect_b32 s0, 12, 18
	s_add_u32 s0, s1, s0
	s_addc_u32 s1, s2, 0
	global_load_ushort v13, v8, s[0:1]
	v_mul_u32_u24_e32 v5, 5, v2
	v_lshlrev_b32_e32 v5, 2, v5
	ds_write2_b32 v5, v8, v8 offset0:8 offset1:9
	ds_write2_b32 v5, v8, v8 offset0:10 offset1:11
	ds_write_b32 v5, v8 offset:48
	global_load_ubyte v12, v[10:11], off offset:64
	global_load_ubyte v16, v[10:11], off offset:128
	;; [unrolled: 1-line block ×5, first 2 shown]
	v_bfe_u32 v3, v0, 10, 10
	v_bfe_u32 v0, v0, 20, 10
	v_mad_u32_u24 v0, v0, s3, v3
	s_lshl_b32 s0, -1, s49
	s_not_b32 s14, s0
	s_mov_b32 s31, 0
	s_waitcnt lgkmcnt(0)
	s_barrier
	s_waitcnt lgkmcnt(0)
	; wave barrier
	s_waitcnt vmcnt(6)
	v_xor_b32_e32 v3, 0xff, v1
	v_lshrrev_b32_e32 v1, s48, v3
	v_and_b32_e32 v11, s14, v1
	v_and_b32_e32 v1, 1, v11
	v_add_co_u32_e32 v14, vcc, -1, v1
	v_lshlrev_b32_e32 v9, 30, v11
	v_addc_co_u32_e64 v15, s[0:1], 0, -1, vcc
	v_cmp_ne_u32_e32 vcc, 0, v1
	v_cmp_gt_i64_e64 s[0:1], 0, v[8:9]
	v_not_b32_e32 v17, v9
	v_lshlrev_b32_e32 v9, 29, v11
	s_waitcnt vmcnt(5)
	v_mad_u64_u32 v[0:1], s[2:3], v0, v13, v[2:3]
	v_xor_b32_e32 v1, vcc_hi, v15
	v_xor_b32_e32 v13, vcc_lo, v14
	v_ashrrev_i32_e32 v14, 31, v17
	v_cmp_gt_i64_e32 vcc, 0, v[8:9]
	v_not_b32_e32 v15, v9
	v_lshlrev_b32_e32 v9, 28, v11
	v_lshrrev_b32_e32 v20, 6, v0
	v_and_b32_e32 v0, exec_hi, v1
	v_and_b32_e32 v1, exec_lo, v13
	v_xor_b32_e32 v13, s1, v14
	v_xor_b32_e32 v14, s0, v14
	v_ashrrev_i32_e32 v15, 31, v15
	v_cmp_gt_i64_e64 s[0:1], 0, v[8:9]
	v_not_b32_e32 v17, v9
	v_lshlrev_b32_e32 v9, 27, v11
	v_and_b32_e32 v0, v0, v13
	v_and_b32_e32 v1, v1, v14
	v_xor_b32_e32 v13, vcc_hi, v15
	v_xor_b32_e32 v14, vcc_lo, v15
	v_ashrrev_i32_e32 v15, 31, v17
	v_cmp_gt_i64_e32 vcc, 0, v[8:9]
	v_not_b32_e32 v9, v9
	v_and_b32_e32 v0, v0, v13
	v_and_b32_e32 v1, v1, v14
	v_xor_b32_e32 v13, s1, v15
	v_xor_b32_e32 v14, s0, v15
	v_ashrrev_i32_e32 v9, 31, v9
	v_and_b32_e32 v0, v0, v13
	v_and_b32_e32 v1, v1, v14
	v_xor_b32_e32 v13, vcc_hi, v9
	v_xor_b32_e32 v9, vcc_lo, v9
	v_and_b32_e32 v1, v1, v9
	v_lshlrev_b32_e32 v9, 26, v11
	v_cmp_gt_i64_e32 vcc, 0, v[8:9]
	v_not_b32_e32 v9, v9
	v_ashrrev_i32_e32 v9, 31, v9
	v_and_b32_e32 v0, v0, v13
	v_xor_b32_e32 v13, vcc_hi, v9
	v_xor_b32_e32 v9, vcc_lo, v9
	v_and_b32_e32 v1, v1, v9
	v_lshlrev_b32_e32 v9, 25, v11
	v_cmp_gt_i64_e32 vcc, 0, v[8:9]
	v_not_b32_e32 v9, v9
	v_ashrrev_i32_e32 v9, 31, v9
	v_and_b32_e32 v0, v0, v13
	v_xor_b32_e32 v13, vcc_hi, v9
	v_xor_b32_e32 v9, vcc_lo, v9
	v_and_b32_e32 v0, v0, v13
	v_and_b32_e32 v13, v1, v9
	v_lshlrev_b32_e32 v9, 24, v11
	v_not_b32_e32 v1, v9
	v_cmp_gt_i64_e32 vcc, 0, v[8:9]
	v_ashrrev_i32_e32 v1, 31, v1
	v_mul_u32_u24_e32 v10, 9, v11
	v_xor_b32_e32 v9, vcc_hi, v1
	v_xor_b32_e32 v11, vcc_lo, v1
	v_and_b32_e32 v1, v0, v9
	v_and_b32_e32 v0, v13, v11
	v_mbcnt_lo_u32_b32 v9, v0, 0
	v_mbcnt_hi_u32_b32 v11, v1, v9
	v_cmp_eq_u32_e32 vcc, 0, v11
	v_cmp_ne_u64_e64 s[0:1], 0, v[0:1]
	v_add_lshl_u32 v10, v20, v10, 2
	s_and_b64 s[2:3], s[0:1], vcc
	s_and_saveexec_b64 s[0:1], s[2:3]
	s_cbranch_execz .LBB14_89
; %bb.88:
	v_bcnt_u32_b32 v0, v0, 0
	v_bcnt_u32_b32 v0, v1, v0
	ds_write_b32 v10, v0 offset:32
.LBB14_89:
	s_or_b64 exec, exec, s[0:1]
	s_waitcnt vmcnt(4)
	v_xor_b32_e32 v12, -1, v12
	v_lshrrev_b32_sdwa v0, s48, v12 dst_sel:DWORD dst_unused:UNUSED_PAD src0_sel:DWORD src1_sel:BYTE_0
	v_and_b32_e32 v0, s14, v0
	v_mul_u32_u24_e32 v1, 9, v0
	v_add_lshl_u32 v14, v20, v1, 2
	v_and_b32_e32 v1, 1, v0
	v_add_co_u32_e32 v9, vcc, -1, v1
	v_addc_co_u32_e64 v15, s[0:1], 0, -1, vcc
	v_cmp_ne_u32_e32 vcc, 0, v1
	v_xor_b32_e32 v9, vcc_lo, v9
	v_xor_b32_e32 v1, vcc_hi, v15
	v_and_b32_e32 v15, exec_lo, v9
	v_lshlrev_b32_e32 v9, 30, v0
	v_cmp_gt_i64_e32 vcc, 0, v[8:9]
	v_not_b32_e32 v9, v9
	v_ashrrev_i32_e32 v9, 31, v9
	v_xor_b32_e32 v17, vcc_hi, v9
	v_xor_b32_e32 v9, vcc_lo, v9
	v_and_b32_e32 v15, v15, v9
	v_lshlrev_b32_e32 v9, 29, v0
	v_cmp_gt_i64_e32 vcc, 0, v[8:9]
	v_not_b32_e32 v9, v9
	v_and_b32_e32 v1, exec_hi, v1
	v_ashrrev_i32_e32 v9, 31, v9
	v_and_b32_e32 v1, v1, v17
	v_xor_b32_e32 v17, vcc_hi, v9
	v_xor_b32_e32 v9, vcc_lo, v9
	v_and_b32_e32 v15, v15, v9
	v_lshlrev_b32_e32 v9, 28, v0
	v_cmp_gt_i64_e32 vcc, 0, v[8:9]
	v_not_b32_e32 v9, v9
	v_ashrrev_i32_e32 v9, 31, v9
	v_and_b32_e32 v1, v1, v17
	v_xor_b32_e32 v17, vcc_hi, v9
	v_xor_b32_e32 v9, vcc_lo, v9
	v_and_b32_e32 v15, v15, v9
	v_lshlrev_b32_e32 v9, 27, v0
	v_cmp_gt_i64_e32 vcc, 0, v[8:9]
	v_not_b32_e32 v9, v9
	;; [unrolled: 8-line block ×4, first 2 shown]
	v_ashrrev_i32_e32 v9, 31, v9
	v_and_b32_e32 v1, v1, v17
	v_xor_b32_e32 v17, vcc_hi, v9
	v_xor_b32_e32 v9, vcc_lo, v9
	v_and_b32_e32 v15, v15, v9
	v_lshlrev_b32_e32 v9, 24, v0
	v_not_b32_e32 v0, v9
	v_cmp_gt_i64_e32 vcc, 0, v[8:9]
	v_ashrrev_i32_e32 v0, 31, v0
	v_xor_b32_e32 v8, vcc_hi, v0
	v_xor_b32_e32 v0, vcc_lo, v0
	; wave barrier
	ds_read_b32 v13, v14 offset:32
	v_and_b32_e32 v1, v1, v17
	v_and_b32_e32 v0, v15, v0
	;; [unrolled: 1-line block ×3, first 2 shown]
	v_mbcnt_lo_u32_b32 v8, v0, 0
	v_mbcnt_hi_u32_b32 v15, v1, v8
	v_cmp_eq_u32_e32 vcc, 0, v15
	v_cmp_ne_u64_e64 s[0:1], 0, v[0:1]
	s_and_b64 s[2:3], s[0:1], vcc
	; wave barrier
	s_and_saveexec_b64 s[0:1], s[2:3]
	s_cbranch_execz .LBB14_91
; %bb.90:
	v_bcnt_u32_b32 v0, v0, 0
	v_bcnt_u32_b32 v0, v1, v0
	s_waitcnt lgkmcnt(0)
	v_add_u32_e32 v0, v13, v0
	ds_write_b32 v14, v0 offset:32
.LBB14_91:
	s_or_b64 exec, exec, s[0:1]
	s_waitcnt vmcnt(3)
	v_xor_b32_e32 v16, -1, v16
	v_lshrrev_b32_sdwa v0, s48, v16 dst_sel:DWORD dst_unused:UNUSED_PAD src0_sel:DWORD src1_sel:BYTE_0
	v_and_b32_e32 v8, s14, v0
	v_and_b32_e32 v1, 1, v8
	v_add_co_u32_e32 v9, vcc, -1, v1
	v_addc_co_u32_e64 v21, s[0:1], 0, -1, vcc
	v_cmp_ne_u32_e32 vcc, 0, v1
	v_mul_u32_u24_e32 v0, 9, v8
	v_xor_b32_e32 v1, vcc_hi, v21
	v_add_lshl_u32 v19, v20, v0, 2
	v_mov_b32_e32 v0, 0
	v_and_b32_e32 v21, exec_hi, v1
	v_lshlrev_b32_e32 v1, 30, v8
	v_xor_b32_e32 v9, vcc_lo, v9
	v_cmp_gt_i64_e32 vcc, 0, v[0:1]
	v_not_b32_e32 v1, v1
	v_ashrrev_i32_e32 v1, 31, v1
	v_and_b32_e32 v9, exec_lo, v9
	v_xor_b32_e32 v23, vcc_hi, v1
	v_xor_b32_e32 v1, vcc_lo, v1
	v_and_b32_e32 v9, v9, v1
	v_lshlrev_b32_e32 v1, 29, v8
	v_cmp_gt_i64_e32 vcc, 0, v[0:1]
	v_not_b32_e32 v1, v1
	v_ashrrev_i32_e32 v1, 31, v1
	v_and_b32_e32 v21, v21, v23
	v_xor_b32_e32 v23, vcc_hi, v1
	v_xor_b32_e32 v1, vcc_lo, v1
	v_and_b32_e32 v9, v9, v1
	v_lshlrev_b32_e32 v1, 28, v8
	v_cmp_gt_i64_e32 vcc, 0, v[0:1]
	v_not_b32_e32 v1, v1
	v_ashrrev_i32_e32 v1, 31, v1
	v_and_b32_e32 v21, v21, v23
	;; [unrolled: 8-line block ×5, first 2 shown]
	v_xor_b32_e32 v23, vcc_hi, v1
	v_xor_b32_e32 v1, vcc_lo, v1
	v_and_b32_e32 v21, v21, v23
	v_and_b32_e32 v23, v9, v1
	v_lshlrev_b32_e32 v1, 24, v8
	v_cmp_gt_i64_e32 vcc, 0, v[0:1]
	v_not_b32_e32 v1, v1
	v_ashrrev_i32_e32 v1, 31, v1
	v_xor_b32_e32 v8, vcc_hi, v1
	v_xor_b32_e32 v1, vcc_lo, v1
	; wave barrier
	ds_read_b32 v17, v19 offset:32
	v_and_b32_e32 v9, v21, v8
	v_and_b32_e32 v8, v23, v1
	v_mbcnt_lo_u32_b32 v1, v8, 0
	v_mbcnt_hi_u32_b32 v21, v9, v1
	v_cmp_eq_u32_e32 vcc, 0, v21
	v_cmp_ne_u64_e64 s[0:1], 0, v[8:9]
	s_and_b64 s[2:3], s[0:1], vcc
	; wave barrier
	s_and_saveexec_b64 s[0:1], s[2:3]
	s_cbranch_execz .LBB14_93
; %bb.92:
	v_bcnt_u32_b32 v1, v8, 0
	v_bcnt_u32_b32 v1, v9, v1
	s_waitcnt lgkmcnt(0)
	v_add_u32_e32 v1, v17, v1
	ds_write_b32 v19, v1 offset:32
.LBB14_93:
	s_or_b64 exec, exec, s[0:1]
	s_waitcnt vmcnt(2)
	v_xor_b32_e32 v22, -1, v22
	v_lshrrev_b32_sdwa v1, s48, v22 dst_sel:DWORD dst_unused:UNUSED_PAD src0_sel:DWORD src1_sel:BYTE_0
	v_and_b32_e32 v8, s14, v1
	v_mul_u32_u24_e32 v1, 9, v8
	v_add_lshl_u32 v25, v20, v1, 2
	v_and_b32_e32 v1, 1, v8
	v_add_co_u32_e32 v9, vcc, -1, v1
	v_addc_co_u32_e64 v26, s[0:1], 0, -1, vcc
	v_cmp_ne_u32_e32 vcc, 0, v1
	v_xor_b32_e32 v1, vcc_hi, v26
	v_and_b32_e32 v26, exec_hi, v1
	v_lshlrev_b32_e32 v1, 30, v8
	v_xor_b32_e32 v9, vcc_lo, v9
	v_cmp_gt_i64_e32 vcc, 0, v[0:1]
	v_not_b32_e32 v1, v1
	v_ashrrev_i32_e32 v1, 31, v1
	v_and_b32_e32 v9, exec_lo, v9
	v_xor_b32_e32 v27, vcc_hi, v1
	v_xor_b32_e32 v1, vcc_lo, v1
	v_and_b32_e32 v9, v9, v1
	v_lshlrev_b32_e32 v1, 29, v8
	v_cmp_gt_i64_e32 vcc, 0, v[0:1]
	v_not_b32_e32 v1, v1
	v_ashrrev_i32_e32 v1, 31, v1
	v_and_b32_e32 v26, v26, v27
	v_xor_b32_e32 v27, vcc_hi, v1
	v_xor_b32_e32 v1, vcc_lo, v1
	v_and_b32_e32 v9, v9, v1
	v_lshlrev_b32_e32 v1, 28, v8
	v_cmp_gt_i64_e32 vcc, 0, v[0:1]
	v_not_b32_e32 v1, v1
	v_ashrrev_i32_e32 v1, 31, v1
	v_and_b32_e32 v26, v26, v27
	;; [unrolled: 8-line block ×5, first 2 shown]
	v_xor_b32_e32 v27, vcc_hi, v1
	v_xor_b32_e32 v1, vcc_lo, v1
	v_and_b32_e32 v9, v9, v1
	v_lshlrev_b32_e32 v1, 24, v8
	v_cmp_gt_i64_e32 vcc, 0, v[0:1]
	v_not_b32_e32 v0, v1
	v_ashrrev_i32_e32 v0, 31, v0
	v_xor_b32_e32 v1, vcc_hi, v0
	v_xor_b32_e32 v0, vcc_lo, v0
	; wave barrier
	ds_read_b32 v23, v25 offset:32
	v_and_b32_e32 v26, v26, v27
	v_and_b32_e32 v0, v9, v0
	;; [unrolled: 1-line block ×3, first 2 shown]
	v_mbcnt_lo_u32_b32 v8, v0, 0
	v_mbcnt_hi_u32_b32 v26, v1, v8
	v_cmp_eq_u32_e32 vcc, 0, v26
	v_cmp_ne_u64_e64 s[0:1], 0, v[0:1]
	s_and_b64 s[2:3], s[0:1], vcc
	; wave barrier
	s_and_saveexec_b64 s[0:1], s[2:3]
	s_cbranch_execz .LBB14_95
; %bb.94:
	v_bcnt_u32_b32 v0, v0, 0
	v_bcnt_u32_b32 v0, v1, v0
	s_waitcnt lgkmcnt(0)
	v_add_u32_e32 v0, v23, v0
	ds_write_b32 v25, v0 offset:32
.LBB14_95:
	s_or_b64 exec, exec, s[0:1]
	s_waitcnt vmcnt(1)
	v_xor_b32_e32 v24, -1, v24
	v_lshrrev_b32_sdwa v0, s48, v24 dst_sel:DWORD dst_unused:UNUSED_PAD src0_sel:DWORD src1_sel:BYTE_0
	v_and_b32_e32 v8, s14, v0
	v_and_b32_e32 v1, 1, v8
	v_add_co_u32_e32 v9, vcc, -1, v1
	v_addc_co_u32_e64 v29, s[0:1], 0, -1, vcc
	v_cmp_ne_u32_e32 vcc, 0, v1
	v_mul_u32_u24_e32 v0, 9, v8
	v_xor_b32_e32 v1, vcc_hi, v29
	v_add_lshl_u32 v28, v20, v0, 2
	v_mov_b32_e32 v0, 0
	v_and_b32_e32 v29, exec_hi, v1
	v_lshlrev_b32_e32 v1, 30, v8
	v_xor_b32_e32 v9, vcc_lo, v9
	v_cmp_gt_i64_e32 vcc, 0, v[0:1]
	v_not_b32_e32 v1, v1
	v_ashrrev_i32_e32 v1, 31, v1
	v_and_b32_e32 v9, exec_lo, v9
	v_xor_b32_e32 v30, vcc_hi, v1
	v_xor_b32_e32 v1, vcc_lo, v1
	v_and_b32_e32 v9, v9, v1
	v_lshlrev_b32_e32 v1, 29, v8
	v_cmp_gt_i64_e32 vcc, 0, v[0:1]
	v_not_b32_e32 v1, v1
	v_ashrrev_i32_e32 v1, 31, v1
	v_and_b32_e32 v29, v29, v30
	v_xor_b32_e32 v30, vcc_hi, v1
	v_xor_b32_e32 v1, vcc_lo, v1
	v_and_b32_e32 v9, v9, v1
	v_lshlrev_b32_e32 v1, 28, v8
	v_cmp_gt_i64_e32 vcc, 0, v[0:1]
	v_not_b32_e32 v1, v1
	v_ashrrev_i32_e32 v1, 31, v1
	v_and_b32_e32 v29, v29, v30
	;; [unrolled: 8-line block ×5, first 2 shown]
	v_xor_b32_e32 v30, vcc_hi, v1
	v_xor_b32_e32 v1, vcc_lo, v1
	v_and_b32_e32 v29, v29, v30
	v_and_b32_e32 v30, v9, v1
	v_lshlrev_b32_e32 v1, 24, v8
	v_cmp_gt_i64_e32 vcc, 0, v[0:1]
	v_not_b32_e32 v1, v1
	v_ashrrev_i32_e32 v1, 31, v1
	v_xor_b32_e32 v8, vcc_hi, v1
	v_xor_b32_e32 v1, vcc_lo, v1
	; wave barrier
	ds_read_b32 v27, v28 offset:32
	v_and_b32_e32 v9, v29, v8
	v_and_b32_e32 v8, v30, v1
	v_mbcnt_lo_u32_b32 v1, v8, 0
	v_mbcnt_hi_u32_b32 v29, v9, v1
	v_cmp_eq_u32_e32 vcc, 0, v29
	v_cmp_ne_u64_e64 s[0:1], 0, v[8:9]
	s_and_b64 s[2:3], s[0:1], vcc
	; wave barrier
	s_and_saveexec_b64 s[0:1], s[2:3]
	s_cbranch_execz .LBB14_97
; %bb.96:
	v_bcnt_u32_b32 v1, v8, 0
	v_bcnt_u32_b32 v1, v9, v1
	s_waitcnt lgkmcnt(0)
	v_add_u32_e32 v1, v27, v1
	ds_write_b32 v28, v1 offset:32
.LBB14_97:
	s_or_b64 exec, exec, s[0:1]
	s_waitcnt vmcnt(0)
	v_xor_b32_e32 v30, -1, v18
	v_lshrrev_b32_sdwa v1, s48, v30 dst_sel:DWORD dst_unused:UNUSED_PAD src0_sel:DWORD src1_sel:BYTE_0
	v_and_b32_e32 v8, s14, v1
	v_mul_u32_u24_e32 v1, 9, v8
	v_add_lshl_u32 v18, v20, v1, 2
	v_and_b32_e32 v1, 1, v8
	v_add_co_u32_e32 v9, vcc, -1, v1
	v_addc_co_u32_e64 v32, s[0:1], 0, -1, vcc
	v_cmp_ne_u32_e32 vcc, 0, v1
	v_xor_b32_e32 v1, vcc_hi, v32
	v_and_b32_e32 v32, exec_hi, v1
	v_lshlrev_b32_e32 v1, 30, v8
	v_xor_b32_e32 v9, vcc_lo, v9
	v_cmp_gt_i64_e32 vcc, 0, v[0:1]
	v_not_b32_e32 v1, v1
	v_ashrrev_i32_e32 v1, 31, v1
	v_and_b32_e32 v9, exec_lo, v9
	v_xor_b32_e32 v33, vcc_hi, v1
	v_xor_b32_e32 v1, vcc_lo, v1
	v_and_b32_e32 v9, v9, v1
	v_lshlrev_b32_e32 v1, 29, v8
	v_cmp_gt_i64_e32 vcc, 0, v[0:1]
	v_not_b32_e32 v1, v1
	v_ashrrev_i32_e32 v1, 31, v1
	v_and_b32_e32 v32, v32, v33
	v_xor_b32_e32 v33, vcc_hi, v1
	v_xor_b32_e32 v1, vcc_lo, v1
	v_and_b32_e32 v9, v9, v1
	v_lshlrev_b32_e32 v1, 28, v8
	v_cmp_gt_i64_e32 vcc, 0, v[0:1]
	v_not_b32_e32 v1, v1
	v_ashrrev_i32_e32 v1, 31, v1
	v_and_b32_e32 v32, v32, v33
	;; [unrolled: 8-line block ×5, first 2 shown]
	v_xor_b32_e32 v33, vcc_hi, v1
	v_xor_b32_e32 v1, vcc_lo, v1
	v_and_b32_e32 v9, v9, v1
	v_lshlrev_b32_e32 v1, 24, v8
	v_cmp_gt_i64_e32 vcc, 0, v[0:1]
	v_not_b32_e32 v0, v1
	v_ashrrev_i32_e32 v0, 31, v0
	v_xor_b32_e32 v1, vcc_hi, v0
	v_xor_b32_e32 v0, vcc_lo, v0
	; wave barrier
	ds_read_b32 v20, v18 offset:32
	v_and_b32_e32 v32, v32, v33
	v_and_b32_e32 v0, v9, v0
	;; [unrolled: 1-line block ×3, first 2 shown]
	v_mbcnt_lo_u32_b32 v8, v0, 0
	v_mbcnt_hi_u32_b32 v32, v1, v8
	v_cmp_eq_u32_e32 vcc, 0, v32
	v_cmp_ne_u64_e64 s[0:1], 0, v[0:1]
	v_add_u32_e32 v31, 32, v5
	s_and_b64 s[2:3], s[0:1], vcc
	; wave barrier
	s_and_saveexec_b64 s[0:1], s[2:3]
	s_cbranch_execz .LBB14_99
; %bb.98:
	v_bcnt_u32_b32 v0, v0, 0
	v_bcnt_u32_b32 v0, v1, v0
	s_waitcnt lgkmcnt(0)
	v_add_u32_e32 v0, v20, v0
	ds_write_b32 v18, v0 offset:32
.LBB14_99:
	s_or_b64 exec, exec, s[0:1]
	; wave barrier
	s_waitcnt lgkmcnt(0)
	s_barrier
	ds_read2_b32 v[8:9], v5 offset0:8 offset1:9
	ds_read2_b32 v[0:1], v31 offset0:2 offset1:3
	ds_read_b32 v33, v31 offset:16
	v_min_u32_e32 v7, 0x1c0, v7
	v_or_b32_e32 v7, 63, v7
	s_waitcnt lgkmcnt(1)
	v_add3_u32 v34, v9, v8, v0
	s_waitcnt lgkmcnt(0)
	v_add3_u32 v33, v34, v1, v33
	v_and_b32_e32 v34, 15, v6
	v_cmp_ne_u32_e32 vcc, 0, v34
	v_mov_b32_dpp v35, v33 row_shr:1 row_mask:0xf bank_mask:0xf
	v_cndmask_b32_e32 v35, 0, v35, vcc
	v_add_u32_e32 v33, v35, v33
	v_cmp_lt_u32_e32 vcc, 1, v34
	s_nop 0
	v_mov_b32_dpp v35, v33 row_shr:2 row_mask:0xf bank_mask:0xf
	v_cndmask_b32_e32 v35, 0, v35, vcc
	v_add_u32_e32 v33, v33, v35
	v_cmp_lt_u32_e32 vcc, 3, v34
	s_nop 0
	;; [unrolled: 5-line block ×3, first 2 shown]
	v_mov_b32_dpp v35, v33 row_shr:8 row_mask:0xf bank_mask:0xf
	v_cndmask_b32_e32 v34, 0, v35, vcc
	v_add_u32_e32 v33, v33, v34
	v_bfe_i32 v35, v6, 4, 1
	v_cmp_lt_u32_e32 vcc, 31, v6
	v_mov_b32_dpp v34, v33 row_bcast:15 row_mask:0xf bank_mask:0xf
	v_and_b32_e32 v34, v35, v34
	v_add_u32_e32 v33, v33, v34
	s_nop 1
	v_mov_b32_dpp v34, v33 row_bcast:31 row_mask:0xf bank_mask:0xf
	v_cndmask_b32_e32 v34, 0, v34, vcc
	v_add_u32_e32 v33, v33, v34
	v_lshrrev_b32_e32 v34, 6, v2
	v_cmp_eq_u32_e32 vcc, v7, v2
	s_and_saveexec_b64 s[0:1], vcc
	s_cbranch_execz .LBB14_101
; %bb.100:
	v_lshlrev_b32_e32 v7, 2, v34
	ds_write_b32 v7, v33
.LBB14_101:
	s_or_b64 exec, exec, s[0:1]
	v_cmp_gt_u32_e32 vcc, 8, v2
	s_waitcnt lgkmcnt(0)
	s_barrier
	s_and_saveexec_b64 s[0:1], vcc
	s_cbranch_execz .LBB14_103
; %bb.102:
	v_lshlrev_b32_e32 v7, 2, v2
	ds_read_b32 v35, v7
	v_and_b32_e32 v36, 7, v6
	v_cmp_ne_u32_e32 vcc, 0, v36
	s_waitcnt lgkmcnt(0)
	v_mov_b32_dpp v37, v35 row_shr:1 row_mask:0xf bank_mask:0xf
	v_cndmask_b32_e32 v37, 0, v37, vcc
	v_add_u32_e32 v35, v37, v35
	v_cmp_lt_u32_e32 vcc, 1, v36
	s_nop 0
	v_mov_b32_dpp v37, v35 row_shr:2 row_mask:0xf bank_mask:0xf
	v_cndmask_b32_e32 v37, 0, v37, vcc
	v_add_u32_e32 v35, v35, v37
	v_cmp_lt_u32_e32 vcc, 3, v36
	s_nop 0
	v_mov_b32_dpp v37, v35 row_shr:4 row_mask:0xf bank_mask:0xf
	v_cndmask_b32_e32 v36, 0, v37, vcc
	v_add_u32_e32 v35, v35, v36
	ds_write_b32 v7, v35
.LBB14_103:
	s_or_b64 exec, exec, s[0:1]
	v_cmp_lt_u32_e32 vcc, 63, v2
	v_mov_b32_e32 v7, 0
	s_waitcnt lgkmcnt(0)
	s_barrier
	s_and_saveexec_b64 s[0:1], vcc
	s_cbranch_execz .LBB14_105
; %bb.104:
	v_lshl_add_u32 v7, v34, 2, -4
	ds_read_b32 v7, v7
.LBB14_105:
	s_or_b64 exec, exec, s[0:1]
	v_add_u32_e32 v34, -1, v6
	v_and_b32_e32 v35, 64, v6
	v_cmp_lt_i32_e32 vcc, v34, v35
	v_cndmask_b32_e32 v34, v34, v6, vcc
	s_waitcnt lgkmcnt(0)
	v_add_u32_e32 v33, v7, v33
	v_lshlrev_b32_e32 v34, 2, v34
	ds_bpermute_b32 v33, v34, v33
	v_cmp_eq_u32_e32 vcc, 0, v6
	s_movk_i32 s2, 0xff
	s_movk_i32 s3, 0x100
	v_cmp_lt_u32_e64 s[0:1], s2, v2
	s_waitcnt lgkmcnt(0)
	v_cndmask_b32_e32 v7, v33, v7, vcc
	v_cmp_ne_u32_e32 vcc, 0, v2
	v_cndmask_b32_e32 v7, 0, v7, vcc
	v_add_u32_e32 v8, v7, v8
	v_add_u32_e32 v9, v8, v9
	v_add_u32_e32 v0, v9, v0
	v_add_u32_e32 v1, v0, v1
	ds_write2_b32 v5, v7, v8 offset0:8 offset1:9
	ds_write2_b32 v31, v9, v0 offset0:2 offset1:3
	ds_write_b32 v31, v1 offset:16
	s_waitcnt lgkmcnt(0)
	s_barrier
	ds_read_b32 v5, v10 offset:32
	ds_read_b32 v8, v14 offset:32
	;; [unrolled: 1-line block ×6, first 2 shown]
	v_cmp_gt_u32_e32 vcc, s3, v2
	v_pk_mov_b32 v[0:1], 0, 0
                                        ; implicit-def: $vgpr7
	s_and_saveexec_b64 s[4:5], vcc
	s_cbranch_execz .LBB14_109
; %bb.106:
	v_mul_u32_u24_e32 v0, 9, v2
	v_lshlrev_b32_e32 v7, 2, v0
	ds_read_b32 v0, v7 offset:32
	v_cmp_ne_u32_e64 s[2:3], s2, v2
	v_mov_b32_e32 v1, 0xc00
	s_and_saveexec_b64 s[10:11], s[2:3]
	s_cbranch_execz .LBB14_108
; %bb.107:
	ds_read_b32 v1, v7 offset:68
.LBB14_108:
	s_or_b64 exec, exec, s[10:11]
	s_waitcnt lgkmcnt(0)
	v_sub_u32_e32 v7, v1, v0
	v_mov_b32_e32 v1, 0
.LBB14_109:
	s_or_b64 exec, exec, s[4:5]
	s_waitcnt lgkmcnt(5)
	v_add_u32_e32 v19, v5, v11
	s_waitcnt lgkmcnt(4)
	v_add3_u32 v18, v15, v13, v8
	s_waitcnt lgkmcnt(3)
	v_add3_u32 v17, v21, v17, v9
	;; [unrolled: 2-line block ×5, first 2 shown]
	s_barrier
	ds_write_b8 v19, v3 offset:2048
	ds_write_b8 v18, v12 offset:2048
	;; [unrolled: 1-line block ×6, first 2 shown]
	s_waitcnt lgkmcnt(0)
	s_barrier
	s_and_saveexec_b64 s[2:3], s[0:1]
	s_xor_b64 s[0:1], exec, s[2:3]
; %bb.110:
	v_mov_b32_e32 v3, 0
; %bb.111:
	s_andn2_saveexec_b64 s[2:3], s[0:1]
	s_cbranch_execz .LBB14_121
; %bb.112:
	v_lshl_or_b32 v8, s6, 8, v2
	v_mov_b32_e32 v9, 0
	v_lshlrev_b64 v[10:11], 2, v[8:9]
	v_mov_b32_e32 v3, s35
	v_add_co_u32_e64 v10, s[0:1], s34, v10
	v_addc_co_u32_e64 v11, s[0:1], v3, v11, s[0:1]
	v_or_b32_e32 v8, 2.0, v7
	s_mov_b64 s[4:5], 0
	s_brev_b32 s15, 1
	s_mov_b32 s16, s6
	v_mov_b32_e32 v16, 0
	global_store_dword v[10:11], v8, off
                                        ; implicit-def: $sgpr0_sgpr1
	s_branch .LBB14_115
.LBB14_113:                             ;   in Loop: Header=BB14_115 Depth=1
	s_or_b64 exec, exec, s[12:13]
.LBB14_114:                             ;   in Loop: Header=BB14_115 Depth=1
	s_or_b64 exec, exec, s[10:11]
	v_and_b32_e32 v12, 0x3fffffff, v20
	v_add_u32_e32 v16, v12, v16
	v_cmp_eq_u32_e64 s[0:1], s15, v8
	s_and_b64 s[10:11], exec, s[0:1]
	s_or_b64 s[4:5], s[10:11], s[4:5]
	s_andn2_b64 exec, exec, s[4:5]
	s_cbranch_execz .LBB14_120
.LBB14_115:                             ; =>This Loop Header: Depth=1
                                        ;     Child Loop BB14_118 Depth 2
	s_or_b64 s[0:1], s[0:1], exec
	s_cmp_eq_u32 s16, 0
	s_cbranch_scc1 .LBB14_119
; %bb.116:                              ;   in Loop: Header=BB14_115 Depth=1
	s_add_i32 s16, s16, -1
	v_lshl_or_b32 v8, s16, 8, v2
	v_lshlrev_b64 v[12:13], 2, v[8:9]
	v_add_co_u32_e64 v12, s[0:1], s34, v12
	v_addc_co_u32_e64 v13, s[0:1], v3, v13, s[0:1]
	global_load_dword v20, v[12:13], off glc
	s_waitcnt vmcnt(0)
	v_and_b32_e32 v8, -2.0, v20
	v_cmp_eq_u32_e64 s[0:1], 0, v8
	s_and_saveexec_b64 s[10:11], s[0:1]
	s_cbranch_execz .LBB14_114
; %bb.117:                              ;   in Loop: Header=BB14_115 Depth=1
	s_mov_b64 s[12:13], 0
.LBB14_118:                             ;   Parent Loop BB14_115 Depth=1
                                        ; =>  This Inner Loop Header: Depth=2
	global_load_dword v20, v[12:13], off glc
	s_waitcnt vmcnt(0)
	v_and_b32_e32 v8, -2.0, v20
	v_cmp_ne_u32_e64 s[0:1], 0, v8
	s_or_b64 s[12:13], s[0:1], s[12:13]
	s_andn2_b64 exec, exec, s[12:13]
	s_cbranch_execnz .LBB14_118
	s_branch .LBB14_113
.LBB14_119:                             ;   in Loop: Header=BB14_115 Depth=1
                                        ; implicit-def: $sgpr16
	s_and_b64 s[10:11], exec, s[0:1]
	s_or_b64 s[4:5], s[10:11], s[4:5]
	s_andn2_b64 exec, exec, s[4:5]
	s_cbranch_execnz .LBB14_115
.LBB14_120:
	s_or_b64 exec, exec, s[4:5]
	v_add_u32_e32 v3, v16, v7
	v_or_b32_e32 v3, 0x80000000, v3
	global_store_dword v[10:11], v3, off
	v_lshlrev_b32_e32 v10, 3, v2
	global_load_dwordx2 v[8:9], v10, s[44:45]
	v_sub_co_u32_e64 v11, s[0:1], v16, v0
	v_subb_co_u32_e64 v12, s[0:1], 0, v1, s[0:1]
	v_mov_b32_e32 v3, 0
	s_waitcnt vmcnt(0)
	v_add_co_u32_e64 v8, s[0:1], v11, v8
	v_addc_co_u32_e64 v9, s[0:1], v12, v9, s[0:1]
	ds_write_b64 v10, v[8:9]
.LBB14_121:
	s_or_b64 exec, exec, s[2:3]
	s_waitcnt lgkmcnt(0)
	s_barrier
	ds_read_u8 v16, v2 offset:4096
	ds_read_u8 v26, v2 offset:3072
	;; [unrolled: 1-line block ×5, first 2 shown]
	s_waitcnt lgkmcnt(4)
	v_lshrrev_b32_sdwa v8, s48, v16 dst_sel:DWORD dst_unused:UNUSED_PAD src0_sel:DWORD src1_sel:BYTE_0
	v_and_b32_e32 v8, s14, v8
	v_lshlrev_b32_e32 v30, 3, v8
	ds_read_b64 v[8:9], v30
	ds_read_u8 v12, v2 offset:2048
	s_waitcnt lgkmcnt(2)
	v_lshrrev_b32_sdwa v10, s48, v29 dst_sel:DWORD dst_unused:UNUSED_PAD src0_sel:DWORD src1_sel:BYTE_0
	v_and_b32_e32 v10, s14, v10
	v_lshlrev_b32_e32 v31, 3, v10
	ds_read_b64 v[10:11], v31
	s_waitcnt lgkmcnt(1)
	v_lshrrev_b32_sdwa v13, s48, v12 dst_sel:DWORD dst_unused:UNUSED_PAD src0_sel:DWORD src1_sel:BYTE_0
	v_xor_b32_e32 v32, -1, v12
	v_lshrrev_b32_sdwa v12, s48, v28 dst_sel:DWORD dst_unused:UNUSED_PAD src0_sel:DWORD src1_sel:BYTE_0
	v_and_b32_e32 v12, s14, v12
	v_lshlrev_b32_e32 v35, 3, v12
	v_lshrrev_b32_sdwa v12, s48, v26 dst_sel:DWORD dst_unused:UNUSED_PAD src0_sel:DWORD src1_sel:BYTE_0
	v_and_b32_e32 v12, s14, v12
	v_and_b32_e32 v13, s14, v13
	v_lshlrev_b32_e32 v36, 3, v12
	v_lshrrev_b32_sdwa v12, s48, v27 dst_sel:DWORD dst_unused:UNUSED_PAD src0_sel:DWORD src1_sel:BYTE_0
	v_lshlrev_b32_e32 v33, 3, v13
	v_and_b32_e32 v12, s14, v12
	v_lshlrev_b32_e32 v37, 3, v12
	ds_read_b64 v[12:13], v33
	ds_read_b64 v[20:21], v35
	;; [unrolled: 1-line block ×4, first 2 shown]
	v_mov_b32_e32 v34, s39
	s_waitcnt lgkmcnt(3)
	v_add_co_u32_e64 v12, s[0:1], s38, v12
	v_addc_co_u32_e64 v13, s[0:1], v34, v13, s[0:1]
	v_add_co_u32_e64 v12, s[0:1], v12, v2
	v_addc_co_u32_e64 v13, s[0:1], v13, v3, s[0:1]
	global_store_byte v[12:13], v32, off
	v_mov_b32_e32 v12, s39
	s_waitcnt lgkmcnt(2)
	v_add_co_u32_e64 v13, s[0:1], s38, v20
	v_addc_co_u32_e64 v20, s[0:1], v12, v21, s[0:1]
	v_add_co_u32_e64 v12, s[0:1], v13, v2
	v_xor_b32_e32 v28, -1, v28
	v_addc_co_u32_e64 v13, s[0:1], v20, v3, s[0:1]
	global_store_byte v[12:13], v28, off offset:512
	v_mov_b32_e32 v12, s39
	s_waitcnt lgkmcnt(1)
	v_add_co_u32_e64 v13, s[0:1], s38, v22
	v_addc_co_u32_e64 v21, s[0:1], v12, v23, s[0:1]
	v_add_co_u32_e64 v12, s[0:1], v13, v2
	v_xor_b32_e32 v20, -1, v26
	v_addc_co_u32_e64 v13, s[0:1], v21, v3, s[0:1]
	global_store_byte v[12:13], v20, off offset:1024
	;; [unrolled: 8-line block ×3, first 2 shown]
	v_mov_b32_e32 v13, s39
	v_add_co_u32_e64 v8, s[0:1], s38, v8
	v_addc_co_u32_e64 v9, s[0:1], v13, v9, s[0:1]
	v_add_co_u32_e64 v8, s[0:1], v8, v2
	v_xor_b32_e32 v12, -1, v16
	v_addc_co_u32_e64 v9, s[0:1], v9, v3, s[0:1]
	global_store_byte v[8:9], v12, off offset:2048
	v_mov_b32_e32 v8, s39
	v_add_co_u32_e64 v9, s[0:1], s38, v10
	v_addc_co_u32_e64 v10, s[0:1], v8, v11, s[0:1]
	v_add_co_u32_e64 v8, s[0:1], v9, v2
	v_addc_co_u32_e64 v9, s[0:1], v10, v3, s[0:1]
	s_lshl_b64 s[0:1], s[30:31], 3
	s_add_u32 s0, s40, s0
	v_xor_b32_e32 v12, -1, v29
	s_addc_u32 s1, s41, s1
	v_lshlrev_b32_e32 v6, 3, v6
	global_store_byte v[8:9], v12, off offset:2560
	v_mov_b32_e32 v8, s1
	v_add_co_u32_e64 v6, s[0:1], s0, v6
	v_addc_co_u32_e64 v9, s[0:1], 0, v8, s[0:1]
	v_lshlrev_b32_e32 v4, 3, v4
	v_add_co_u32_e64 v8, s[0:1], v6, v4
	v_addc_co_u32_e64 v9, s[0:1], 0, v9, s[0:1]
	global_load_dwordx2 v[10:11], v[8:9], off
	global_load_dwordx2 v[12:13], v[8:9], off offset:512
	global_load_dwordx2 v[20:21], v[8:9], off offset:1024
	;; [unrolled: 1-line block ×5, first 2 shown]
	v_lshlrev_b32_e32 v4, 3, v19
	s_barrier
	v_mov_b32_e32 v9, s43
	v_lshlrev_b32_e32 v8, 3, v2
	v_or_b32_e32 v6, 0x800, v2
	v_mad_u32_u24 v6, v2, 7, v6
	v_lshlrev_b32_e32 v28, 3, v2
	s_add_i32 s7, s7, -1
	s_cmp_eq_u32 s6, s7
	s_waitcnt vmcnt(5)
	ds_write_b64 v4, v[10:11] offset:2048
	v_lshlrev_b32_e32 v4, 3, v18
	s_waitcnt vmcnt(4)
	ds_write_b64 v4, v[12:13] offset:2048
	v_lshlrev_b32_e32 v4, 3, v17
	s_waitcnt vmcnt(3)
	ds_write_b64 v4, v[20:21] offset:2048
	v_lshlrev_b32_e32 v4, 3, v15
	s_waitcnt vmcnt(2)
	ds_write_b64 v4, v[22:23] offset:2048
	v_lshlrev_b32_e32 v4, 3, v14
	s_waitcnt vmcnt(1)
	ds_write_b64 v4, v[24:25] offset:2048
	v_lshlrev_b32_e32 v4, 3, v5
	s_waitcnt vmcnt(0)
	ds_write_b64 v4, v[26:27] offset:2048
	s_waitcnt lgkmcnt(0)
	s_barrier
	ds_read_b64 v[4:5], v33
	ds_read_b64 v[12:13], v35
	;; [unrolled: 1-line block ×4, first 2 shown]
	s_waitcnt lgkmcnt(3)
	v_lshlrev_b64 v[4:5], 3, v[4:5]
	v_add_co_u32_e64 v10, s[0:1], s42, v4
	v_addc_co_u32_e64 v9, s[0:1], v9, v5, s[0:1]
	v_lshlrev_b64 v[4:5], 3, v[2:3]
	v_add_co_u32_e64 v4, s[0:1], v10, v4
	v_addc_co_u32_e64 v5, s[0:1], v9, v5, s[0:1]
	ds_read_b64 v[8:9], v8 offset:2048
	ds_read_b64 v[18:19], v30
	ds_read_b64 v[20:21], v6 offset:20480
	ds_read_b64 v[22:23], v31
	s_waitcnt lgkmcnt(3)
	global_store_dwordx2 v[4:5], v[8:9], off
	ds_read2st64_b64 v[8:11], v6 offset0:8 offset1:16
	v_lshlrev_b64 v[4:5], 3, v[12:13]
	v_mov_b32_e32 v12, s43
	v_add_co_u32_e64 v4, s[0:1], s42, v4
	v_addc_co_u32_e64 v5, s[0:1], v12, v5, s[0:1]
	v_add_u32_e32 v12, 0x1000, v28
	v_add_co_u32_e64 v4, s[0:1], v4, v12
	v_addc_co_u32_e64 v5, s[0:1], 0, v5, s[0:1]
	s_waitcnt lgkmcnt(0)
	global_store_dwordx2 v[4:5], v[8:9], off
	v_lshlrev_b64 v[4:5], 3, v[14:15]
	v_mov_b32_e32 v8, s43
	v_add_co_u32_e64 v4, s[0:1], s42, v4
	v_addc_co_u32_e64 v5, s[0:1], v8, v5, s[0:1]
	v_or_b32_e32 v8, 0x2000, v28
	v_add_co_u32_e64 v4, s[0:1], v4, v8
	v_addc_co_u32_e64 v5, s[0:1], 0, v5, s[0:1]
	global_store_dwordx2 v[4:5], v[10:11], off
	ds_read2st64_b64 v[8:11], v6 offset0:24 offset1:32
	v_lshlrev_b64 v[4:5], 3, v[16:17]
	v_mov_b32_e32 v6, s43
	v_add_co_u32_e64 v4, s[0:1], s42, v4
	v_addc_co_u32_e64 v5, s[0:1], v6, v5, s[0:1]
	v_add_u32_e32 v6, 0x3000, v28
	v_add_co_u32_e64 v4, s[0:1], v4, v6
	v_addc_co_u32_e64 v5, s[0:1], 0, v5, s[0:1]
	s_waitcnt lgkmcnt(0)
	global_store_dwordx2 v[4:5], v[8:9], off
	v_lshlrev_b64 v[4:5], 3, v[18:19]
	v_mov_b32_e32 v6, s43
	v_add_co_u32_e64 v4, s[0:1], s42, v4
	v_addc_co_u32_e64 v5, s[0:1], v6, v5, s[0:1]
	v_or_b32_e32 v6, 0x4000, v28
	v_add_co_u32_e64 v4, s[0:1], v4, v6
	v_addc_co_u32_e64 v5, s[0:1], 0, v5, s[0:1]
	global_store_dwordx2 v[4:5], v[10:11], off
	v_lshlrev_b64 v[4:5], 3, v[22:23]
	v_mov_b32_e32 v6, s43
	v_add_co_u32_e64 v4, s[0:1], s42, v4
	v_addc_co_u32_e64 v5, s[0:1], v6, v5, s[0:1]
	v_add_u32_e32 v6, 0x5000, v28
	v_add_co_u32_e64 v4, s[0:1], v4, v6
	v_addc_co_u32_e64 v5, s[0:1], 0, v5, s[0:1]
	s_cselect_b64 s[0:1], -1, 0
	s_and_b64 s[2:3], vcc, s[0:1]
	global_store_dwordx2 v[4:5], v[20:21], off
                                        ; implicit-def: $vgpr4_vgpr5
	s_and_saveexec_b64 s[0:1], s[2:3]
; %bb.122:
	v_add_co_u32_e32 v4, vcc, v0, v7
	v_addc_co_u32_e32 v5, vcc, 0, v1, vcc
	s_or_b64 s[8:9], s[8:9], exec
; %bb.123:
	s_or_b64 exec, exec, s[0:1]
.LBB14_124:
	s_and_saveexec_b64 s[0:1], s[8:9]
	s_cbranch_execnz .LBB14_126
; %bb.125:
	s_endpgm
.LBB14_126:
	v_lshlrev_b32_e32 v6, 3, v2
	v_lshlrev_b64 v[0:1], 3, v[2:3]
	ds_read_b64 v[2:3], v6
	v_mov_b32_e32 v7, s47
	v_add_co_u32_e32 v0, vcc, s46, v0
	v_addc_co_u32_e32 v1, vcc, v7, v1, vcc
	s_waitcnt lgkmcnt(0)
	v_add_co_u32_e32 v2, vcc, v2, v4
	v_addc_co_u32_e32 v3, vcc, v3, v5, vcc
	global_store_dwordx2 v[0:1], v[2:3], off
	s_endpgm
.LBB14_127:
	global_load_dwordx2 v[4:5], v[18:19], off
	s_or_b64 exec, exec, s[28:29]
                                        ; implicit-def: $vgpr6_vgpr7
	s_and_saveexec_b64 s[28:29], s[0:1]
	s_cbranch_execz .LBB14_59
.LBB14_128:
	global_load_dwordx2 v[6:7], v[18:19], off offset:512
	s_or_b64 exec, exec, s[28:29]
                                        ; implicit-def: $vgpr10_vgpr11
	s_and_saveexec_b64 s[0:1], s[2:3]
	s_cbranch_execz .LBB14_60
.LBB14_129:
	global_load_dwordx2 v[10:11], v[18:19], off offset:1024
	s_or_b64 exec, exec, s[0:1]
                                        ; implicit-def: $vgpr12_vgpr13
	s_and_saveexec_b64 s[0:1], s[26:27]
	s_cbranch_execz .LBB14_61
.LBB14_130:
	global_load_dwordx2 v[12:13], v[18:19], off offset:1536
	s_or_b64 exec, exec, s[0:1]
                                        ; implicit-def: $vgpr14_vgpr15
	s_and_saveexec_b64 s[0:1], s[8:9]
	s_cbranch_execz .LBB14_62
.LBB14_131:
	global_load_dwordx2 v[14:15], v[18:19], off offset:2048
	s_or_b64 exec, exec, s[0:1]
                                        ; implicit-def: $vgpr16_vgpr17
	s_and_saveexec_b64 s[0:1], s[10:11]
	s_cbranch_execnz .LBB14_63
	s_branch .LBB14_64
.LBB14_132:
	v_lshlrev_b32_e32 v4, 3, v34
	ds_read_b64 v[4:5], v4
	ds_read_b64 v[6:7], v3 offset:2048
	v_mov_b32_e32 v10, s43
	s_waitcnt lgkmcnt(1)
	v_lshlrev_b64 v[4:5], 3, v[4:5]
	v_add_co_u32_e32 v4, vcc, s42, v4
	v_addc_co_u32_e32 v5, vcc, v10, v5, vcc
	v_add_co_u32_e32 v4, vcc, v4, v3
	v_addc_co_u32_e32 v5, vcc, 0, v5, vcc
	s_waitcnt lgkmcnt(0)
	global_store_dwordx2 v[4:5], v[6:7], off
	s_or_b64 exec, exec, s[0:1]
	s_and_saveexec_b64 s[0:1], s[16:17]
	s_cbranch_execz .LBB14_78
.LBB14_133:
	v_lshlrev_b32_e32 v4, 3, v32
	ds_read_b64 v[4:5], v4
	ds_read_b64 v[6:7], v3 offset:6144
	v_mov_b32_e32 v10, s43
	s_waitcnt lgkmcnt(1)
	v_lshlrev_b64 v[4:5], 3, v[4:5]
	v_add_co_u32_e32 v4, vcc, s42, v4
	v_addc_co_u32_e32 v5, vcc, v10, v5, vcc
	v_lshlrev_b32_e32 v10, 3, v21
	v_add_co_u32_e32 v4, vcc, v4, v10
	v_addc_co_u32_e32 v5, vcc, 0, v5, vcc
	s_waitcnt lgkmcnt(0)
	global_store_dwordx2 v[4:5], v[6:7], off
	s_or_b64 exec, exec, s[0:1]
	s_and_saveexec_b64 s[0:1], s[18:19]
	s_cbranch_execz .LBB14_79
.LBB14_134:
	v_lshlrev_b32_e32 v4, 3, v33
	ds_read_b64 v[4:5], v4
	ds_read_b64 v[6:7], v3 offset:10240
	v_mov_b32_e32 v10, s43
	s_waitcnt lgkmcnt(1)
	v_lshlrev_b64 v[4:5], 3, v[4:5]
	v_add_co_u32_e32 v4, vcc, s42, v4
	v_addc_co_u32_e32 v5, vcc, v10, v5, vcc
	v_lshlrev_b32_e32 v10, 3, v24
	v_add_co_u32_e32 v4, vcc, v4, v10
	v_addc_co_u32_e32 v5, vcc, 0, v5, vcc
	s_waitcnt lgkmcnt(0)
	global_store_dwordx2 v[4:5], v[6:7], off
	s_or_b64 exec, exec, s[0:1]
	s_and_saveexec_b64 s[0:1], s[20:21]
	s_cbranch_execz .LBB14_80
.LBB14_135:
	v_lshlrev_b32_e32 v4, 3, v19
	ds_read_b64 v[4:5], v4
	ds_read_b64 v[6:7], v3 offset:14336
	v_mov_b32_e32 v10, s43
	s_waitcnt lgkmcnt(1)
	v_lshlrev_b64 v[4:5], 3, v[4:5]
	v_add_co_u32_e32 v4, vcc, s42, v4
	v_addc_co_u32_e32 v5, vcc, v10, v5, vcc
	v_lshlrev_b32_e32 v10, 3, v25
	v_add_co_u32_e32 v4, vcc, v4, v10
	v_addc_co_u32_e32 v5, vcc, 0, v5, vcc
	s_waitcnt lgkmcnt(0)
	global_store_dwordx2 v[4:5], v[6:7], off
	s_or_b64 exec, exec, s[0:1]
	s_and_saveexec_b64 s[0:1], s[22:23]
	s_cbranch_execz .LBB14_81
.LBB14_136:
	v_lshlrev_b32_e32 v4, 3, v31
	ds_read_b64 v[4:5], v4
	ds_read_b64 v[6:7], v3 offset:18432
	v_mov_b32_e32 v10, s43
	s_waitcnt lgkmcnt(1)
	v_lshlrev_b64 v[4:5], 3, v[4:5]
	v_add_co_u32_e32 v4, vcc, s42, v4
	v_addc_co_u32_e32 v5, vcc, v10, v5, vcc
	v_lshlrev_b32_e32 v10, 3, v29
	v_add_co_u32_e32 v4, vcc, v4, v10
	v_addc_co_u32_e32 v5, vcc, 0, v5, vcc
	s_waitcnt lgkmcnt(0)
	global_store_dwordx2 v[4:5], v[6:7], off
	s_or_b64 exec, exec, s[0:1]
	s_and_saveexec_b64 s[0:1], s[24:25]
	s_cbranch_execnz .LBB14_82
	s_branch .LBB14_83
	.section	.rodata,"a",@progbits
	.p2align	6, 0x0
	.amdhsa_kernel _ZN7rocprim17ROCPRIM_304000_NS6detail25onesweep_iteration_kernelINS1_34wrapped_radix_sort_onesweep_configINS0_14default_configEhN2at4cuda3cub6detail10OpaqueTypeILi8EEEEELb1EPKhPhPKSA_PSA_mNS0_19identity_decomposerEEEvT1_T2_T3_T4_jPT5_SO_PNS1_23onesweep_lookback_stateET6_jjj
		.amdhsa_group_segment_fixed_size 26624
		.amdhsa_private_segment_fixed_size 0
		.amdhsa_kernarg_size 336
		.amdhsa_user_sgpr_count 6
		.amdhsa_user_sgpr_private_segment_buffer 1
		.amdhsa_user_sgpr_dispatch_ptr 0
		.amdhsa_user_sgpr_queue_ptr 0
		.amdhsa_user_sgpr_kernarg_segment_ptr 1
		.amdhsa_user_sgpr_dispatch_id 0
		.amdhsa_user_sgpr_flat_scratch_init 0
		.amdhsa_user_sgpr_kernarg_preload_length 0
		.amdhsa_user_sgpr_kernarg_preload_offset 0
		.amdhsa_user_sgpr_private_segment_size 0
		.amdhsa_uses_dynamic_stack 0
		.amdhsa_system_sgpr_private_segment_wavefront_offset 0
		.amdhsa_system_sgpr_workgroup_id_x 1
		.amdhsa_system_sgpr_workgroup_id_y 0
		.amdhsa_system_sgpr_workgroup_id_z 0
		.amdhsa_system_sgpr_workgroup_info 0
		.amdhsa_system_vgpr_workitem_id 2
		.amdhsa_next_free_vgpr 40
		.amdhsa_next_free_sgpr 53
		.amdhsa_accum_offset 40
		.amdhsa_reserve_vcc 1
		.amdhsa_reserve_flat_scratch 0
		.amdhsa_float_round_mode_32 0
		.amdhsa_float_round_mode_16_64 0
		.amdhsa_float_denorm_mode_32 3
		.amdhsa_float_denorm_mode_16_64 3
		.amdhsa_dx10_clamp 1
		.amdhsa_ieee_mode 1
		.amdhsa_fp16_overflow 0
		.amdhsa_tg_split 0
		.amdhsa_exception_fp_ieee_invalid_op 0
		.amdhsa_exception_fp_denorm_src 0
		.amdhsa_exception_fp_ieee_div_zero 0
		.amdhsa_exception_fp_ieee_overflow 0
		.amdhsa_exception_fp_ieee_underflow 0
		.amdhsa_exception_fp_ieee_inexact 0
		.amdhsa_exception_int_div_zero 0
	.end_amdhsa_kernel
	.section	.text._ZN7rocprim17ROCPRIM_304000_NS6detail25onesweep_iteration_kernelINS1_34wrapped_radix_sort_onesweep_configINS0_14default_configEhN2at4cuda3cub6detail10OpaqueTypeILi8EEEEELb1EPKhPhPKSA_PSA_mNS0_19identity_decomposerEEEvT1_T2_T3_T4_jPT5_SO_PNS1_23onesweep_lookback_stateET6_jjj,"axG",@progbits,_ZN7rocprim17ROCPRIM_304000_NS6detail25onesweep_iteration_kernelINS1_34wrapped_radix_sort_onesweep_configINS0_14default_configEhN2at4cuda3cub6detail10OpaqueTypeILi8EEEEELb1EPKhPhPKSA_PSA_mNS0_19identity_decomposerEEEvT1_T2_T3_T4_jPT5_SO_PNS1_23onesweep_lookback_stateET6_jjj,comdat
.Lfunc_end14:
	.size	_ZN7rocprim17ROCPRIM_304000_NS6detail25onesweep_iteration_kernelINS1_34wrapped_radix_sort_onesweep_configINS0_14default_configEhN2at4cuda3cub6detail10OpaqueTypeILi8EEEEELb1EPKhPhPKSA_PSA_mNS0_19identity_decomposerEEEvT1_T2_T3_T4_jPT5_SO_PNS1_23onesweep_lookback_stateET6_jjj, .Lfunc_end14-_ZN7rocprim17ROCPRIM_304000_NS6detail25onesweep_iteration_kernelINS1_34wrapped_radix_sort_onesweep_configINS0_14default_configEhN2at4cuda3cub6detail10OpaqueTypeILi8EEEEELb1EPKhPhPKSA_PSA_mNS0_19identity_decomposerEEEvT1_T2_T3_T4_jPT5_SO_PNS1_23onesweep_lookback_stateET6_jjj
                                        ; -- End function
	.section	.AMDGPU.csdata,"",@progbits
; Kernel info:
; codeLenInByte = 11432
; NumSgprs: 57
; NumVgprs: 40
; NumAgprs: 0
; TotalNumVgprs: 40
; ScratchSize: 0
; MemoryBound: 0
; FloatMode: 240
; IeeeMode: 1
; LDSByteSize: 26624 bytes/workgroup (compile time only)
; SGPRBlocks: 7
; VGPRBlocks: 4
; NumSGPRsForWavesPerEU: 57
; NumVGPRsForWavesPerEU: 40
; AccumOffset: 40
; Occupancy: 4
; WaveLimiterHint : 1
; COMPUTE_PGM_RSRC2:SCRATCH_EN: 0
; COMPUTE_PGM_RSRC2:USER_SGPR: 6
; COMPUTE_PGM_RSRC2:TRAP_HANDLER: 0
; COMPUTE_PGM_RSRC2:TGID_X_EN: 1
; COMPUTE_PGM_RSRC2:TGID_Y_EN: 0
; COMPUTE_PGM_RSRC2:TGID_Z_EN: 0
; COMPUTE_PGM_RSRC2:TIDIG_COMP_CNT: 2
; COMPUTE_PGM_RSRC3_GFX90A:ACCUM_OFFSET: 9
; COMPUTE_PGM_RSRC3_GFX90A:TG_SPLIT: 0
	.section	.text._ZN7rocprim17ROCPRIM_304000_NS6detail25onesweep_iteration_kernelINS1_34wrapped_radix_sort_onesweep_configINS0_14default_configEhN2at4cuda3cub6detail10OpaqueTypeILi8EEEEELb1EPhSC_PSA_SD_mNS0_19identity_decomposerEEEvT1_T2_T3_T4_jPT5_SK_PNS1_23onesweep_lookback_stateET6_jjj,"axG",@progbits,_ZN7rocprim17ROCPRIM_304000_NS6detail25onesweep_iteration_kernelINS1_34wrapped_radix_sort_onesweep_configINS0_14default_configEhN2at4cuda3cub6detail10OpaqueTypeILi8EEEEELb1EPhSC_PSA_SD_mNS0_19identity_decomposerEEEvT1_T2_T3_T4_jPT5_SK_PNS1_23onesweep_lookback_stateET6_jjj,comdat
	.protected	_ZN7rocprim17ROCPRIM_304000_NS6detail25onesweep_iteration_kernelINS1_34wrapped_radix_sort_onesweep_configINS0_14default_configEhN2at4cuda3cub6detail10OpaqueTypeILi8EEEEELb1EPhSC_PSA_SD_mNS0_19identity_decomposerEEEvT1_T2_T3_T4_jPT5_SK_PNS1_23onesweep_lookback_stateET6_jjj ; -- Begin function _ZN7rocprim17ROCPRIM_304000_NS6detail25onesweep_iteration_kernelINS1_34wrapped_radix_sort_onesweep_configINS0_14default_configEhN2at4cuda3cub6detail10OpaqueTypeILi8EEEEELb1EPhSC_PSA_SD_mNS0_19identity_decomposerEEEvT1_T2_T3_T4_jPT5_SK_PNS1_23onesweep_lookback_stateET6_jjj
	.globl	_ZN7rocprim17ROCPRIM_304000_NS6detail25onesweep_iteration_kernelINS1_34wrapped_radix_sort_onesweep_configINS0_14default_configEhN2at4cuda3cub6detail10OpaqueTypeILi8EEEEELb1EPhSC_PSA_SD_mNS0_19identity_decomposerEEEvT1_T2_T3_T4_jPT5_SK_PNS1_23onesweep_lookback_stateET6_jjj
	.p2align	8
	.type	_ZN7rocprim17ROCPRIM_304000_NS6detail25onesweep_iteration_kernelINS1_34wrapped_radix_sort_onesweep_configINS0_14default_configEhN2at4cuda3cub6detail10OpaqueTypeILi8EEEEELb1EPhSC_PSA_SD_mNS0_19identity_decomposerEEEvT1_T2_T3_T4_jPT5_SK_PNS1_23onesweep_lookback_stateET6_jjj,@function
_ZN7rocprim17ROCPRIM_304000_NS6detail25onesweep_iteration_kernelINS1_34wrapped_radix_sort_onesweep_configINS0_14default_configEhN2at4cuda3cub6detail10OpaqueTypeILi8EEEEELb1EPhSC_PSA_SD_mNS0_19identity_decomposerEEEvT1_T2_T3_T4_jPT5_SK_PNS1_23onesweep_lookback_stateET6_jjj: ; @_ZN7rocprim17ROCPRIM_304000_NS6detail25onesweep_iteration_kernelINS1_34wrapped_radix_sort_onesweep_configINS0_14default_configEhN2at4cuda3cub6detail10OpaqueTypeILi8EEEEELb1EPhSC_PSA_SD_mNS0_19identity_decomposerEEEvT1_T2_T3_T4_jPT5_SK_PNS1_23onesweep_lookback_stateET6_jjj
; %bb.0:
	s_load_dwordx4 s[48:51], s[4:5], 0x44
	s_load_dwordx8 s[36:43], s[4:5], 0x0
	s_load_dwordx4 s[44:47], s[4:5], 0x28
	s_load_dwordx2 s[34:35], s[4:5], 0x38
	s_mul_i32 s30, s6, 0xc00
	s_waitcnt lgkmcnt(0)
	s_cmp_ge_u32 s6, s50
	v_mbcnt_lo_u32_b32 v1, -1, 0
	s_cbranch_scc0 .LBB15_86
; %bb.1:
	s_load_dword s0, s[4:5], 0x20
	s_mul_i32 s33, s50, 0xfffff400
	v_and_b32_e32 v2, 0x3ff, v0
	v_mbcnt_hi_u32_b32 v6, -1, v1
	v_and_b32_e32 v3, 0x1c0, v2
	s_waitcnt lgkmcnt(0)
	s_add_i32 s33, s33, s0
	s_add_u32 s0, s36, s30
	s_addc_u32 s1, s37, 0
	v_mov_b32_e32 v5, s1
	v_add_co_u32_e32 v7, vcc, s0, v6
	v_mul_u32_u24_e32 v4, 6, v3
	v_addc_co_u32_e32 v5, vcc, 0, v5, vcc
	s_mov_b32 s31, 0
	v_add_co_u32_e32 v10, vcc, v7, v4
	v_addc_co_u32_e32 v11, vcc, 0, v5, vcc
	v_or_b32_e32 v5, v6, v4
	s_mov_b32 s0, s31
	s_mov_b32 s1, s31
	v_cmp_gt_u32_e32 vcc, s33, v5
	v_pk_mov_b32 v[8:9], s[0:1], s[0:1] op_sel:[0,1]
	s_and_saveexec_b64 s[0:1], vcc
	s_cbranch_execz .LBB15_3
; %bb.2:
	global_load_ubyte v7, v[10:11], off
	v_mov_b32_e32 v9, s31
	s_waitcnt vmcnt(0)
	v_and_b32_e32 v8, 0xffff, v7
.LBB15_3:
	s_or_b64 exec, exec, s[0:1]
	v_add_u32_e32 v7, 64, v5
	v_cmp_gt_u32_e64 s[0:1], s33, v7
	s_and_saveexec_b64 s[2:3], s[0:1]
	s_cbranch_execz .LBB15_5
; %bb.4:
	global_load_ubyte v7, v[10:11], off offset:64
	s_movk_i32 s7, 0xff
	v_lshrrev_b32_e32 v12, 24, v8
	v_mov_b32_e32 v13, 8
	v_lshlrev_b16_e32 v12, 8, v12
	v_and_b32_sdwa v14, v8, s7 dst_sel:DWORD dst_unused:UNUSED_PAD src0_sel:WORD_1 src1_sel:DWORD
	v_lshrrev_b32_sdwa v13, v13, v9 dst_sel:BYTE_1 dst_unused:UNUSED_PAD src0_sel:DWORD src1_sel:DWORD
	v_or_b32_sdwa v12, v14, v12 dst_sel:WORD_1 dst_unused:UNUSED_PAD src0_sel:DWORD src1_sel:DWORD
	v_or_b32_sdwa v9, v9, v13 dst_sel:DWORD dst_unused:UNUSED_PAD src0_sel:BYTE_0 src1_sel:DWORD
	v_and_b32_e32 v9, 0xffff, v9
	s_waitcnt vmcnt(0)
	v_lshlrev_b16_e32 v7, 8, v7
	v_or_b32_sdwa v7, v8, v7 dst_sel:DWORD dst_unused:UNUSED_PAD src0_sel:BYTE_0 src1_sel:DWORD
	v_or_b32_sdwa v8, v7, v12 dst_sel:DWORD dst_unused:UNUSED_PAD src0_sel:WORD_0 src1_sel:DWORD
.LBB15_5:
	s_or_b64 exec, exec, s[2:3]
	v_add_u32_e32 v7, 0x80, v5
	v_cmp_gt_u32_e64 s[2:3], s33, v7
	s_and_saveexec_b64 s[8:9], s[2:3]
	s_cbranch_execz .LBB15_7
; %bb.6:
	global_load_ubyte v7, v[10:11], off offset:128
	v_mov_b32_e32 v12, 8
	v_lshrrev_b32_sdwa v13, v12, v9 dst_sel:BYTE_1 dst_unused:UNUSED_PAD src0_sel:DWORD src1_sel:DWORD
	v_lshrrev_b32_sdwa v12, v12, v8 dst_sel:BYTE_1 dst_unused:UNUSED_PAD src0_sel:DWORD src1_sel:DWORD
	v_or_b32_sdwa v12, v8, v12 dst_sel:DWORD dst_unused:UNUSED_PAD src0_sel:BYTE_0 src1_sel:DWORD
	v_lshrrev_b32_e32 v8, 24, v8
	v_lshlrev_b16_e32 v8, 8, v8
	v_or_b32_sdwa v9, v9, v13 dst_sel:DWORD dst_unused:UNUSED_PAD src0_sel:BYTE_0 src1_sel:DWORD
	v_and_b32_e32 v9, 0xffff, v9
	s_waitcnt vmcnt(0)
	v_or_b32_sdwa v7, v7, v8 dst_sel:WORD_1 dst_unused:UNUSED_PAD src0_sel:DWORD src1_sel:DWORD
	v_or_b32_sdwa v8, v12, v7 dst_sel:DWORD dst_unused:UNUSED_PAD src0_sel:WORD_0 src1_sel:DWORD
.LBB15_7:
	s_or_b64 exec, exec, s[8:9]
	v_add_u32_e32 v7, 0xc0, v5
	v_cmp_gt_u32_e64 s[26:27], s33, v7
	s_and_saveexec_b64 s[8:9], s[26:27]
	s_cbranch_execz .LBB15_9
; %bb.8:
	global_load_ubyte v7, v[10:11], off offset:192
	s_movk_i32 s7, 0xff
	v_mov_b32_e32 v12, 8
	v_lshrrev_b32_sdwa v13, v12, v8 dst_sel:BYTE_1 dst_unused:UNUSED_PAD src0_sel:DWORD src1_sel:DWORD
	v_and_b32_sdwa v14, v8, s7 dst_sel:DWORD dst_unused:UNUSED_PAD src0_sel:WORD_1 src1_sel:DWORD
	v_lshrrev_b32_sdwa v12, v12, v9 dst_sel:BYTE_1 dst_unused:UNUSED_PAD src0_sel:DWORD src1_sel:DWORD
	v_or_b32_sdwa v8, v8, v13 dst_sel:DWORD dst_unused:UNUSED_PAD src0_sel:BYTE_0 src1_sel:DWORD
	v_or_b32_sdwa v9, v9, v12 dst_sel:DWORD dst_unused:UNUSED_PAD src0_sel:BYTE_0 src1_sel:DWORD
	v_and_b32_e32 v9, 0xffff, v9
	s_waitcnt vmcnt(0)
	v_lshlrev_b16_e32 v7, 8, v7
	v_or_b32_sdwa v7, v14, v7 dst_sel:WORD_1 dst_unused:UNUSED_PAD src0_sel:DWORD src1_sel:DWORD
	v_or_b32_sdwa v8, v8, v7 dst_sel:DWORD dst_unused:UNUSED_PAD src0_sel:WORD_0 src1_sel:DWORD
.LBB15_9:
	s_or_b64 exec, exec, s[8:9]
	v_add_u32_e32 v7, 0x100, v5
	v_cmp_gt_u32_e64 s[8:9], s33, v7
	s_and_saveexec_b64 s[10:11], s[8:9]
	s_cbranch_execz .LBB15_11
; %bb.10:
	global_load_ubyte v7, v[10:11], off offset:256
	v_mov_b32_e32 v12, 8
	v_lshrrev_b32_sdwa v9, v12, v9 dst_sel:BYTE_1 dst_unused:UNUSED_PAD src0_sel:DWORD src1_sel:DWORD
	s_mov_b32 s7, 0x3020104
	v_perm_b32 v8, v8, v8, s7
	s_waitcnt vmcnt(0)
	v_or_b32_e32 v7, v7, v9
	v_and_b32_e32 v9, 0xffff, v7
.LBB15_11:
	s_or_b64 exec, exec, s[10:11]
	v_add_u32_e32 v5, 0x140, v5
	v_cmp_gt_u32_e64 s[10:11], s33, v5
	s_and_saveexec_b64 s[12:13], s[10:11]
	s_cbranch_execz .LBB15_13
; %bb.12:
	global_load_ubyte v5, v[10:11], off offset:320
	s_mov_b32 s7, 0x3020104
	v_perm_b32 v8, v8, v8, s7
	s_waitcnt vmcnt(0)
	v_lshlrev_b16_e32 v5, 8, v5
	v_or_b32_sdwa v5, v9, v5 dst_sel:DWORD dst_unused:UNUSED_PAD src0_sel:BYTE_0 src1_sel:DWORD
	v_and_b32_e32 v9, 0xffff, v5
.LBB15_13:
	s_or_b64 exec, exec, s[12:13]
	s_load_dword s12, s[4:5], 0x5c
	s_load_dword s7, s[4:5], 0x50
	s_add_u32 s13, s4, 0x50
	s_addc_u32 s14, s5, 0
	v_mov_b32_e32 v10, 0
	s_waitcnt lgkmcnt(0)
	s_lshr_b32 s15, s12, 16
	s_cmp_lt_u32 s6, s7
	s_cselect_b32 s12, 12, 18
	s_add_u32 s12, s13, s12
	s_addc_u32 s13, s14, 0
	global_load_ushort v12, v10, s[12:13]
	v_xor_b32_e32 v5, -1, v8
	s_lshl_b32 s12, -1, s49
	v_lshrrev_b32_sdwa v14, s48, v5 dst_sel:DWORD dst_unused:UNUSED_PAD src0_sel:DWORD src1_sel:BYTE_0
	s_not_b32 s52, s12
	v_and_b32_e32 v14, s52, v14
	v_and_b32_e32 v16, 1, v14
	v_bfe_u32 v11, v0, 10, 10
	v_bfe_u32 v13, v0, 20, 10
	v_add_co_u32_e64 v17, s[12:13], -1, v16
	v_mad_u32_u24 v13, v13, s15, v11
	v_lshlrev_b32_e32 v11, 30, v14
	v_addc_co_u32_e64 v18, s[12:13], 0, -1, s[12:13]
	v_cmp_ne_u32_e64 s[12:13], 0, v16
	v_cmp_gt_i64_e64 s[14:15], 0, v[10:11]
	v_not_b32_e32 v16, v11
	v_lshlrev_b32_e32 v11, 29, v14
	v_xor_b32_e32 v18, s13, v18
	v_xor_b32_e32 v17, s12, v17
	v_ashrrev_i32_e32 v16, 31, v16
	v_cmp_gt_i64_e64 s[12:13], 0, v[10:11]
	v_not_b32_e32 v19, v11
	v_lshlrev_b32_e32 v11, 28, v14
	v_and_b32_e32 v18, exec_hi, v18
	v_and_b32_e32 v17, exec_lo, v17
	v_xor_b32_e32 v20, s15, v16
	v_xor_b32_e32 v16, s14, v16
	v_ashrrev_i32_e32 v19, 31, v19
	v_cmp_gt_i64_e64 s[14:15], 0, v[10:11]
	v_not_b32_e32 v21, v11
	v_lshlrev_b32_e32 v11, 27, v14
	v_and_b32_e32 v18, v18, v20
	v_and_b32_e32 v16, v17, v16
	v_xor_b32_e32 v17, s13, v19
	v_xor_b32_e32 v19, s12, v19
	v_ashrrev_i32_e32 v20, 31, v21
	v_cmp_gt_i64_e64 s[12:13], 0, v[10:11]
	v_not_b32_e32 v21, v11
	v_lshlrev_b32_e32 v11, 26, v14
	v_and_b32_e32 v17, v18, v17
	v_and_b32_e32 v16, v16, v19
	;; [unrolled: 8-line block ×3, first 2 shown]
	v_xor_b32_e32 v18, s13, v20
	v_xor_b32_e32 v19, s12, v20
	v_ashrrev_i32_e32 v20, 31, v21
	v_cmp_gt_i64_e64 s[12:13], 0, v[10:11]
	v_not_b32_e32 v21, v11
	v_lshlrev_b32_e32 v11, 24, v14
	v_mul_u32_u24_e32 v15, 9, v14
	v_and_b32_e32 v14, v17, v18
	v_and_b32_e32 v16, v16, v19
	v_xor_b32_e32 v17, s15, v20
	v_xor_b32_e32 v18, s14, v20
	v_ashrrev_i32_e32 v19, 31, v21
	v_cmp_gt_i64_e64 s[14:15], 0, v[10:11]
	v_not_b32_e32 v11, v11
	v_and_b32_e32 v14, v14, v17
	v_and_b32_e32 v16, v16, v18
	v_xor_b32_e32 v17, s13, v19
	v_xor_b32_e32 v18, s12, v19
	v_ashrrev_i32_e32 v11, 31, v11
	v_and_b32_e32 v14, v14, v17
	v_and_b32_e32 v16, v16, v18
	v_mul_u32_u24_e32 v7, 5, v2
	v_lshlrev_b32_e32 v7, 2, v7
	ds_write2_b32 v7, v10, v10 offset0:8 offset1:9
	ds_write2_b32 v7, v10, v10 offset0:10 offset1:11
	ds_write_b32 v7, v10 offset:48
	s_waitcnt lgkmcnt(0)
	s_barrier
	s_waitcnt lgkmcnt(0)
	; wave barrier
	s_waitcnt vmcnt(0)
	v_mad_u64_u32 v[12:13], s[12:13], v13, v12, v[2:3]
	v_lshrrev_b32_e32 v26, 6, v12
	v_xor_b32_e32 v12, s15, v11
	v_xor_b32_e32 v11, s14, v11
	v_and_b32_e32 v13, v14, v12
	v_and_b32_e32 v12, v16, v11
	v_mbcnt_lo_u32_b32 v11, v12, 0
	v_mbcnt_hi_u32_b32 v14, v13, v11
	v_cmp_eq_u32_e64 s[12:13], 0, v14
	v_cmp_ne_u64_e64 s[14:15], 0, v[12:13]
	v_add_lshl_u32 v17, v26, v15, 2
	s_and_b64 s[14:15], s[14:15], s[12:13]
	s_and_saveexec_b64 s[12:13], s[14:15]
	s_cbranch_execz .LBB15_15
; %bb.14:
	v_bcnt_u32_b32 v11, v12, 0
	v_bcnt_u32_b32 v11, v13, v11
	ds_write_b32 v17, v11 offset:32
.LBB15_15:
	s_or_b64 exec, exec, s[12:13]
	v_lshrrev_b32_e32 v11, 8, v8
	v_xor_b32_e32 v15, -1, v11
	v_lshrrev_b32_sdwa v11, s48, v15 dst_sel:DWORD dst_unused:UNUSED_PAD src0_sel:DWORD src1_sel:BYTE_0
	v_and_b32_e32 v12, s52, v11
	v_mul_u32_u24_e32 v11, 9, v12
	v_add_lshl_u32 v18, v26, v11, 2
	v_and_b32_e32 v11, 1, v12
	v_add_co_u32_e64 v13, s[12:13], -1, v11
	v_addc_co_u32_e64 v19, s[12:13], 0, -1, s[12:13]
	v_cmp_ne_u32_e64 s[12:13], 0, v11
	v_xor_b32_e32 v11, s13, v19
	v_and_b32_e32 v19, exec_hi, v11
	v_lshlrev_b32_e32 v11, 30, v12
	v_xor_b32_e32 v13, s12, v13
	v_cmp_gt_i64_e64 s[12:13], 0, v[10:11]
	v_not_b32_e32 v11, v11
	v_ashrrev_i32_e32 v11, 31, v11
	v_and_b32_e32 v13, exec_lo, v13
	v_xor_b32_e32 v20, s13, v11
	v_xor_b32_e32 v11, s12, v11
	v_and_b32_e32 v13, v13, v11
	v_lshlrev_b32_e32 v11, 29, v12
	v_cmp_gt_i64_e64 s[12:13], 0, v[10:11]
	v_not_b32_e32 v11, v11
	v_ashrrev_i32_e32 v11, 31, v11
	v_and_b32_e32 v19, v19, v20
	v_xor_b32_e32 v20, s13, v11
	v_xor_b32_e32 v11, s12, v11
	v_and_b32_e32 v13, v13, v11
	v_lshlrev_b32_e32 v11, 28, v12
	v_cmp_gt_i64_e64 s[12:13], 0, v[10:11]
	v_not_b32_e32 v11, v11
	v_ashrrev_i32_e32 v11, 31, v11
	v_and_b32_e32 v19, v19, v20
	;; [unrolled: 8-line block ×5, first 2 shown]
	v_xor_b32_e32 v20, s13, v11
	v_xor_b32_e32 v11, s12, v11
	v_and_b32_e32 v13, v13, v11
	v_lshlrev_b32_e32 v11, 24, v12
	v_cmp_gt_i64_e64 s[12:13], 0, v[10:11]
	v_not_b32_e32 v10, v11
	v_ashrrev_i32_e32 v10, 31, v10
	v_xor_b32_e32 v11, s13, v10
	v_xor_b32_e32 v10, s12, v10
	; wave barrier
	ds_read_b32 v16, v18 offset:32
	v_and_b32_e32 v19, v19, v20
	v_and_b32_e32 v10, v13, v10
	;; [unrolled: 1-line block ×3, first 2 shown]
	v_mbcnt_lo_u32_b32 v12, v10, 0
	v_mbcnt_hi_u32_b32 v19, v11, v12
	v_cmp_eq_u32_e64 s[12:13], 0, v19
	v_cmp_ne_u64_e64 s[14:15], 0, v[10:11]
	s_and_b64 s[14:15], s[14:15], s[12:13]
	; wave barrier
	s_and_saveexec_b64 s[12:13], s[14:15]
	s_cbranch_execz .LBB15_17
; %bb.16:
	v_bcnt_u32_b32 v10, v10, 0
	v_bcnt_u32_b32 v10, v11, v10
	s_waitcnt lgkmcnt(0)
	v_add_u32_e32 v10, v16, v10
	ds_write_b32 v18, v10 offset:32
.LBB15_17:
	s_or_b64 exec, exec, s[12:13]
	v_mov_b32_e32 v10, -1
	v_xor_b32_sdwa v21, v8, v10 dst_sel:DWORD dst_unused:UNUSED_PAD src0_sel:WORD_1 src1_sel:DWORD
	v_lshrrev_b32_sdwa v10, s48, v21 dst_sel:DWORD dst_unused:UNUSED_PAD src0_sel:DWORD src1_sel:BYTE_0
	v_and_b32_e32 v12, s52, v10
	v_and_b32_e32 v11, 1, v12
	v_add_co_u32_e64 v13, s[12:13], -1, v11
	v_addc_co_u32_e64 v23, s[12:13], 0, -1, s[12:13]
	v_cmp_ne_u32_e64 s[12:13], 0, v11
	v_mul_u32_u24_e32 v10, 9, v12
	v_xor_b32_e32 v11, s13, v23
	v_add_lshl_u32 v20, v26, v10, 2
	v_mov_b32_e32 v10, 0
	v_and_b32_e32 v23, exec_hi, v11
	v_lshlrev_b32_e32 v11, 30, v12
	v_xor_b32_e32 v13, s12, v13
	v_cmp_gt_i64_e64 s[12:13], 0, v[10:11]
	v_not_b32_e32 v11, v11
	v_ashrrev_i32_e32 v11, 31, v11
	v_and_b32_e32 v13, exec_lo, v13
	v_xor_b32_e32 v24, s13, v11
	v_xor_b32_e32 v11, s12, v11
	v_and_b32_e32 v13, v13, v11
	v_lshlrev_b32_e32 v11, 29, v12
	v_cmp_gt_i64_e64 s[12:13], 0, v[10:11]
	v_not_b32_e32 v11, v11
	v_ashrrev_i32_e32 v11, 31, v11
	v_and_b32_e32 v23, v23, v24
	v_xor_b32_e32 v24, s13, v11
	v_xor_b32_e32 v11, s12, v11
	v_and_b32_e32 v13, v13, v11
	v_lshlrev_b32_e32 v11, 28, v12
	v_cmp_gt_i64_e64 s[12:13], 0, v[10:11]
	v_not_b32_e32 v11, v11
	v_ashrrev_i32_e32 v11, 31, v11
	v_and_b32_e32 v23, v23, v24
	;; [unrolled: 8-line block ×5, first 2 shown]
	v_xor_b32_e32 v24, s13, v11
	v_xor_b32_e32 v11, s12, v11
	v_and_b32_e32 v23, v23, v24
	v_and_b32_e32 v24, v13, v11
	v_lshlrev_b32_e32 v11, 24, v12
	v_cmp_gt_i64_e64 s[12:13], 0, v[10:11]
	v_not_b32_e32 v11, v11
	v_ashrrev_i32_e32 v11, 31, v11
	v_xor_b32_e32 v12, s13, v11
	v_xor_b32_e32 v11, s12, v11
	; wave barrier
	ds_read_b32 v22, v20 offset:32
	v_and_b32_e32 v13, v23, v12
	v_and_b32_e32 v12, v24, v11
	v_mbcnt_lo_u32_b32 v11, v12, 0
	v_mbcnt_hi_u32_b32 v23, v13, v11
	v_cmp_eq_u32_e64 s[12:13], 0, v23
	v_cmp_ne_u64_e64 s[14:15], 0, v[12:13]
	s_and_b64 s[14:15], s[14:15], s[12:13]
	; wave barrier
	s_and_saveexec_b64 s[12:13], s[14:15]
	s_cbranch_execz .LBB15_19
; %bb.18:
	v_bcnt_u32_b32 v11, v12, 0
	v_bcnt_u32_b32 v11, v13, v11
	s_waitcnt lgkmcnt(0)
	v_add_u32_e32 v11, v22, v11
	ds_write_b32 v20, v11 offset:32
.LBB15_19:
	s_or_b64 exec, exec, s[12:13]
	v_lshrrev_b64 v[12:13], 24, v[8:9]
	v_xor_b32_e32 v24, -1, v12
	v_lshrrev_b32_sdwa v8, s48, v24 dst_sel:DWORD dst_unused:UNUSED_PAD src0_sel:DWORD src1_sel:BYTE_0
	v_and_b32_e32 v8, s52, v8
	v_mul_u32_u24_e32 v11, 9, v8
	v_add_lshl_u32 v27, v26, v11, 2
	v_and_b32_e32 v11, 1, v8
	v_add_co_u32_e64 v12, s[12:13], -1, v11
	v_addc_co_u32_e64 v13, s[12:13], 0, -1, s[12:13]
	v_cmp_ne_u32_e64 s[12:13], 0, v11
	v_xor_b32_e32 v11, s13, v13
	v_and_b32_e32 v13, exec_hi, v11
	v_lshlrev_b32_e32 v11, 30, v8
	v_xor_b32_e32 v12, s12, v12
	v_cmp_gt_i64_e64 s[12:13], 0, v[10:11]
	v_not_b32_e32 v11, v11
	v_ashrrev_i32_e32 v11, 31, v11
	v_and_b32_e32 v12, exec_lo, v12
	v_xor_b32_e32 v28, s13, v11
	v_xor_b32_e32 v11, s12, v11
	v_and_b32_e32 v12, v12, v11
	v_lshlrev_b32_e32 v11, 29, v8
	v_cmp_gt_i64_e64 s[12:13], 0, v[10:11]
	v_not_b32_e32 v11, v11
	v_ashrrev_i32_e32 v11, 31, v11
	v_and_b32_e32 v13, v13, v28
	v_xor_b32_e32 v28, s13, v11
	v_xor_b32_e32 v11, s12, v11
	v_and_b32_e32 v12, v12, v11
	v_lshlrev_b32_e32 v11, 28, v8
	v_cmp_gt_i64_e64 s[12:13], 0, v[10:11]
	v_not_b32_e32 v11, v11
	v_ashrrev_i32_e32 v11, 31, v11
	v_and_b32_e32 v13, v13, v28
	;; [unrolled: 8-line block ×5, first 2 shown]
	v_xor_b32_e32 v28, s13, v11
	v_xor_b32_e32 v11, s12, v11
	v_and_b32_e32 v12, v12, v11
	v_lshlrev_b32_e32 v11, 24, v8
	v_not_b32_e32 v8, v11
	v_cmp_gt_i64_e64 s[12:13], 0, v[10:11]
	v_ashrrev_i32_e32 v8, 31, v8
	v_and_b32_e32 v13, v13, v28
	v_xor_b32_e32 v10, s13, v8
	v_xor_b32_e32 v8, s12, v8
	; wave barrier
	ds_read_b32 v25, v27 offset:32
	v_and_b32_e32 v11, v13, v10
	v_and_b32_e32 v10, v12, v8
	v_mbcnt_lo_u32_b32 v8, v10, 0
	v_mbcnt_hi_u32_b32 v29, v11, v8
	v_cmp_eq_u32_e64 s[12:13], 0, v29
	v_cmp_ne_u64_e64 s[14:15], 0, v[10:11]
	s_and_b64 s[14:15], s[14:15], s[12:13]
	; wave barrier
	s_and_saveexec_b64 s[12:13], s[14:15]
	s_cbranch_execz .LBB15_21
; %bb.20:
	v_bcnt_u32_b32 v8, v10, 0
	v_bcnt_u32_b32 v8, v11, v8
	s_waitcnt lgkmcnt(0)
	v_add_u32_e32 v8, v25, v8
	ds_write_b32 v27, v8 offset:32
.LBB15_21:
	s_or_b64 exec, exec, s[12:13]
	v_xor_b32_e32 v30, -1, v9
	v_lshrrev_b32_sdwa v8, s48, v30 dst_sel:DWORD dst_unused:UNUSED_PAD src0_sel:DWORD src1_sel:BYTE_0
	v_and_b32_e32 v8, s52, v8
	v_and_b32_e32 v11, 1, v8
	v_add_co_u32_e64 v12, s[12:13], -1, v11
	v_addc_co_u32_e64 v13, s[12:13], 0, -1, s[12:13]
	v_cmp_ne_u32_e64 s[12:13], 0, v11
	v_mul_u32_u24_e32 v10, 9, v8
	v_xor_b32_e32 v11, s13, v13
	v_add_lshl_u32 v28, v26, v10, 2
	v_mov_b32_e32 v10, 0
	v_and_b32_e32 v13, exec_hi, v11
	v_lshlrev_b32_e32 v11, 30, v8
	v_xor_b32_e32 v12, s12, v12
	v_cmp_gt_i64_e64 s[12:13], 0, v[10:11]
	v_not_b32_e32 v11, v11
	v_ashrrev_i32_e32 v11, 31, v11
	v_and_b32_e32 v12, exec_lo, v12
	v_xor_b32_e32 v32, s13, v11
	v_xor_b32_e32 v11, s12, v11
	v_and_b32_e32 v12, v12, v11
	v_lshlrev_b32_e32 v11, 29, v8
	v_cmp_gt_i64_e64 s[12:13], 0, v[10:11]
	v_not_b32_e32 v11, v11
	v_ashrrev_i32_e32 v11, 31, v11
	v_and_b32_e32 v13, v13, v32
	v_xor_b32_e32 v32, s13, v11
	v_xor_b32_e32 v11, s12, v11
	v_and_b32_e32 v12, v12, v11
	v_lshlrev_b32_e32 v11, 28, v8
	v_cmp_gt_i64_e64 s[12:13], 0, v[10:11]
	v_not_b32_e32 v11, v11
	v_ashrrev_i32_e32 v11, 31, v11
	v_and_b32_e32 v13, v13, v32
	v_xor_b32_e32 v32, s13, v11
	v_xor_b32_e32 v11, s12, v11
	v_and_b32_e32 v12, v12, v11
	v_lshlrev_b32_e32 v11, 27, v8
	v_cmp_gt_i64_e64 s[12:13], 0, v[10:11]
	v_not_b32_e32 v11, v11
	v_ashrrev_i32_e32 v11, 31, v11
	v_and_b32_e32 v13, v13, v32
	v_xor_b32_e32 v32, s13, v11
	v_xor_b32_e32 v11, s12, v11
	v_and_b32_e32 v12, v12, v11
	v_lshlrev_b32_e32 v11, 26, v8
	v_cmp_gt_i64_e64 s[12:13], 0, v[10:11]
	v_not_b32_e32 v11, v11
	v_ashrrev_i32_e32 v11, 31, v11
	v_and_b32_e32 v13, v13, v32
	v_xor_b32_e32 v32, s13, v11
	v_xor_b32_e32 v11, s12, v11
	v_and_b32_e32 v12, v12, v11
	v_lshlrev_b32_e32 v11, 25, v8
	v_cmp_gt_i64_e64 s[12:13], 0, v[10:11]
	v_not_b32_e32 v11, v11
	v_ashrrev_i32_e32 v11, 31, v11
	v_and_b32_e32 v13, v13, v32
	v_xor_b32_e32 v32, s13, v11
	v_xor_b32_e32 v11, s12, v11
	v_and_b32_e32 v12, v12, v11
	v_lshlrev_b32_e32 v11, 24, v8
	v_not_b32_e32 v8, v11
	v_cmp_gt_i64_e64 s[12:13], 0, v[10:11]
	v_ashrrev_i32_e32 v8, 31, v8
	v_xor_b32_e32 v11, s13, v8
	v_xor_b32_e32 v8, s12, v8
	; wave barrier
	ds_read_b32 v31, v28 offset:32
	v_and_b32_e32 v13, v13, v32
	v_and_b32_e32 v12, v12, v8
	v_and_b32_e32 v13, v13, v11
	v_mbcnt_lo_u32_b32 v8, v12, 0
	v_mbcnt_hi_u32_b32 v32, v13, v8
	v_cmp_eq_u32_e64 s[12:13], 0, v32
	v_cmp_ne_u64_e64 s[14:15], 0, v[12:13]
	s_and_b64 s[14:15], s[14:15], s[12:13]
	; wave barrier
	s_and_saveexec_b64 s[12:13], s[14:15]
	s_cbranch_execz .LBB15_23
; %bb.22:
	v_bcnt_u32_b32 v8, v12, 0
	v_bcnt_u32_b32 v8, v13, v8
	s_waitcnt lgkmcnt(0)
	v_add_u32_e32 v8, v31, v8
	ds_write_b32 v28, v8 offset:32
.LBB15_23:
	s_or_b64 exec, exec, s[12:13]
	v_lshrrev_b32_e32 v8, 8, v9
	v_xor_b32_e32 v12, -1, v8
	v_lshrrev_b32_sdwa v8, s48, v12 dst_sel:DWORD dst_unused:UNUSED_PAD src0_sel:DWORD src1_sel:BYTE_0
	v_and_b32_e32 v8, s52, v8
	v_mul_u32_u24_e32 v9, 9, v8
	v_add_lshl_u32 v26, v26, v9, 2
	v_and_b32_e32 v9, 1, v8
	v_add_co_u32_e64 v11, s[12:13], -1, v9
	v_addc_co_u32_e64 v34, s[12:13], 0, -1, s[12:13]
	v_cmp_ne_u32_e64 s[12:13], 0, v9
	v_xor_b32_e32 v11, s12, v11
	v_xor_b32_e32 v9, s13, v34
	v_and_b32_e32 v34, exec_lo, v11
	v_lshlrev_b32_e32 v11, 30, v8
	v_cmp_gt_i64_e64 s[12:13], 0, v[10:11]
	v_not_b32_e32 v11, v11
	v_ashrrev_i32_e32 v11, 31, v11
	v_xor_b32_e32 v35, s13, v11
	v_xor_b32_e32 v11, s12, v11
	v_and_b32_e32 v34, v34, v11
	v_lshlrev_b32_e32 v11, 29, v8
	v_cmp_gt_i64_e64 s[12:13], 0, v[10:11]
	v_not_b32_e32 v11, v11
	v_and_b32_e32 v9, exec_hi, v9
	v_ashrrev_i32_e32 v11, 31, v11
	v_and_b32_e32 v9, v9, v35
	v_xor_b32_e32 v35, s13, v11
	v_xor_b32_e32 v11, s12, v11
	v_and_b32_e32 v34, v34, v11
	v_lshlrev_b32_e32 v11, 28, v8
	v_cmp_gt_i64_e64 s[12:13], 0, v[10:11]
	v_not_b32_e32 v11, v11
	v_ashrrev_i32_e32 v11, 31, v11
	v_and_b32_e32 v9, v9, v35
	v_xor_b32_e32 v35, s13, v11
	v_xor_b32_e32 v11, s12, v11
	v_and_b32_e32 v34, v34, v11
	v_lshlrev_b32_e32 v11, 27, v8
	v_cmp_gt_i64_e64 s[12:13], 0, v[10:11]
	v_not_b32_e32 v11, v11
	;; [unrolled: 8-line block ×4, first 2 shown]
	v_ashrrev_i32_e32 v11, 31, v11
	v_and_b32_e32 v9, v9, v35
	v_xor_b32_e32 v35, s13, v11
	v_xor_b32_e32 v11, s12, v11
	v_and_b32_e32 v34, v34, v11
	v_lshlrev_b32_e32 v11, 24, v8
	v_not_b32_e32 v8, v11
	v_cmp_gt_i64_e64 s[12:13], 0, v[10:11]
	v_ashrrev_i32_e32 v8, 31, v8
	v_xor_b32_e32 v10, s13, v8
	v_xor_b32_e32 v8, s12, v8
	; wave barrier
	ds_read_b32 v13, v26 offset:32
	v_and_b32_e32 v9, v9, v35
	v_and_b32_e32 v8, v34, v8
	;; [unrolled: 1-line block ×3, first 2 shown]
	v_mbcnt_lo_u32_b32 v10, v8, 0
	v_mbcnt_hi_u32_b32 v34, v9, v10
	v_cmp_eq_u32_e64 s[12:13], 0, v34
	v_cmp_ne_u64_e64 s[14:15], 0, v[8:9]
	v_add_u32_e32 v33, 32, v7
	s_and_b64 s[14:15], s[14:15], s[12:13]
	; wave barrier
	s_and_saveexec_b64 s[12:13], s[14:15]
	s_cbranch_execz .LBB15_25
; %bb.24:
	v_bcnt_u32_b32 v8, v8, 0
	v_bcnt_u32_b32 v8, v9, v8
	s_waitcnt lgkmcnt(0)
	v_add_u32_e32 v8, v13, v8
	ds_write_b32 v26, v8 offset:32
.LBB15_25:
	s_or_b64 exec, exec, s[12:13]
	; wave barrier
	s_waitcnt lgkmcnt(0)
	s_barrier
	ds_read2_b32 v[10:11], v7 offset0:8 offset1:9
	ds_read2_b32 v[8:9], v33 offset0:2 offset1:3
	ds_read_b32 v35, v33 offset:16
	v_min_u32_e32 v3, 0x1c0, v3
	v_or_b32_e32 v3, 63, v3
	s_waitcnt lgkmcnt(1)
	v_add3_u32 v36, v11, v10, v8
	s_waitcnt lgkmcnt(0)
	v_add3_u32 v35, v36, v9, v35
	v_and_b32_e32 v36, 15, v6
	v_cmp_ne_u32_e64 s[12:13], 0, v36
	v_mov_b32_dpp v37, v35 row_shr:1 row_mask:0xf bank_mask:0xf
	v_cndmask_b32_e64 v37, 0, v37, s[12:13]
	v_add_u32_e32 v35, v37, v35
	v_cmp_lt_u32_e64 s[12:13], 1, v36
	s_nop 0
	v_mov_b32_dpp v37, v35 row_shr:2 row_mask:0xf bank_mask:0xf
	v_cndmask_b32_e64 v37, 0, v37, s[12:13]
	v_add_u32_e32 v35, v35, v37
	v_cmp_lt_u32_e64 s[12:13], 3, v36
	s_nop 0
	;; [unrolled: 5-line block ×3, first 2 shown]
	v_mov_b32_dpp v37, v35 row_shr:8 row_mask:0xf bank_mask:0xf
	v_cndmask_b32_e64 v36, 0, v37, s[12:13]
	v_add_u32_e32 v35, v35, v36
	v_bfe_i32 v37, v6, 4, 1
	v_cmp_lt_u32_e64 s[12:13], 31, v6
	v_mov_b32_dpp v36, v35 row_bcast:15 row_mask:0xf bank_mask:0xf
	v_and_b32_e32 v36, v37, v36
	v_add_u32_e32 v35, v35, v36
	s_nop 1
	v_mov_b32_dpp v36, v35 row_bcast:31 row_mask:0xf bank_mask:0xf
	v_cndmask_b32_e64 v36, 0, v36, s[12:13]
	v_add_u32_e32 v35, v35, v36
	v_lshrrev_b32_e32 v36, 6, v2
	v_cmp_eq_u32_e64 s[12:13], v3, v2
	s_and_saveexec_b64 s[14:15], s[12:13]
	s_cbranch_execz .LBB15_27
; %bb.26:
	v_lshlrev_b32_e32 v3, 2, v36
	ds_write_b32 v3, v35
.LBB15_27:
	s_or_b64 exec, exec, s[14:15]
	v_cmp_gt_u32_e64 s[12:13], 8, v2
	s_waitcnt lgkmcnt(0)
	s_barrier
	s_and_saveexec_b64 s[14:15], s[12:13]
	s_cbranch_execz .LBB15_29
; %bb.28:
	v_lshlrev_b32_e32 v3, 2, v2
	ds_read_b32 v37, v3
	v_and_b32_e32 v38, 7, v6
	v_cmp_ne_u32_e64 s[12:13], 0, v38
	s_waitcnt lgkmcnt(0)
	v_mov_b32_dpp v39, v37 row_shr:1 row_mask:0xf bank_mask:0xf
	v_cndmask_b32_e64 v39, 0, v39, s[12:13]
	v_add_u32_e32 v37, v39, v37
	v_cmp_lt_u32_e64 s[12:13], 1, v38
	s_nop 0
	v_mov_b32_dpp v39, v37 row_shr:2 row_mask:0xf bank_mask:0xf
	v_cndmask_b32_e64 v39, 0, v39, s[12:13]
	v_add_u32_e32 v37, v37, v39
	v_cmp_lt_u32_e64 s[12:13], 3, v38
	s_nop 0
	v_mov_b32_dpp v39, v37 row_shr:4 row_mask:0xf bank_mask:0xf
	v_cndmask_b32_e64 v38, 0, v39, s[12:13]
	v_add_u32_e32 v37, v37, v38
	ds_write_b32 v3, v37
.LBB15_29:
	s_or_b64 exec, exec, s[14:15]
	v_cmp_lt_u32_e64 s[12:13], 63, v2
	v_mov_b32_e32 v3, 0
	s_waitcnt lgkmcnt(0)
	s_barrier
	s_and_saveexec_b64 s[14:15], s[12:13]
	s_cbranch_execz .LBB15_31
; %bb.30:
	v_lshl_add_u32 v3, v36, 2, -4
	ds_read_b32 v3, v3
.LBB15_31:
	s_or_b64 exec, exec, s[14:15]
	v_add_u32_e32 v36, -1, v6
	v_and_b32_e32 v37, 64, v6
	v_cmp_lt_i32_e64 s[12:13], v36, v37
	v_cndmask_b32_e64 v36, v36, v6, s[12:13]
	s_waitcnt lgkmcnt(0)
	v_add_u32_e32 v35, v3, v35
	v_lshlrev_b32_e32 v36, 2, v36
	ds_bpermute_b32 v35, v36, v35
	v_cmp_eq_u32_e64 s[12:13], 0, v6
	s_waitcnt lgkmcnt(0)
	v_cndmask_b32_e64 v3, v35, v3, s[12:13]
	v_cmp_ne_u32_e64 s[12:13], 0, v2
	v_cndmask_b32_e64 v3, 0, v3, s[12:13]
	v_add_u32_e32 v10, v3, v10
	v_add_u32_e32 v11, v10, v11
	;; [unrolled: 1-line block ×4, first 2 shown]
	ds_write2_b32 v7, v3, v10 offset0:8 offset1:9
	ds_write2_b32 v33, v11, v8 offset0:2 offset1:3
	ds_write_b32 v33, v9 offset:16
	s_waitcnt lgkmcnt(0)
	s_barrier
	ds_read_b32 v3, v17 offset:32
	ds_read_b32 v7, v18 offset:32
	;; [unrolled: 1-line block ×6, first 2 shown]
	s_movk_i32 s12, 0x100
	v_cmp_gt_u32_e64 s[12:13], s12, v2
	v_pk_mov_b32 v[8:9], 0, 0
                                        ; implicit-def: $vgpr20
	s_and_saveexec_b64 s[16:17], s[12:13]
	s_cbranch_execz .LBB15_35
; %bb.32:
	v_mul_u32_u24_e32 v8, 9, v2
	v_lshlrev_b32_e32 v20, 2, v8
	ds_read_b32 v8, v20 offset:32
	s_movk_i32 s14, 0xff
	v_cmp_ne_u32_e64 s[14:15], s14, v2
	v_mov_b32_e32 v9, 0xc00
	s_and_saveexec_b64 s[18:19], s[14:15]
	s_cbranch_execz .LBB15_34
; %bb.33:
	ds_read_b32 v9, v20 offset:68
.LBB15_34:
	s_or_b64 exec, exec, s[18:19]
	s_waitcnt lgkmcnt(0)
	v_sub_u32_e32 v20, v9, v8
	v_mov_b32_e32 v9, 0
.LBB15_35:
	s_or_b64 exec, exec, s[16:17]
	s_waitcnt lgkmcnt(5)
	v_add_u32_e32 v28, v3, v14
	s_waitcnt lgkmcnt(4)
	v_add3_u32 v27, v19, v16, v7
	s_waitcnt lgkmcnt(3)
	v_add3_u32 v26, v23, v22, v10
	;; [unrolled: 2-line block ×5, first 2 shown]
	s_barrier
	ds_write_b8 v28, v5 offset:2048
	ds_write_b8 v27, v15 offset:2048
	;; [unrolled: 1-line block ×6, first 2 shown]
	s_waitcnt lgkmcnt(0)
	s_barrier
	s_and_saveexec_b64 s[16:17], s[12:13]
	s_cbranch_execz .LBB15_45
; %bb.36:
	v_lshl_or_b32 v10, s6, 8, v2
	v_mov_b32_e32 v11, 0
	v_lshlrev_b64 v[12:13], 2, v[10:11]
	v_mov_b32_e32 v5, s35
	v_add_co_u32_e64 v12, s[14:15], s34, v12
	v_addc_co_u32_e64 v13, s[14:15], v5, v13, s[14:15]
	v_or_b32_e32 v7, 2.0, v20
	global_store_dword v[12:13], v7, off
	s_mov_b64 s[18:19], 0
	s_brev_b32 s24, 1
	s_mov_b32 s25, s6
	v_mov_b32_e32 v7, 0
                                        ; implicit-def: $sgpr14_sgpr15
	s_branch .LBB15_38
.LBB15_37:                              ;   in Loop: Header=BB15_38 Depth=1
	s_or_b64 exec, exec, s[20:21]
	v_and_b32_e32 v14, 0x3fffffff, v16
	v_add_u32_e32 v7, v14, v7
	v_cmp_eq_u32_e64 s[14:15], s24, v10
	s_and_b64 s[20:21], exec, s[14:15]
	s_or_b64 s[18:19], s[20:21], s[18:19]
	s_andn2_b64 exec, exec, s[18:19]
	s_cbranch_execz .LBB15_44
.LBB15_38:                              ; =>This Loop Header: Depth=1
                                        ;     Child Loop BB15_41 Depth 2
	s_or_b64 s[14:15], s[14:15], exec
	s_cmp_eq_u32 s25, 0
	s_cbranch_scc1 .LBB15_43
; %bb.39:                               ;   in Loop: Header=BB15_38 Depth=1
	s_add_i32 s25, s25, -1
	v_lshl_or_b32 v10, s25, 8, v2
	v_lshlrev_b64 v[14:15], 2, v[10:11]
	v_add_co_u32_e64 v14, s[14:15], s34, v14
	v_addc_co_u32_e64 v15, s[14:15], v5, v15, s[14:15]
	global_load_dword v16, v[14:15], off glc
	s_waitcnt vmcnt(0)
	v_and_b32_e32 v10, -2.0, v16
	v_cmp_eq_u32_e64 s[14:15], 0, v10
	s_and_saveexec_b64 s[20:21], s[14:15]
	s_cbranch_execz .LBB15_37
; %bb.40:                               ;   in Loop: Header=BB15_38 Depth=1
	s_mov_b64 s[22:23], 0
.LBB15_41:                              ;   Parent Loop BB15_38 Depth=1
                                        ; =>  This Inner Loop Header: Depth=2
	global_load_dword v16, v[14:15], off glc
	s_waitcnt vmcnt(0)
	v_and_b32_e32 v10, -2.0, v16
	v_cmp_ne_u32_e64 s[14:15], 0, v10
	s_or_b64 s[22:23], s[14:15], s[22:23]
	s_andn2_b64 exec, exec, s[22:23]
	s_cbranch_execnz .LBB15_41
; %bb.42:                               ;   in Loop: Header=BB15_38 Depth=1
	s_or_b64 exec, exec, s[22:23]
	s_branch .LBB15_37
.LBB15_43:                              ;   in Loop: Header=BB15_38 Depth=1
                                        ; implicit-def: $sgpr25
	s_and_b64 s[20:21], exec, s[14:15]
	s_or_b64 s[18:19], s[20:21], s[18:19]
	s_andn2_b64 exec, exec, s[18:19]
	s_cbranch_execnz .LBB15_38
.LBB15_44:
	s_or_b64 exec, exec, s[18:19]
	v_add_u32_e32 v5, v7, v20
	v_or_b32_e32 v5, 0x80000000, v5
	global_store_dword v[12:13], v5, off
	v_lshlrev_b32_e32 v5, 3, v2
	global_load_dwordx2 v[10:11], v5, s[44:45]
	v_sub_co_u32_e64 v7, s[14:15], v7, v8
	v_subb_co_u32_e64 v12, s[14:15], 0, v9, s[14:15]
	s_waitcnt vmcnt(0)
	v_add_co_u32_e64 v10, s[14:15], v7, v10
	v_addc_co_u32_e64 v11, s[14:15], v12, v11, s[14:15]
	ds_write_b64 v5, v[10:11]
.LBB15_45:
	s_or_b64 exec, exec, s[16:17]
	v_cmp_gt_u32_e64 s[14:15], s33, v2
	s_waitcnt lgkmcnt(0)
	s_barrier
	s_and_saveexec_b64 s[18:19], s[14:15]
	s_cbranch_execz .LBB15_47
; %bb.46:
	ds_read_u8 v5, v2 offset:2048
	s_waitcnt lgkmcnt(0)
	v_lshrrev_b32_sdwa v7, s48, v5 dst_sel:DWORD dst_unused:UNUSED_PAD src0_sel:DWORD src1_sel:BYTE_0
	v_and_b32_e32 v7, s52, v7
	v_lshlrev_b32_e32 v7, 3, v7
	ds_read_b64 v[10:11], v7
	v_mov_b32_e32 v7, s39
	v_xor_b32_e32 v5, -1, v5
	s_waitcnt lgkmcnt(0)
	v_add_co_u32_e64 v10, s[16:17], s38, v10
	v_addc_co_u32_e64 v7, s[16:17], v7, v11, s[16:17]
	v_add_co_u32_e64 v10, s[16:17], v10, v2
	v_addc_co_u32_e64 v11, s[16:17], 0, v7, s[16:17]
	global_store_byte v[10:11], v5, off
.LBB15_47:
	s_or_b64 exec, exec, s[18:19]
	v_add_u32_e32 v21, 0x200, v2
	v_cmp_gt_u32_e64 s[16:17], s33, v21
	s_and_saveexec_b64 s[20:21], s[16:17]
	s_cbranch_execz .LBB15_49
; %bb.48:
	ds_read_u8 v5, v2 offset:2560
	s_waitcnt lgkmcnt(0)
	v_lshrrev_b32_sdwa v7, s48, v5 dst_sel:DWORD dst_unused:UNUSED_PAD src0_sel:DWORD src1_sel:BYTE_0
	v_and_b32_e32 v7, s52, v7
	v_lshlrev_b32_e32 v7, 3, v7
	ds_read_b64 v[10:11], v7
	v_mov_b32_e32 v7, s39
	v_xor_b32_e32 v5, -1, v5
	s_waitcnt lgkmcnt(0)
	v_add_co_u32_e64 v10, s[18:19], s38, v10
	v_addc_co_u32_e64 v7, s[18:19], v7, v11, s[18:19]
	v_add_co_u32_e64 v10, s[18:19], v10, v2
	v_addc_co_u32_e64 v11, s[18:19], 0, v7, s[18:19]
	global_store_byte v[10:11], v5, off offset:512
.LBB15_49:
	s_or_b64 exec, exec, s[20:21]
	v_or_b32_e32 v24, 0x400, v2
	v_cmp_gt_u32_e64 s[18:19], s33, v24
	s_and_saveexec_b64 s[22:23], s[18:19]
	s_cbranch_execz .LBB15_51
; %bb.50:
	ds_read_u8 v5, v2 offset:3072
	s_waitcnt lgkmcnt(0)
	v_lshrrev_b32_sdwa v7, s48, v5 dst_sel:DWORD dst_unused:UNUSED_PAD src0_sel:DWORD src1_sel:BYTE_0
	v_and_b32_e32 v7, s52, v7
	v_lshlrev_b32_e32 v7, 3, v7
	ds_read_b64 v[10:11], v7
	v_mov_b32_e32 v7, s39
	v_xor_b32_e32 v5, -1, v5
	s_waitcnt lgkmcnt(0)
	v_add_co_u32_e64 v10, s[20:21], s38, v10
	v_addc_co_u32_e64 v7, s[20:21], v7, v11, s[20:21]
	v_add_co_u32_e64 v10, s[20:21], v10, v2
	v_addc_co_u32_e64 v11, s[20:21], 0, v7, s[20:21]
	global_store_byte v[10:11], v5, off offset:1024
.LBB15_51:
	s_or_b64 exec, exec, s[22:23]
	v_add_u32_e32 v25, 0x600, v2
	v_cmp_gt_u32_e64 s[20:21], s33, v25
	s_and_saveexec_b64 s[24:25], s[20:21]
	s_cbranch_execz .LBB15_53
; %bb.52:
	ds_read_u8 v5, v2 offset:3584
	s_waitcnt lgkmcnt(0)
	v_lshrrev_b32_sdwa v7, s48, v5 dst_sel:DWORD dst_unused:UNUSED_PAD src0_sel:DWORD src1_sel:BYTE_0
	v_and_b32_e32 v7, s52, v7
	v_lshlrev_b32_e32 v7, 3, v7
	ds_read_b64 v[10:11], v7
	v_mov_b32_e32 v7, s39
	v_xor_b32_e32 v5, -1, v5
	s_waitcnt lgkmcnt(0)
	v_add_co_u32_e64 v10, s[22:23], s38, v10
	v_addc_co_u32_e64 v7, s[22:23], v7, v11, s[22:23]
	v_add_co_u32_e64 v10, s[22:23], v10, v2
	v_addc_co_u32_e64 v11, s[22:23], 0, v7, s[22:23]
	global_store_byte v[10:11], v5, off offset:1536
.LBB15_53:
	s_or_b64 exec, exec, s[24:25]
	v_or_b32_e32 v29, 0x800, v2
	v_cmp_gt_u32_e64 s[22:23], s33, v29
	s_and_saveexec_b64 s[28:29], s[22:23]
	s_cbranch_execz .LBB15_55
; %bb.54:
	ds_read_u8 v5, v2 offset:4096
	s_waitcnt lgkmcnt(0)
	v_lshrrev_b32_sdwa v7, s48, v5 dst_sel:DWORD dst_unused:UNUSED_PAD src0_sel:DWORD src1_sel:BYTE_0
	v_and_b32_e32 v7, s52, v7
	v_lshlrev_b32_e32 v7, 3, v7
	ds_read_b64 v[10:11], v7
	v_mov_b32_e32 v7, s39
	v_xor_b32_e32 v5, -1, v5
	s_waitcnt lgkmcnt(0)
	v_add_co_u32_e64 v10, s[24:25], s38, v10
	v_addc_co_u32_e64 v7, s[24:25], v7, v11, s[24:25]
	v_add_co_u32_e64 v10, s[24:25], v10, v2
	v_addc_co_u32_e64 v11, s[24:25], 0, v7, s[24:25]
	global_store_byte v[10:11], v5, off offset:2048
.LBB15_55:
	s_or_b64 exec, exec, s[28:29]
	v_add_u32_e32 v30, 0xa00, v2
	v_cmp_gt_u32_e64 s[24:25], s33, v30
	s_and_saveexec_b64 s[50:51], s[24:25]
	s_cbranch_execz .LBB15_57
; %bb.56:
	ds_read_u8 v5, v2 offset:4608
	s_waitcnt lgkmcnt(0)
	v_lshrrev_b32_sdwa v7, s48, v5 dst_sel:DWORD dst_unused:UNUSED_PAD src0_sel:DWORD src1_sel:BYTE_0
	v_and_b32_e32 v7, s52, v7
	v_lshlrev_b32_e32 v7, 3, v7
	ds_read_b64 v[10:11], v7
	v_mov_b32_e32 v7, s39
	v_xor_b32_e32 v5, -1, v5
	s_waitcnt lgkmcnt(0)
	v_add_co_u32_e64 v10, s[28:29], s38, v10
	v_addc_co_u32_e64 v7, s[28:29], v7, v11, s[28:29]
	v_add_co_u32_e64 v10, s[28:29], v10, v2
	v_addc_co_u32_e64 v11, s[28:29], 0, v7, s[28:29]
	global_store_byte v[10:11], v5, off offset:2560
.LBB15_57:
	s_or_b64 exec, exec, s[50:51]
	s_lshl_b64 s[28:29], s[30:31], 3
	s_add_u32 s28, s40, s28
	s_addc_u32 s29, s41, s29
	v_lshlrev_b32_e32 v5, 3, v6
	v_mov_b32_e32 v6, s29
	v_add_co_u32_e64 v5, s[28:29], s28, v5
	v_addc_co_u32_e64 v6, s[28:29], 0, v6, s[28:29]
	v_lshlrev_b32_e32 v4, 3, v4
	v_add_co_u32_e64 v18, s[28:29], v5, v4
	v_addc_co_u32_e64 v19, s[28:29], 0, v6, s[28:29]
                                        ; implicit-def: $vgpr4_vgpr5
	s_and_saveexec_b64 s[28:29], vcc
	s_xor_b64 s[28:29], exec, s[28:29]
	s_cbranch_execnz .LBB15_127
; %bb.58:
	s_or_b64 exec, exec, s[28:29]
                                        ; implicit-def: $vgpr6_vgpr7
	s_and_saveexec_b64 s[28:29], s[0:1]
	s_cbranch_execnz .LBB15_128
.LBB15_59:
	s_or_b64 exec, exec, s[28:29]
                                        ; implicit-def: $vgpr10_vgpr11
	s_and_saveexec_b64 s[0:1], s[2:3]
	s_cbranch_execnz .LBB15_129
.LBB15_60:
	s_or_b64 exec, exec, s[0:1]
                                        ; implicit-def: $vgpr12_vgpr13
	s_and_saveexec_b64 s[0:1], s[26:27]
	s_cbranch_execnz .LBB15_130
.LBB15_61:
	s_or_b64 exec, exec, s[0:1]
                                        ; implicit-def: $vgpr14_vgpr15
	s_and_saveexec_b64 s[0:1], s[8:9]
	s_cbranch_execnz .LBB15_131
.LBB15_62:
	s_or_b64 exec, exec, s[0:1]
                                        ; implicit-def: $vgpr16_vgpr17
	s_and_saveexec_b64 s[0:1], s[10:11]
	s_cbranch_execz .LBB15_64
.LBB15_63:
	global_load_dwordx2 v[16:17], v[18:19], off offset:2560
.LBB15_64:
	s_or_b64 exec, exec, s[0:1]
	v_mov_b32_e32 v32, 0
	v_mov_b32_e32 v34, 0
	s_and_saveexec_b64 s[0:1], s[14:15]
	s_cbranch_execz .LBB15_66
; %bb.65:
	ds_read_u8 v18, v2 offset:2048
	s_waitcnt lgkmcnt(0)
	v_lshrrev_b32_e32 v18, s48, v18
	v_and_b32_e32 v34, s52, v18
.LBB15_66:
	s_or_b64 exec, exec, s[0:1]
	s_and_saveexec_b64 s[0:1], s[16:17]
	s_cbranch_execz .LBB15_68
; %bb.67:
	ds_read_u8 v18, v2 offset:2560
	s_waitcnt lgkmcnt(0)
	v_lshrrev_b32_e32 v18, s48, v18
	v_and_b32_e32 v32, s52, v18
.LBB15_68:
	s_or_b64 exec, exec, s[0:1]
	v_mov_b32_e32 v19, 0
	v_mov_b32_e32 v33, 0
	s_and_saveexec_b64 s[0:1], s[18:19]
	s_cbranch_execz .LBB15_70
; %bb.69:
	ds_read_u8 v18, v2 offset:3072
	s_waitcnt lgkmcnt(0)
	v_lshrrev_b32_e32 v18, s48, v18
	v_and_b32_e32 v33, s52, v18
.LBB15_70:
	s_or_b64 exec, exec, s[0:1]
	s_and_saveexec_b64 s[0:1], s[20:21]
	s_cbranch_execz .LBB15_72
; %bb.71:
	ds_read_u8 v18, v2 offset:3584
	s_waitcnt lgkmcnt(0)
	v_lshrrev_b32_e32 v18, s48, v18
	v_and_b32_e32 v19, s52, v18
.LBB15_72:
	;; [unrolled: 20-line block ×3, first 2 shown]
	s_or_b64 exec, exec, s[0:1]
	v_lshlrev_b32_e32 v28, 3, v28
	s_barrier
	s_waitcnt vmcnt(0)
	ds_write_b64 v28, v[4:5] offset:2048
	v_lshlrev_b32_e32 v4, 3, v27
	ds_write_b64 v4, v[6:7] offset:2048
	v_lshlrev_b32_e32 v4, 3, v26
	;; [unrolled: 2-line block ×4, first 2 shown]
	v_lshlrev_b32_e32 v3, 3, v3
	ds_write_b64 v4, v[14:15] offset:2048
	ds_write_b64 v3, v[16:17] offset:2048
	v_lshlrev_b32_e32 v3, 3, v2
	s_waitcnt lgkmcnt(0)
	s_barrier
	s_and_saveexec_b64 s[0:1], s[14:15]
	s_cbranch_execnz .LBB15_132
; %bb.77:
	s_or_b64 exec, exec, s[0:1]
	s_and_saveexec_b64 s[0:1], s[16:17]
	s_cbranch_execnz .LBB15_133
.LBB15_78:
	s_or_b64 exec, exec, s[0:1]
	s_and_saveexec_b64 s[0:1], s[18:19]
	s_cbranch_execnz .LBB15_134
.LBB15_79:
	s_or_b64 exec, exec, s[0:1]
	s_and_saveexec_b64 s[0:1], s[20:21]
	s_cbranch_execnz .LBB15_135
.LBB15_80:
	s_or_b64 exec, exec, s[0:1]
	s_and_saveexec_b64 s[0:1], s[22:23]
	s_cbranch_execnz .LBB15_136
.LBB15_81:
	s_or_b64 exec, exec, s[0:1]
	s_and_saveexec_b64 s[0:1], s[24:25]
	s_cbranch_execz .LBB15_83
.LBB15_82:
	v_lshlrev_b32_e32 v4, 3, v18
	ds_read_b64 v[4:5], v4
	ds_read_b64 v[6:7], v3 offset:22528
	v_mov_b32_e32 v3, s43
	s_waitcnt lgkmcnt(1)
	v_lshlrev_b64 v[4:5], 3, v[4:5]
	v_add_co_u32_e32 v4, vcc, s42, v4
	v_addc_co_u32_e32 v3, vcc, v3, v5, vcc
	v_lshlrev_b32_e32 v5, 3, v30
	v_add_co_u32_e32 v4, vcc, v4, v5
	v_addc_co_u32_e32 v5, vcc, 0, v3, vcc
	s_waitcnt lgkmcnt(0)
	global_store_dwordx2 v[4:5], v[6:7], off
.LBB15_83:
	s_or_b64 exec, exec, s[0:1]
	s_add_i32 s7, s7, -1
	s_cmp_eq_u32 s6, s7
	s_cselect_b64 s[0:1], -1, 0
	s_and_b64 s[2:3], s[12:13], s[0:1]
	s_mov_b64 s[0:1], 0
	s_mov_b64 s[8:9], 0
                                        ; implicit-def: $vgpr4_vgpr5
	s_and_saveexec_b64 s[10:11], s[2:3]
	s_xor_b64 s[2:3], exec, s[10:11]
; %bb.84:
	v_add_co_u32_e32 v4, vcc, v8, v20
	s_mov_b64 s[8:9], exec
	v_mov_b32_e32 v3, 0
	v_addc_co_u32_e32 v5, vcc, 0, v9, vcc
; %bb.85:
	s_or_b64 exec, exec, s[2:3]
	s_and_b64 vcc, exec, s[0:1]
	s_cbranch_vccnz .LBB15_87
	s_branch .LBB15_124
.LBB15_86:
	s_mov_b64 s[8:9], 0
                                        ; implicit-def: $vgpr4_vgpr5
                                        ; implicit-def: $vgpr2_vgpr3
	s_cbranch_execz .LBB15_124
.LBB15_87:
	s_add_u32 s0, s36, s30
	v_and_b32_e32 v2, 0x3ff, v0
	s_addc_u32 s1, s37, 0
	v_mbcnt_hi_u32_b32 v6, -1, v1
	v_and_b32_e32 v7, 0x1c0, v2
	v_mov_b32_e32 v1, s1
	v_add_co_u32_e32 v3, vcc, s0, v6
	v_mul_u32_u24_e32 v4, 6, v7
	v_addc_co_u32_e32 v1, vcc, 0, v1, vcc
	v_add_co_u32_e32 v10, vcc, v3, v4
	v_addc_co_u32_e32 v11, vcc, 0, v1, vcc
	global_load_ubyte v1, v[10:11], off
	s_load_dword s0, s[4:5], 0x5c
	s_load_dword s7, s[4:5], 0x50
	s_add_u32 s1, s4, 0x50
	s_addc_u32 s2, s5, 0
	v_mov_b32_e32 v8, 0
	s_waitcnt lgkmcnt(0)
	s_lshr_b32 s3, s0, 16
	s_cmp_lt_u32 s6, s7
	s_cselect_b32 s0, 12, 18
	s_add_u32 s0, s1, s0
	s_addc_u32 s1, s2, 0
	global_load_ushort v13, v8, s[0:1]
	v_mul_u32_u24_e32 v5, 5, v2
	v_lshlrev_b32_e32 v5, 2, v5
	ds_write2_b32 v5, v8, v8 offset0:8 offset1:9
	ds_write2_b32 v5, v8, v8 offset0:10 offset1:11
	ds_write_b32 v5, v8 offset:48
	global_load_ubyte v12, v[10:11], off offset:64
	global_load_ubyte v16, v[10:11], off offset:128
	;; [unrolled: 1-line block ×5, first 2 shown]
	v_bfe_u32 v3, v0, 10, 10
	v_bfe_u32 v0, v0, 20, 10
	v_mad_u32_u24 v0, v0, s3, v3
	s_lshl_b32 s0, -1, s49
	s_not_b32 s14, s0
	s_mov_b32 s31, 0
	s_waitcnt lgkmcnt(0)
	s_barrier
	s_waitcnt lgkmcnt(0)
	; wave barrier
	s_waitcnt vmcnt(6)
	v_xor_b32_e32 v3, 0xff, v1
	v_lshrrev_b32_e32 v1, s48, v3
	v_and_b32_e32 v11, s14, v1
	v_and_b32_e32 v1, 1, v11
	v_add_co_u32_e32 v14, vcc, -1, v1
	v_lshlrev_b32_e32 v9, 30, v11
	v_addc_co_u32_e64 v15, s[0:1], 0, -1, vcc
	v_cmp_ne_u32_e32 vcc, 0, v1
	v_cmp_gt_i64_e64 s[0:1], 0, v[8:9]
	v_not_b32_e32 v17, v9
	v_lshlrev_b32_e32 v9, 29, v11
	s_waitcnt vmcnt(5)
	v_mad_u64_u32 v[0:1], s[2:3], v0, v13, v[2:3]
	v_xor_b32_e32 v1, vcc_hi, v15
	v_xor_b32_e32 v13, vcc_lo, v14
	v_ashrrev_i32_e32 v14, 31, v17
	v_cmp_gt_i64_e32 vcc, 0, v[8:9]
	v_not_b32_e32 v15, v9
	v_lshlrev_b32_e32 v9, 28, v11
	v_lshrrev_b32_e32 v20, 6, v0
	v_and_b32_e32 v0, exec_hi, v1
	v_and_b32_e32 v1, exec_lo, v13
	v_xor_b32_e32 v13, s1, v14
	v_xor_b32_e32 v14, s0, v14
	v_ashrrev_i32_e32 v15, 31, v15
	v_cmp_gt_i64_e64 s[0:1], 0, v[8:9]
	v_not_b32_e32 v17, v9
	v_lshlrev_b32_e32 v9, 27, v11
	v_and_b32_e32 v0, v0, v13
	v_and_b32_e32 v1, v1, v14
	v_xor_b32_e32 v13, vcc_hi, v15
	v_xor_b32_e32 v14, vcc_lo, v15
	v_ashrrev_i32_e32 v15, 31, v17
	v_cmp_gt_i64_e32 vcc, 0, v[8:9]
	v_not_b32_e32 v9, v9
	v_and_b32_e32 v0, v0, v13
	v_and_b32_e32 v1, v1, v14
	v_xor_b32_e32 v13, s1, v15
	v_xor_b32_e32 v14, s0, v15
	v_ashrrev_i32_e32 v9, 31, v9
	v_and_b32_e32 v0, v0, v13
	v_and_b32_e32 v1, v1, v14
	v_xor_b32_e32 v13, vcc_hi, v9
	v_xor_b32_e32 v9, vcc_lo, v9
	v_and_b32_e32 v1, v1, v9
	v_lshlrev_b32_e32 v9, 26, v11
	v_cmp_gt_i64_e32 vcc, 0, v[8:9]
	v_not_b32_e32 v9, v9
	v_ashrrev_i32_e32 v9, 31, v9
	v_and_b32_e32 v0, v0, v13
	v_xor_b32_e32 v13, vcc_hi, v9
	v_xor_b32_e32 v9, vcc_lo, v9
	v_and_b32_e32 v1, v1, v9
	v_lshlrev_b32_e32 v9, 25, v11
	v_cmp_gt_i64_e32 vcc, 0, v[8:9]
	v_not_b32_e32 v9, v9
	v_ashrrev_i32_e32 v9, 31, v9
	v_and_b32_e32 v0, v0, v13
	v_xor_b32_e32 v13, vcc_hi, v9
	v_xor_b32_e32 v9, vcc_lo, v9
	v_and_b32_e32 v0, v0, v13
	v_and_b32_e32 v13, v1, v9
	v_lshlrev_b32_e32 v9, 24, v11
	v_not_b32_e32 v1, v9
	v_cmp_gt_i64_e32 vcc, 0, v[8:9]
	v_ashrrev_i32_e32 v1, 31, v1
	v_mul_u32_u24_e32 v10, 9, v11
	v_xor_b32_e32 v9, vcc_hi, v1
	v_xor_b32_e32 v11, vcc_lo, v1
	v_and_b32_e32 v1, v0, v9
	v_and_b32_e32 v0, v13, v11
	v_mbcnt_lo_u32_b32 v9, v0, 0
	v_mbcnt_hi_u32_b32 v11, v1, v9
	v_cmp_eq_u32_e32 vcc, 0, v11
	v_cmp_ne_u64_e64 s[0:1], 0, v[0:1]
	v_add_lshl_u32 v10, v20, v10, 2
	s_and_b64 s[2:3], s[0:1], vcc
	s_and_saveexec_b64 s[0:1], s[2:3]
	s_cbranch_execz .LBB15_89
; %bb.88:
	v_bcnt_u32_b32 v0, v0, 0
	v_bcnt_u32_b32 v0, v1, v0
	ds_write_b32 v10, v0 offset:32
.LBB15_89:
	s_or_b64 exec, exec, s[0:1]
	s_waitcnt vmcnt(4)
	v_xor_b32_e32 v12, -1, v12
	v_lshrrev_b32_sdwa v0, s48, v12 dst_sel:DWORD dst_unused:UNUSED_PAD src0_sel:DWORD src1_sel:BYTE_0
	v_and_b32_e32 v0, s14, v0
	v_mul_u32_u24_e32 v1, 9, v0
	v_add_lshl_u32 v14, v20, v1, 2
	v_and_b32_e32 v1, 1, v0
	v_add_co_u32_e32 v9, vcc, -1, v1
	v_addc_co_u32_e64 v15, s[0:1], 0, -1, vcc
	v_cmp_ne_u32_e32 vcc, 0, v1
	v_xor_b32_e32 v9, vcc_lo, v9
	v_xor_b32_e32 v1, vcc_hi, v15
	v_and_b32_e32 v15, exec_lo, v9
	v_lshlrev_b32_e32 v9, 30, v0
	v_cmp_gt_i64_e32 vcc, 0, v[8:9]
	v_not_b32_e32 v9, v9
	v_ashrrev_i32_e32 v9, 31, v9
	v_xor_b32_e32 v17, vcc_hi, v9
	v_xor_b32_e32 v9, vcc_lo, v9
	v_and_b32_e32 v15, v15, v9
	v_lshlrev_b32_e32 v9, 29, v0
	v_cmp_gt_i64_e32 vcc, 0, v[8:9]
	v_not_b32_e32 v9, v9
	v_and_b32_e32 v1, exec_hi, v1
	v_ashrrev_i32_e32 v9, 31, v9
	v_and_b32_e32 v1, v1, v17
	v_xor_b32_e32 v17, vcc_hi, v9
	v_xor_b32_e32 v9, vcc_lo, v9
	v_and_b32_e32 v15, v15, v9
	v_lshlrev_b32_e32 v9, 28, v0
	v_cmp_gt_i64_e32 vcc, 0, v[8:9]
	v_not_b32_e32 v9, v9
	v_ashrrev_i32_e32 v9, 31, v9
	v_and_b32_e32 v1, v1, v17
	v_xor_b32_e32 v17, vcc_hi, v9
	v_xor_b32_e32 v9, vcc_lo, v9
	v_and_b32_e32 v15, v15, v9
	v_lshlrev_b32_e32 v9, 27, v0
	v_cmp_gt_i64_e32 vcc, 0, v[8:9]
	v_not_b32_e32 v9, v9
	;; [unrolled: 8-line block ×4, first 2 shown]
	v_ashrrev_i32_e32 v9, 31, v9
	v_and_b32_e32 v1, v1, v17
	v_xor_b32_e32 v17, vcc_hi, v9
	v_xor_b32_e32 v9, vcc_lo, v9
	v_and_b32_e32 v15, v15, v9
	v_lshlrev_b32_e32 v9, 24, v0
	v_not_b32_e32 v0, v9
	v_cmp_gt_i64_e32 vcc, 0, v[8:9]
	v_ashrrev_i32_e32 v0, 31, v0
	v_xor_b32_e32 v8, vcc_hi, v0
	v_xor_b32_e32 v0, vcc_lo, v0
	; wave barrier
	ds_read_b32 v13, v14 offset:32
	v_and_b32_e32 v1, v1, v17
	v_and_b32_e32 v0, v15, v0
	;; [unrolled: 1-line block ×3, first 2 shown]
	v_mbcnt_lo_u32_b32 v8, v0, 0
	v_mbcnt_hi_u32_b32 v15, v1, v8
	v_cmp_eq_u32_e32 vcc, 0, v15
	v_cmp_ne_u64_e64 s[0:1], 0, v[0:1]
	s_and_b64 s[2:3], s[0:1], vcc
	; wave barrier
	s_and_saveexec_b64 s[0:1], s[2:3]
	s_cbranch_execz .LBB15_91
; %bb.90:
	v_bcnt_u32_b32 v0, v0, 0
	v_bcnt_u32_b32 v0, v1, v0
	s_waitcnt lgkmcnt(0)
	v_add_u32_e32 v0, v13, v0
	ds_write_b32 v14, v0 offset:32
.LBB15_91:
	s_or_b64 exec, exec, s[0:1]
	s_waitcnt vmcnt(3)
	v_xor_b32_e32 v16, -1, v16
	v_lshrrev_b32_sdwa v0, s48, v16 dst_sel:DWORD dst_unused:UNUSED_PAD src0_sel:DWORD src1_sel:BYTE_0
	v_and_b32_e32 v8, s14, v0
	v_and_b32_e32 v1, 1, v8
	v_add_co_u32_e32 v9, vcc, -1, v1
	v_addc_co_u32_e64 v21, s[0:1], 0, -1, vcc
	v_cmp_ne_u32_e32 vcc, 0, v1
	v_mul_u32_u24_e32 v0, 9, v8
	v_xor_b32_e32 v1, vcc_hi, v21
	v_add_lshl_u32 v19, v20, v0, 2
	v_mov_b32_e32 v0, 0
	v_and_b32_e32 v21, exec_hi, v1
	v_lshlrev_b32_e32 v1, 30, v8
	v_xor_b32_e32 v9, vcc_lo, v9
	v_cmp_gt_i64_e32 vcc, 0, v[0:1]
	v_not_b32_e32 v1, v1
	v_ashrrev_i32_e32 v1, 31, v1
	v_and_b32_e32 v9, exec_lo, v9
	v_xor_b32_e32 v23, vcc_hi, v1
	v_xor_b32_e32 v1, vcc_lo, v1
	v_and_b32_e32 v9, v9, v1
	v_lshlrev_b32_e32 v1, 29, v8
	v_cmp_gt_i64_e32 vcc, 0, v[0:1]
	v_not_b32_e32 v1, v1
	v_ashrrev_i32_e32 v1, 31, v1
	v_and_b32_e32 v21, v21, v23
	v_xor_b32_e32 v23, vcc_hi, v1
	v_xor_b32_e32 v1, vcc_lo, v1
	v_and_b32_e32 v9, v9, v1
	v_lshlrev_b32_e32 v1, 28, v8
	v_cmp_gt_i64_e32 vcc, 0, v[0:1]
	v_not_b32_e32 v1, v1
	v_ashrrev_i32_e32 v1, 31, v1
	v_and_b32_e32 v21, v21, v23
	;; [unrolled: 8-line block ×5, first 2 shown]
	v_xor_b32_e32 v23, vcc_hi, v1
	v_xor_b32_e32 v1, vcc_lo, v1
	v_and_b32_e32 v21, v21, v23
	v_and_b32_e32 v23, v9, v1
	v_lshlrev_b32_e32 v1, 24, v8
	v_cmp_gt_i64_e32 vcc, 0, v[0:1]
	v_not_b32_e32 v1, v1
	v_ashrrev_i32_e32 v1, 31, v1
	v_xor_b32_e32 v8, vcc_hi, v1
	v_xor_b32_e32 v1, vcc_lo, v1
	; wave barrier
	ds_read_b32 v17, v19 offset:32
	v_and_b32_e32 v9, v21, v8
	v_and_b32_e32 v8, v23, v1
	v_mbcnt_lo_u32_b32 v1, v8, 0
	v_mbcnt_hi_u32_b32 v21, v9, v1
	v_cmp_eq_u32_e32 vcc, 0, v21
	v_cmp_ne_u64_e64 s[0:1], 0, v[8:9]
	s_and_b64 s[2:3], s[0:1], vcc
	; wave barrier
	s_and_saveexec_b64 s[0:1], s[2:3]
	s_cbranch_execz .LBB15_93
; %bb.92:
	v_bcnt_u32_b32 v1, v8, 0
	v_bcnt_u32_b32 v1, v9, v1
	s_waitcnt lgkmcnt(0)
	v_add_u32_e32 v1, v17, v1
	ds_write_b32 v19, v1 offset:32
.LBB15_93:
	s_or_b64 exec, exec, s[0:1]
	s_waitcnt vmcnt(2)
	v_xor_b32_e32 v22, -1, v22
	v_lshrrev_b32_sdwa v1, s48, v22 dst_sel:DWORD dst_unused:UNUSED_PAD src0_sel:DWORD src1_sel:BYTE_0
	v_and_b32_e32 v8, s14, v1
	v_mul_u32_u24_e32 v1, 9, v8
	v_add_lshl_u32 v25, v20, v1, 2
	v_and_b32_e32 v1, 1, v8
	v_add_co_u32_e32 v9, vcc, -1, v1
	v_addc_co_u32_e64 v26, s[0:1], 0, -1, vcc
	v_cmp_ne_u32_e32 vcc, 0, v1
	v_xor_b32_e32 v1, vcc_hi, v26
	v_and_b32_e32 v26, exec_hi, v1
	v_lshlrev_b32_e32 v1, 30, v8
	v_xor_b32_e32 v9, vcc_lo, v9
	v_cmp_gt_i64_e32 vcc, 0, v[0:1]
	v_not_b32_e32 v1, v1
	v_ashrrev_i32_e32 v1, 31, v1
	v_and_b32_e32 v9, exec_lo, v9
	v_xor_b32_e32 v27, vcc_hi, v1
	v_xor_b32_e32 v1, vcc_lo, v1
	v_and_b32_e32 v9, v9, v1
	v_lshlrev_b32_e32 v1, 29, v8
	v_cmp_gt_i64_e32 vcc, 0, v[0:1]
	v_not_b32_e32 v1, v1
	v_ashrrev_i32_e32 v1, 31, v1
	v_and_b32_e32 v26, v26, v27
	v_xor_b32_e32 v27, vcc_hi, v1
	v_xor_b32_e32 v1, vcc_lo, v1
	v_and_b32_e32 v9, v9, v1
	v_lshlrev_b32_e32 v1, 28, v8
	v_cmp_gt_i64_e32 vcc, 0, v[0:1]
	v_not_b32_e32 v1, v1
	v_ashrrev_i32_e32 v1, 31, v1
	v_and_b32_e32 v26, v26, v27
	;; [unrolled: 8-line block ×5, first 2 shown]
	v_xor_b32_e32 v27, vcc_hi, v1
	v_xor_b32_e32 v1, vcc_lo, v1
	v_and_b32_e32 v9, v9, v1
	v_lshlrev_b32_e32 v1, 24, v8
	v_cmp_gt_i64_e32 vcc, 0, v[0:1]
	v_not_b32_e32 v0, v1
	v_ashrrev_i32_e32 v0, 31, v0
	v_xor_b32_e32 v1, vcc_hi, v0
	v_xor_b32_e32 v0, vcc_lo, v0
	; wave barrier
	ds_read_b32 v23, v25 offset:32
	v_and_b32_e32 v26, v26, v27
	v_and_b32_e32 v0, v9, v0
	;; [unrolled: 1-line block ×3, first 2 shown]
	v_mbcnt_lo_u32_b32 v8, v0, 0
	v_mbcnt_hi_u32_b32 v26, v1, v8
	v_cmp_eq_u32_e32 vcc, 0, v26
	v_cmp_ne_u64_e64 s[0:1], 0, v[0:1]
	s_and_b64 s[2:3], s[0:1], vcc
	; wave barrier
	s_and_saveexec_b64 s[0:1], s[2:3]
	s_cbranch_execz .LBB15_95
; %bb.94:
	v_bcnt_u32_b32 v0, v0, 0
	v_bcnt_u32_b32 v0, v1, v0
	s_waitcnt lgkmcnt(0)
	v_add_u32_e32 v0, v23, v0
	ds_write_b32 v25, v0 offset:32
.LBB15_95:
	s_or_b64 exec, exec, s[0:1]
	s_waitcnt vmcnt(1)
	v_xor_b32_e32 v24, -1, v24
	v_lshrrev_b32_sdwa v0, s48, v24 dst_sel:DWORD dst_unused:UNUSED_PAD src0_sel:DWORD src1_sel:BYTE_0
	v_and_b32_e32 v8, s14, v0
	v_and_b32_e32 v1, 1, v8
	v_add_co_u32_e32 v9, vcc, -1, v1
	v_addc_co_u32_e64 v29, s[0:1], 0, -1, vcc
	v_cmp_ne_u32_e32 vcc, 0, v1
	v_mul_u32_u24_e32 v0, 9, v8
	v_xor_b32_e32 v1, vcc_hi, v29
	v_add_lshl_u32 v28, v20, v0, 2
	v_mov_b32_e32 v0, 0
	v_and_b32_e32 v29, exec_hi, v1
	v_lshlrev_b32_e32 v1, 30, v8
	v_xor_b32_e32 v9, vcc_lo, v9
	v_cmp_gt_i64_e32 vcc, 0, v[0:1]
	v_not_b32_e32 v1, v1
	v_ashrrev_i32_e32 v1, 31, v1
	v_and_b32_e32 v9, exec_lo, v9
	v_xor_b32_e32 v30, vcc_hi, v1
	v_xor_b32_e32 v1, vcc_lo, v1
	v_and_b32_e32 v9, v9, v1
	v_lshlrev_b32_e32 v1, 29, v8
	v_cmp_gt_i64_e32 vcc, 0, v[0:1]
	v_not_b32_e32 v1, v1
	v_ashrrev_i32_e32 v1, 31, v1
	v_and_b32_e32 v29, v29, v30
	v_xor_b32_e32 v30, vcc_hi, v1
	v_xor_b32_e32 v1, vcc_lo, v1
	v_and_b32_e32 v9, v9, v1
	v_lshlrev_b32_e32 v1, 28, v8
	v_cmp_gt_i64_e32 vcc, 0, v[0:1]
	v_not_b32_e32 v1, v1
	v_ashrrev_i32_e32 v1, 31, v1
	v_and_b32_e32 v29, v29, v30
	;; [unrolled: 8-line block ×5, first 2 shown]
	v_xor_b32_e32 v30, vcc_hi, v1
	v_xor_b32_e32 v1, vcc_lo, v1
	v_and_b32_e32 v29, v29, v30
	v_and_b32_e32 v30, v9, v1
	v_lshlrev_b32_e32 v1, 24, v8
	v_cmp_gt_i64_e32 vcc, 0, v[0:1]
	v_not_b32_e32 v1, v1
	v_ashrrev_i32_e32 v1, 31, v1
	v_xor_b32_e32 v8, vcc_hi, v1
	v_xor_b32_e32 v1, vcc_lo, v1
	; wave barrier
	ds_read_b32 v27, v28 offset:32
	v_and_b32_e32 v9, v29, v8
	v_and_b32_e32 v8, v30, v1
	v_mbcnt_lo_u32_b32 v1, v8, 0
	v_mbcnt_hi_u32_b32 v29, v9, v1
	v_cmp_eq_u32_e32 vcc, 0, v29
	v_cmp_ne_u64_e64 s[0:1], 0, v[8:9]
	s_and_b64 s[2:3], s[0:1], vcc
	; wave barrier
	s_and_saveexec_b64 s[0:1], s[2:3]
	s_cbranch_execz .LBB15_97
; %bb.96:
	v_bcnt_u32_b32 v1, v8, 0
	v_bcnt_u32_b32 v1, v9, v1
	s_waitcnt lgkmcnt(0)
	v_add_u32_e32 v1, v27, v1
	ds_write_b32 v28, v1 offset:32
.LBB15_97:
	s_or_b64 exec, exec, s[0:1]
	s_waitcnt vmcnt(0)
	v_xor_b32_e32 v30, -1, v18
	v_lshrrev_b32_sdwa v1, s48, v30 dst_sel:DWORD dst_unused:UNUSED_PAD src0_sel:DWORD src1_sel:BYTE_0
	v_and_b32_e32 v8, s14, v1
	v_mul_u32_u24_e32 v1, 9, v8
	v_add_lshl_u32 v18, v20, v1, 2
	v_and_b32_e32 v1, 1, v8
	v_add_co_u32_e32 v9, vcc, -1, v1
	v_addc_co_u32_e64 v32, s[0:1], 0, -1, vcc
	v_cmp_ne_u32_e32 vcc, 0, v1
	v_xor_b32_e32 v1, vcc_hi, v32
	v_and_b32_e32 v32, exec_hi, v1
	v_lshlrev_b32_e32 v1, 30, v8
	v_xor_b32_e32 v9, vcc_lo, v9
	v_cmp_gt_i64_e32 vcc, 0, v[0:1]
	v_not_b32_e32 v1, v1
	v_ashrrev_i32_e32 v1, 31, v1
	v_and_b32_e32 v9, exec_lo, v9
	v_xor_b32_e32 v33, vcc_hi, v1
	v_xor_b32_e32 v1, vcc_lo, v1
	v_and_b32_e32 v9, v9, v1
	v_lshlrev_b32_e32 v1, 29, v8
	v_cmp_gt_i64_e32 vcc, 0, v[0:1]
	v_not_b32_e32 v1, v1
	v_ashrrev_i32_e32 v1, 31, v1
	v_and_b32_e32 v32, v32, v33
	v_xor_b32_e32 v33, vcc_hi, v1
	v_xor_b32_e32 v1, vcc_lo, v1
	v_and_b32_e32 v9, v9, v1
	v_lshlrev_b32_e32 v1, 28, v8
	v_cmp_gt_i64_e32 vcc, 0, v[0:1]
	v_not_b32_e32 v1, v1
	v_ashrrev_i32_e32 v1, 31, v1
	v_and_b32_e32 v32, v32, v33
	;; [unrolled: 8-line block ×5, first 2 shown]
	v_xor_b32_e32 v33, vcc_hi, v1
	v_xor_b32_e32 v1, vcc_lo, v1
	v_and_b32_e32 v9, v9, v1
	v_lshlrev_b32_e32 v1, 24, v8
	v_cmp_gt_i64_e32 vcc, 0, v[0:1]
	v_not_b32_e32 v0, v1
	v_ashrrev_i32_e32 v0, 31, v0
	v_xor_b32_e32 v1, vcc_hi, v0
	v_xor_b32_e32 v0, vcc_lo, v0
	; wave barrier
	ds_read_b32 v20, v18 offset:32
	v_and_b32_e32 v32, v32, v33
	v_and_b32_e32 v0, v9, v0
	;; [unrolled: 1-line block ×3, first 2 shown]
	v_mbcnt_lo_u32_b32 v8, v0, 0
	v_mbcnt_hi_u32_b32 v32, v1, v8
	v_cmp_eq_u32_e32 vcc, 0, v32
	v_cmp_ne_u64_e64 s[0:1], 0, v[0:1]
	v_add_u32_e32 v31, 32, v5
	s_and_b64 s[2:3], s[0:1], vcc
	; wave barrier
	s_and_saveexec_b64 s[0:1], s[2:3]
	s_cbranch_execz .LBB15_99
; %bb.98:
	v_bcnt_u32_b32 v0, v0, 0
	v_bcnt_u32_b32 v0, v1, v0
	s_waitcnt lgkmcnt(0)
	v_add_u32_e32 v0, v20, v0
	ds_write_b32 v18, v0 offset:32
.LBB15_99:
	s_or_b64 exec, exec, s[0:1]
	; wave barrier
	s_waitcnt lgkmcnt(0)
	s_barrier
	ds_read2_b32 v[8:9], v5 offset0:8 offset1:9
	ds_read2_b32 v[0:1], v31 offset0:2 offset1:3
	ds_read_b32 v33, v31 offset:16
	v_min_u32_e32 v7, 0x1c0, v7
	v_or_b32_e32 v7, 63, v7
	s_waitcnt lgkmcnt(1)
	v_add3_u32 v34, v9, v8, v0
	s_waitcnt lgkmcnt(0)
	v_add3_u32 v33, v34, v1, v33
	v_and_b32_e32 v34, 15, v6
	v_cmp_ne_u32_e32 vcc, 0, v34
	v_mov_b32_dpp v35, v33 row_shr:1 row_mask:0xf bank_mask:0xf
	v_cndmask_b32_e32 v35, 0, v35, vcc
	v_add_u32_e32 v33, v35, v33
	v_cmp_lt_u32_e32 vcc, 1, v34
	s_nop 0
	v_mov_b32_dpp v35, v33 row_shr:2 row_mask:0xf bank_mask:0xf
	v_cndmask_b32_e32 v35, 0, v35, vcc
	v_add_u32_e32 v33, v33, v35
	v_cmp_lt_u32_e32 vcc, 3, v34
	s_nop 0
	;; [unrolled: 5-line block ×3, first 2 shown]
	v_mov_b32_dpp v35, v33 row_shr:8 row_mask:0xf bank_mask:0xf
	v_cndmask_b32_e32 v34, 0, v35, vcc
	v_add_u32_e32 v33, v33, v34
	v_bfe_i32 v35, v6, 4, 1
	v_cmp_lt_u32_e32 vcc, 31, v6
	v_mov_b32_dpp v34, v33 row_bcast:15 row_mask:0xf bank_mask:0xf
	v_and_b32_e32 v34, v35, v34
	v_add_u32_e32 v33, v33, v34
	s_nop 1
	v_mov_b32_dpp v34, v33 row_bcast:31 row_mask:0xf bank_mask:0xf
	v_cndmask_b32_e32 v34, 0, v34, vcc
	v_add_u32_e32 v33, v33, v34
	v_lshrrev_b32_e32 v34, 6, v2
	v_cmp_eq_u32_e32 vcc, v7, v2
	s_and_saveexec_b64 s[0:1], vcc
	s_cbranch_execz .LBB15_101
; %bb.100:
	v_lshlrev_b32_e32 v7, 2, v34
	ds_write_b32 v7, v33
.LBB15_101:
	s_or_b64 exec, exec, s[0:1]
	v_cmp_gt_u32_e32 vcc, 8, v2
	s_waitcnt lgkmcnt(0)
	s_barrier
	s_and_saveexec_b64 s[0:1], vcc
	s_cbranch_execz .LBB15_103
; %bb.102:
	v_lshlrev_b32_e32 v7, 2, v2
	ds_read_b32 v35, v7
	v_and_b32_e32 v36, 7, v6
	v_cmp_ne_u32_e32 vcc, 0, v36
	s_waitcnt lgkmcnt(0)
	v_mov_b32_dpp v37, v35 row_shr:1 row_mask:0xf bank_mask:0xf
	v_cndmask_b32_e32 v37, 0, v37, vcc
	v_add_u32_e32 v35, v37, v35
	v_cmp_lt_u32_e32 vcc, 1, v36
	s_nop 0
	v_mov_b32_dpp v37, v35 row_shr:2 row_mask:0xf bank_mask:0xf
	v_cndmask_b32_e32 v37, 0, v37, vcc
	v_add_u32_e32 v35, v35, v37
	v_cmp_lt_u32_e32 vcc, 3, v36
	s_nop 0
	v_mov_b32_dpp v37, v35 row_shr:4 row_mask:0xf bank_mask:0xf
	v_cndmask_b32_e32 v36, 0, v37, vcc
	v_add_u32_e32 v35, v35, v36
	ds_write_b32 v7, v35
.LBB15_103:
	s_or_b64 exec, exec, s[0:1]
	v_cmp_lt_u32_e32 vcc, 63, v2
	v_mov_b32_e32 v7, 0
	s_waitcnt lgkmcnt(0)
	s_barrier
	s_and_saveexec_b64 s[0:1], vcc
	s_cbranch_execz .LBB15_105
; %bb.104:
	v_lshl_add_u32 v7, v34, 2, -4
	ds_read_b32 v7, v7
.LBB15_105:
	s_or_b64 exec, exec, s[0:1]
	v_add_u32_e32 v34, -1, v6
	v_and_b32_e32 v35, 64, v6
	v_cmp_lt_i32_e32 vcc, v34, v35
	v_cndmask_b32_e32 v34, v34, v6, vcc
	s_waitcnt lgkmcnt(0)
	v_add_u32_e32 v33, v7, v33
	v_lshlrev_b32_e32 v34, 2, v34
	ds_bpermute_b32 v33, v34, v33
	v_cmp_eq_u32_e32 vcc, 0, v6
	s_movk_i32 s2, 0xff
	s_movk_i32 s3, 0x100
	v_cmp_lt_u32_e64 s[0:1], s2, v2
	s_waitcnt lgkmcnt(0)
	v_cndmask_b32_e32 v7, v33, v7, vcc
	v_cmp_ne_u32_e32 vcc, 0, v2
	v_cndmask_b32_e32 v7, 0, v7, vcc
	v_add_u32_e32 v8, v7, v8
	v_add_u32_e32 v9, v8, v9
	;; [unrolled: 1-line block ×4, first 2 shown]
	ds_write2_b32 v5, v7, v8 offset0:8 offset1:9
	ds_write2_b32 v31, v9, v0 offset0:2 offset1:3
	ds_write_b32 v31, v1 offset:16
	s_waitcnt lgkmcnt(0)
	s_barrier
	ds_read_b32 v5, v10 offset:32
	ds_read_b32 v8, v14 offset:32
	;; [unrolled: 1-line block ×6, first 2 shown]
	v_cmp_gt_u32_e32 vcc, s3, v2
	v_pk_mov_b32 v[0:1], 0, 0
                                        ; implicit-def: $vgpr7
	s_and_saveexec_b64 s[4:5], vcc
	s_cbranch_execz .LBB15_109
; %bb.106:
	v_mul_u32_u24_e32 v0, 9, v2
	v_lshlrev_b32_e32 v7, 2, v0
	ds_read_b32 v0, v7 offset:32
	v_cmp_ne_u32_e64 s[2:3], s2, v2
	v_mov_b32_e32 v1, 0xc00
	s_and_saveexec_b64 s[10:11], s[2:3]
	s_cbranch_execz .LBB15_108
; %bb.107:
	ds_read_b32 v1, v7 offset:68
.LBB15_108:
	s_or_b64 exec, exec, s[10:11]
	s_waitcnt lgkmcnt(0)
	v_sub_u32_e32 v7, v1, v0
	v_mov_b32_e32 v1, 0
.LBB15_109:
	s_or_b64 exec, exec, s[4:5]
	s_waitcnt lgkmcnt(5)
	v_add_u32_e32 v19, v5, v11
	s_waitcnt lgkmcnt(4)
	v_add3_u32 v18, v15, v13, v8
	s_waitcnt lgkmcnt(3)
	v_add3_u32 v17, v21, v17, v9
	;; [unrolled: 2-line block ×5, first 2 shown]
	s_barrier
	ds_write_b8 v19, v3 offset:2048
	ds_write_b8 v18, v12 offset:2048
	;; [unrolled: 1-line block ×6, first 2 shown]
	s_waitcnt lgkmcnt(0)
	s_barrier
	s_and_saveexec_b64 s[2:3], s[0:1]
	s_xor_b64 s[0:1], exec, s[2:3]
; %bb.110:
	v_mov_b32_e32 v3, 0
; %bb.111:
	s_andn2_saveexec_b64 s[2:3], s[0:1]
	s_cbranch_execz .LBB15_121
; %bb.112:
	v_lshl_or_b32 v8, s6, 8, v2
	v_mov_b32_e32 v9, 0
	v_lshlrev_b64 v[10:11], 2, v[8:9]
	v_mov_b32_e32 v3, s35
	v_add_co_u32_e64 v10, s[0:1], s34, v10
	v_addc_co_u32_e64 v11, s[0:1], v3, v11, s[0:1]
	v_or_b32_e32 v8, 2.0, v7
	s_mov_b64 s[4:5], 0
	s_brev_b32 s15, 1
	s_mov_b32 s16, s6
	v_mov_b32_e32 v16, 0
	global_store_dword v[10:11], v8, off
                                        ; implicit-def: $sgpr0_sgpr1
	s_branch .LBB15_115
.LBB15_113:                             ;   in Loop: Header=BB15_115 Depth=1
	s_or_b64 exec, exec, s[12:13]
.LBB15_114:                             ;   in Loop: Header=BB15_115 Depth=1
	s_or_b64 exec, exec, s[10:11]
	v_and_b32_e32 v12, 0x3fffffff, v20
	v_add_u32_e32 v16, v12, v16
	v_cmp_eq_u32_e64 s[0:1], s15, v8
	s_and_b64 s[10:11], exec, s[0:1]
	s_or_b64 s[4:5], s[10:11], s[4:5]
	s_andn2_b64 exec, exec, s[4:5]
	s_cbranch_execz .LBB15_120
.LBB15_115:                             ; =>This Loop Header: Depth=1
                                        ;     Child Loop BB15_118 Depth 2
	s_or_b64 s[0:1], s[0:1], exec
	s_cmp_eq_u32 s16, 0
	s_cbranch_scc1 .LBB15_119
; %bb.116:                              ;   in Loop: Header=BB15_115 Depth=1
	s_add_i32 s16, s16, -1
	v_lshl_or_b32 v8, s16, 8, v2
	v_lshlrev_b64 v[12:13], 2, v[8:9]
	v_add_co_u32_e64 v12, s[0:1], s34, v12
	v_addc_co_u32_e64 v13, s[0:1], v3, v13, s[0:1]
	global_load_dword v20, v[12:13], off glc
	s_waitcnt vmcnt(0)
	v_and_b32_e32 v8, -2.0, v20
	v_cmp_eq_u32_e64 s[0:1], 0, v8
	s_and_saveexec_b64 s[10:11], s[0:1]
	s_cbranch_execz .LBB15_114
; %bb.117:                              ;   in Loop: Header=BB15_115 Depth=1
	s_mov_b64 s[12:13], 0
.LBB15_118:                             ;   Parent Loop BB15_115 Depth=1
                                        ; =>  This Inner Loop Header: Depth=2
	global_load_dword v20, v[12:13], off glc
	s_waitcnt vmcnt(0)
	v_and_b32_e32 v8, -2.0, v20
	v_cmp_ne_u32_e64 s[0:1], 0, v8
	s_or_b64 s[12:13], s[0:1], s[12:13]
	s_andn2_b64 exec, exec, s[12:13]
	s_cbranch_execnz .LBB15_118
	s_branch .LBB15_113
.LBB15_119:                             ;   in Loop: Header=BB15_115 Depth=1
                                        ; implicit-def: $sgpr16
	s_and_b64 s[10:11], exec, s[0:1]
	s_or_b64 s[4:5], s[10:11], s[4:5]
	s_andn2_b64 exec, exec, s[4:5]
	s_cbranch_execnz .LBB15_115
.LBB15_120:
	s_or_b64 exec, exec, s[4:5]
	v_add_u32_e32 v3, v16, v7
	v_or_b32_e32 v3, 0x80000000, v3
	global_store_dword v[10:11], v3, off
	v_lshlrev_b32_e32 v10, 3, v2
	global_load_dwordx2 v[8:9], v10, s[44:45]
	v_sub_co_u32_e64 v11, s[0:1], v16, v0
	v_subb_co_u32_e64 v12, s[0:1], 0, v1, s[0:1]
	v_mov_b32_e32 v3, 0
	s_waitcnt vmcnt(0)
	v_add_co_u32_e64 v8, s[0:1], v11, v8
	v_addc_co_u32_e64 v9, s[0:1], v12, v9, s[0:1]
	ds_write_b64 v10, v[8:9]
.LBB15_121:
	s_or_b64 exec, exec, s[2:3]
	s_waitcnt lgkmcnt(0)
	s_barrier
	ds_read_u8 v16, v2 offset:4096
	ds_read_u8 v26, v2 offset:3072
	;; [unrolled: 1-line block ×5, first 2 shown]
	s_waitcnt lgkmcnt(4)
	v_lshrrev_b32_sdwa v8, s48, v16 dst_sel:DWORD dst_unused:UNUSED_PAD src0_sel:DWORD src1_sel:BYTE_0
	v_and_b32_e32 v8, s14, v8
	v_lshlrev_b32_e32 v30, 3, v8
	ds_read_b64 v[8:9], v30
	ds_read_u8 v12, v2 offset:2048
	s_waitcnt lgkmcnt(2)
	v_lshrrev_b32_sdwa v10, s48, v29 dst_sel:DWORD dst_unused:UNUSED_PAD src0_sel:DWORD src1_sel:BYTE_0
	v_and_b32_e32 v10, s14, v10
	v_lshlrev_b32_e32 v31, 3, v10
	ds_read_b64 v[10:11], v31
	s_waitcnt lgkmcnt(1)
	v_lshrrev_b32_sdwa v13, s48, v12 dst_sel:DWORD dst_unused:UNUSED_PAD src0_sel:DWORD src1_sel:BYTE_0
	v_xor_b32_e32 v32, -1, v12
	v_lshrrev_b32_sdwa v12, s48, v28 dst_sel:DWORD dst_unused:UNUSED_PAD src0_sel:DWORD src1_sel:BYTE_0
	v_and_b32_e32 v12, s14, v12
	v_lshlrev_b32_e32 v35, 3, v12
	v_lshrrev_b32_sdwa v12, s48, v26 dst_sel:DWORD dst_unused:UNUSED_PAD src0_sel:DWORD src1_sel:BYTE_0
	v_and_b32_e32 v12, s14, v12
	v_and_b32_e32 v13, s14, v13
	v_lshlrev_b32_e32 v36, 3, v12
	v_lshrrev_b32_sdwa v12, s48, v27 dst_sel:DWORD dst_unused:UNUSED_PAD src0_sel:DWORD src1_sel:BYTE_0
	v_lshlrev_b32_e32 v33, 3, v13
	v_and_b32_e32 v12, s14, v12
	v_lshlrev_b32_e32 v37, 3, v12
	ds_read_b64 v[12:13], v33
	ds_read_b64 v[20:21], v35
	;; [unrolled: 1-line block ×4, first 2 shown]
	v_mov_b32_e32 v34, s39
	s_waitcnt lgkmcnt(3)
	v_add_co_u32_e64 v12, s[0:1], s38, v12
	v_addc_co_u32_e64 v13, s[0:1], v34, v13, s[0:1]
	v_add_co_u32_e64 v12, s[0:1], v12, v2
	v_addc_co_u32_e64 v13, s[0:1], v13, v3, s[0:1]
	global_store_byte v[12:13], v32, off
	v_mov_b32_e32 v12, s39
	s_waitcnt lgkmcnt(2)
	v_add_co_u32_e64 v13, s[0:1], s38, v20
	v_addc_co_u32_e64 v20, s[0:1], v12, v21, s[0:1]
	v_add_co_u32_e64 v12, s[0:1], v13, v2
	v_xor_b32_e32 v28, -1, v28
	v_addc_co_u32_e64 v13, s[0:1], v20, v3, s[0:1]
	global_store_byte v[12:13], v28, off offset:512
	v_mov_b32_e32 v12, s39
	s_waitcnt lgkmcnt(1)
	v_add_co_u32_e64 v13, s[0:1], s38, v22
	v_addc_co_u32_e64 v21, s[0:1], v12, v23, s[0:1]
	v_add_co_u32_e64 v12, s[0:1], v13, v2
	v_xor_b32_e32 v20, -1, v26
	v_addc_co_u32_e64 v13, s[0:1], v21, v3, s[0:1]
	global_store_byte v[12:13], v20, off offset:1024
	;; [unrolled: 8-line block ×3, first 2 shown]
	v_mov_b32_e32 v13, s39
	v_add_co_u32_e64 v8, s[0:1], s38, v8
	v_addc_co_u32_e64 v9, s[0:1], v13, v9, s[0:1]
	v_add_co_u32_e64 v8, s[0:1], v8, v2
	v_xor_b32_e32 v12, -1, v16
	v_addc_co_u32_e64 v9, s[0:1], v9, v3, s[0:1]
	global_store_byte v[8:9], v12, off offset:2048
	v_mov_b32_e32 v8, s39
	v_add_co_u32_e64 v9, s[0:1], s38, v10
	v_addc_co_u32_e64 v10, s[0:1], v8, v11, s[0:1]
	v_add_co_u32_e64 v8, s[0:1], v9, v2
	v_addc_co_u32_e64 v9, s[0:1], v10, v3, s[0:1]
	s_lshl_b64 s[0:1], s[30:31], 3
	s_add_u32 s0, s40, s0
	v_xor_b32_e32 v12, -1, v29
	s_addc_u32 s1, s41, s1
	v_lshlrev_b32_e32 v6, 3, v6
	global_store_byte v[8:9], v12, off offset:2560
	v_mov_b32_e32 v8, s1
	v_add_co_u32_e64 v6, s[0:1], s0, v6
	v_addc_co_u32_e64 v9, s[0:1], 0, v8, s[0:1]
	v_lshlrev_b32_e32 v4, 3, v4
	v_add_co_u32_e64 v8, s[0:1], v6, v4
	v_addc_co_u32_e64 v9, s[0:1], 0, v9, s[0:1]
	global_load_dwordx2 v[10:11], v[8:9], off
	global_load_dwordx2 v[12:13], v[8:9], off offset:512
	global_load_dwordx2 v[20:21], v[8:9], off offset:1024
	;; [unrolled: 1-line block ×5, first 2 shown]
	v_lshlrev_b32_e32 v4, 3, v19
	s_barrier
	v_mov_b32_e32 v9, s43
	v_lshlrev_b32_e32 v8, 3, v2
	v_or_b32_e32 v6, 0x800, v2
	v_mad_u32_u24 v6, v2, 7, v6
	v_lshlrev_b32_e32 v28, 3, v2
	s_add_i32 s7, s7, -1
	s_cmp_eq_u32 s6, s7
	s_waitcnt vmcnt(5)
	ds_write_b64 v4, v[10:11] offset:2048
	v_lshlrev_b32_e32 v4, 3, v18
	s_waitcnt vmcnt(4)
	ds_write_b64 v4, v[12:13] offset:2048
	v_lshlrev_b32_e32 v4, 3, v17
	;; [unrolled: 3-line block ×5, first 2 shown]
	s_waitcnt vmcnt(0)
	ds_write_b64 v4, v[26:27] offset:2048
	s_waitcnt lgkmcnt(0)
	s_barrier
	ds_read_b64 v[4:5], v33
	ds_read_b64 v[12:13], v35
	;; [unrolled: 1-line block ×4, first 2 shown]
	s_waitcnt lgkmcnt(3)
	v_lshlrev_b64 v[4:5], 3, v[4:5]
	v_add_co_u32_e64 v10, s[0:1], s42, v4
	v_addc_co_u32_e64 v9, s[0:1], v9, v5, s[0:1]
	v_lshlrev_b64 v[4:5], 3, v[2:3]
	v_add_co_u32_e64 v4, s[0:1], v10, v4
	v_addc_co_u32_e64 v5, s[0:1], v9, v5, s[0:1]
	ds_read_b64 v[8:9], v8 offset:2048
	ds_read_b64 v[18:19], v30
	ds_read_b64 v[20:21], v6 offset:20480
	ds_read_b64 v[22:23], v31
	s_waitcnt lgkmcnt(3)
	global_store_dwordx2 v[4:5], v[8:9], off
	ds_read2st64_b64 v[8:11], v6 offset0:8 offset1:16
	v_lshlrev_b64 v[4:5], 3, v[12:13]
	v_mov_b32_e32 v12, s43
	v_add_co_u32_e64 v4, s[0:1], s42, v4
	v_addc_co_u32_e64 v5, s[0:1], v12, v5, s[0:1]
	v_add_u32_e32 v12, 0x1000, v28
	v_add_co_u32_e64 v4, s[0:1], v4, v12
	v_addc_co_u32_e64 v5, s[0:1], 0, v5, s[0:1]
	s_waitcnt lgkmcnt(0)
	global_store_dwordx2 v[4:5], v[8:9], off
	v_lshlrev_b64 v[4:5], 3, v[14:15]
	v_mov_b32_e32 v8, s43
	v_add_co_u32_e64 v4, s[0:1], s42, v4
	v_addc_co_u32_e64 v5, s[0:1], v8, v5, s[0:1]
	v_or_b32_e32 v8, 0x2000, v28
	v_add_co_u32_e64 v4, s[0:1], v4, v8
	v_addc_co_u32_e64 v5, s[0:1], 0, v5, s[0:1]
	global_store_dwordx2 v[4:5], v[10:11], off
	ds_read2st64_b64 v[8:11], v6 offset0:24 offset1:32
	v_lshlrev_b64 v[4:5], 3, v[16:17]
	v_mov_b32_e32 v6, s43
	v_add_co_u32_e64 v4, s[0:1], s42, v4
	v_addc_co_u32_e64 v5, s[0:1], v6, v5, s[0:1]
	v_add_u32_e32 v6, 0x3000, v28
	v_add_co_u32_e64 v4, s[0:1], v4, v6
	v_addc_co_u32_e64 v5, s[0:1], 0, v5, s[0:1]
	s_waitcnt lgkmcnt(0)
	global_store_dwordx2 v[4:5], v[8:9], off
	v_lshlrev_b64 v[4:5], 3, v[18:19]
	v_mov_b32_e32 v6, s43
	v_add_co_u32_e64 v4, s[0:1], s42, v4
	v_addc_co_u32_e64 v5, s[0:1], v6, v5, s[0:1]
	v_or_b32_e32 v6, 0x4000, v28
	v_add_co_u32_e64 v4, s[0:1], v4, v6
	v_addc_co_u32_e64 v5, s[0:1], 0, v5, s[0:1]
	global_store_dwordx2 v[4:5], v[10:11], off
	v_lshlrev_b64 v[4:5], 3, v[22:23]
	v_mov_b32_e32 v6, s43
	v_add_co_u32_e64 v4, s[0:1], s42, v4
	v_addc_co_u32_e64 v5, s[0:1], v6, v5, s[0:1]
	v_add_u32_e32 v6, 0x5000, v28
	v_add_co_u32_e64 v4, s[0:1], v4, v6
	v_addc_co_u32_e64 v5, s[0:1], 0, v5, s[0:1]
	s_cselect_b64 s[0:1], -1, 0
	s_and_b64 s[2:3], vcc, s[0:1]
	global_store_dwordx2 v[4:5], v[20:21], off
                                        ; implicit-def: $vgpr4_vgpr5
	s_and_saveexec_b64 s[0:1], s[2:3]
; %bb.122:
	v_add_co_u32_e32 v4, vcc, v0, v7
	v_addc_co_u32_e32 v5, vcc, 0, v1, vcc
	s_or_b64 s[8:9], s[8:9], exec
; %bb.123:
	s_or_b64 exec, exec, s[0:1]
.LBB15_124:
	s_and_saveexec_b64 s[0:1], s[8:9]
	s_cbranch_execnz .LBB15_126
; %bb.125:
	s_endpgm
.LBB15_126:
	v_lshlrev_b32_e32 v6, 3, v2
	v_lshlrev_b64 v[0:1], 3, v[2:3]
	ds_read_b64 v[2:3], v6
	v_mov_b32_e32 v7, s47
	v_add_co_u32_e32 v0, vcc, s46, v0
	v_addc_co_u32_e32 v1, vcc, v7, v1, vcc
	s_waitcnt lgkmcnt(0)
	v_add_co_u32_e32 v2, vcc, v2, v4
	v_addc_co_u32_e32 v3, vcc, v3, v5, vcc
	global_store_dwordx2 v[0:1], v[2:3], off
	s_endpgm
.LBB15_127:
	global_load_dwordx2 v[4:5], v[18:19], off
	s_or_b64 exec, exec, s[28:29]
                                        ; implicit-def: $vgpr6_vgpr7
	s_and_saveexec_b64 s[28:29], s[0:1]
	s_cbranch_execz .LBB15_59
.LBB15_128:
	global_load_dwordx2 v[6:7], v[18:19], off offset:512
	s_or_b64 exec, exec, s[28:29]
                                        ; implicit-def: $vgpr10_vgpr11
	s_and_saveexec_b64 s[0:1], s[2:3]
	s_cbranch_execz .LBB15_60
.LBB15_129:
	global_load_dwordx2 v[10:11], v[18:19], off offset:1024
	s_or_b64 exec, exec, s[0:1]
                                        ; implicit-def: $vgpr12_vgpr13
	s_and_saveexec_b64 s[0:1], s[26:27]
	s_cbranch_execz .LBB15_61
.LBB15_130:
	global_load_dwordx2 v[12:13], v[18:19], off offset:1536
	s_or_b64 exec, exec, s[0:1]
                                        ; implicit-def: $vgpr14_vgpr15
	s_and_saveexec_b64 s[0:1], s[8:9]
	s_cbranch_execz .LBB15_62
.LBB15_131:
	global_load_dwordx2 v[14:15], v[18:19], off offset:2048
	s_or_b64 exec, exec, s[0:1]
                                        ; implicit-def: $vgpr16_vgpr17
	s_and_saveexec_b64 s[0:1], s[10:11]
	s_cbranch_execnz .LBB15_63
	s_branch .LBB15_64
.LBB15_132:
	v_lshlrev_b32_e32 v4, 3, v34
	ds_read_b64 v[4:5], v4
	ds_read_b64 v[6:7], v3 offset:2048
	v_mov_b32_e32 v10, s43
	s_waitcnt lgkmcnt(1)
	v_lshlrev_b64 v[4:5], 3, v[4:5]
	v_add_co_u32_e32 v4, vcc, s42, v4
	v_addc_co_u32_e32 v5, vcc, v10, v5, vcc
	v_add_co_u32_e32 v4, vcc, v4, v3
	v_addc_co_u32_e32 v5, vcc, 0, v5, vcc
	s_waitcnt lgkmcnt(0)
	global_store_dwordx2 v[4:5], v[6:7], off
	s_or_b64 exec, exec, s[0:1]
	s_and_saveexec_b64 s[0:1], s[16:17]
	s_cbranch_execz .LBB15_78
.LBB15_133:
	v_lshlrev_b32_e32 v4, 3, v32
	ds_read_b64 v[4:5], v4
	ds_read_b64 v[6:7], v3 offset:6144
	v_mov_b32_e32 v10, s43
	s_waitcnt lgkmcnt(1)
	v_lshlrev_b64 v[4:5], 3, v[4:5]
	v_add_co_u32_e32 v4, vcc, s42, v4
	v_addc_co_u32_e32 v5, vcc, v10, v5, vcc
	v_lshlrev_b32_e32 v10, 3, v21
	v_add_co_u32_e32 v4, vcc, v4, v10
	v_addc_co_u32_e32 v5, vcc, 0, v5, vcc
	s_waitcnt lgkmcnt(0)
	global_store_dwordx2 v[4:5], v[6:7], off
	s_or_b64 exec, exec, s[0:1]
	s_and_saveexec_b64 s[0:1], s[18:19]
	s_cbranch_execz .LBB15_79
.LBB15_134:
	v_lshlrev_b32_e32 v4, 3, v33
	ds_read_b64 v[4:5], v4
	ds_read_b64 v[6:7], v3 offset:10240
	v_mov_b32_e32 v10, s43
	s_waitcnt lgkmcnt(1)
	v_lshlrev_b64 v[4:5], 3, v[4:5]
	v_add_co_u32_e32 v4, vcc, s42, v4
	v_addc_co_u32_e32 v5, vcc, v10, v5, vcc
	v_lshlrev_b32_e32 v10, 3, v24
	v_add_co_u32_e32 v4, vcc, v4, v10
	v_addc_co_u32_e32 v5, vcc, 0, v5, vcc
	s_waitcnt lgkmcnt(0)
	global_store_dwordx2 v[4:5], v[6:7], off
	s_or_b64 exec, exec, s[0:1]
	s_and_saveexec_b64 s[0:1], s[20:21]
	s_cbranch_execz .LBB15_80
.LBB15_135:
	v_lshlrev_b32_e32 v4, 3, v19
	ds_read_b64 v[4:5], v4
	ds_read_b64 v[6:7], v3 offset:14336
	v_mov_b32_e32 v10, s43
	s_waitcnt lgkmcnt(1)
	v_lshlrev_b64 v[4:5], 3, v[4:5]
	v_add_co_u32_e32 v4, vcc, s42, v4
	v_addc_co_u32_e32 v5, vcc, v10, v5, vcc
	v_lshlrev_b32_e32 v10, 3, v25
	v_add_co_u32_e32 v4, vcc, v4, v10
	v_addc_co_u32_e32 v5, vcc, 0, v5, vcc
	s_waitcnt lgkmcnt(0)
	global_store_dwordx2 v[4:5], v[6:7], off
	s_or_b64 exec, exec, s[0:1]
	s_and_saveexec_b64 s[0:1], s[22:23]
	s_cbranch_execz .LBB15_81
.LBB15_136:
	v_lshlrev_b32_e32 v4, 3, v31
	ds_read_b64 v[4:5], v4
	ds_read_b64 v[6:7], v3 offset:18432
	v_mov_b32_e32 v10, s43
	s_waitcnt lgkmcnt(1)
	v_lshlrev_b64 v[4:5], 3, v[4:5]
	v_add_co_u32_e32 v4, vcc, s42, v4
	v_addc_co_u32_e32 v5, vcc, v10, v5, vcc
	v_lshlrev_b32_e32 v10, 3, v29
	v_add_co_u32_e32 v4, vcc, v4, v10
	v_addc_co_u32_e32 v5, vcc, 0, v5, vcc
	s_waitcnt lgkmcnt(0)
	global_store_dwordx2 v[4:5], v[6:7], off
	s_or_b64 exec, exec, s[0:1]
	s_and_saveexec_b64 s[0:1], s[24:25]
	s_cbranch_execnz .LBB15_82
	s_branch .LBB15_83
	.section	.rodata,"a",@progbits
	.p2align	6, 0x0
	.amdhsa_kernel _ZN7rocprim17ROCPRIM_304000_NS6detail25onesweep_iteration_kernelINS1_34wrapped_radix_sort_onesweep_configINS0_14default_configEhN2at4cuda3cub6detail10OpaqueTypeILi8EEEEELb1EPhSC_PSA_SD_mNS0_19identity_decomposerEEEvT1_T2_T3_T4_jPT5_SK_PNS1_23onesweep_lookback_stateET6_jjj
		.amdhsa_group_segment_fixed_size 26624
		.amdhsa_private_segment_fixed_size 0
		.amdhsa_kernarg_size 336
		.amdhsa_user_sgpr_count 6
		.amdhsa_user_sgpr_private_segment_buffer 1
		.amdhsa_user_sgpr_dispatch_ptr 0
		.amdhsa_user_sgpr_queue_ptr 0
		.amdhsa_user_sgpr_kernarg_segment_ptr 1
		.amdhsa_user_sgpr_dispatch_id 0
		.amdhsa_user_sgpr_flat_scratch_init 0
		.amdhsa_user_sgpr_kernarg_preload_length 0
		.amdhsa_user_sgpr_kernarg_preload_offset 0
		.amdhsa_user_sgpr_private_segment_size 0
		.amdhsa_uses_dynamic_stack 0
		.amdhsa_system_sgpr_private_segment_wavefront_offset 0
		.amdhsa_system_sgpr_workgroup_id_x 1
		.amdhsa_system_sgpr_workgroup_id_y 0
		.amdhsa_system_sgpr_workgroup_id_z 0
		.amdhsa_system_sgpr_workgroup_info 0
		.amdhsa_system_vgpr_workitem_id 2
		.amdhsa_next_free_vgpr 40
		.amdhsa_next_free_sgpr 53
		.amdhsa_accum_offset 40
		.amdhsa_reserve_vcc 1
		.amdhsa_reserve_flat_scratch 0
		.amdhsa_float_round_mode_32 0
		.amdhsa_float_round_mode_16_64 0
		.amdhsa_float_denorm_mode_32 3
		.amdhsa_float_denorm_mode_16_64 3
		.amdhsa_dx10_clamp 1
		.amdhsa_ieee_mode 1
		.amdhsa_fp16_overflow 0
		.amdhsa_tg_split 0
		.amdhsa_exception_fp_ieee_invalid_op 0
		.amdhsa_exception_fp_denorm_src 0
		.amdhsa_exception_fp_ieee_div_zero 0
		.amdhsa_exception_fp_ieee_overflow 0
		.amdhsa_exception_fp_ieee_underflow 0
		.amdhsa_exception_fp_ieee_inexact 0
		.amdhsa_exception_int_div_zero 0
	.end_amdhsa_kernel
	.section	.text._ZN7rocprim17ROCPRIM_304000_NS6detail25onesweep_iteration_kernelINS1_34wrapped_radix_sort_onesweep_configINS0_14default_configEhN2at4cuda3cub6detail10OpaqueTypeILi8EEEEELb1EPhSC_PSA_SD_mNS0_19identity_decomposerEEEvT1_T2_T3_T4_jPT5_SK_PNS1_23onesweep_lookback_stateET6_jjj,"axG",@progbits,_ZN7rocprim17ROCPRIM_304000_NS6detail25onesweep_iteration_kernelINS1_34wrapped_radix_sort_onesweep_configINS0_14default_configEhN2at4cuda3cub6detail10OpaqueTypeILi8EEEEELb1EPhSC_PSA_SD_mNS0_19identity_decomposerEEEvT1_T2_T3_T4_jPT5_SK_PNS1_23onesweep_lookback_stateET6_jjj,comdat
.Lfunc_end15:
	.size	_ZN7rocprim17ROCPRIM_304000_NS6detail25onesweep_iteration_kernelINS1_34wrapped_radix_sort_onesweep_configINS0_14default_configEhN2at4cuda3cub6detail10OpaqueTypeILi8EEEEELb1EPhSC_PSA_SD_mNS0_19identity_decomposerEEEvT1_T2_T3_T4_jPT5_SK_PNS1_23onesweep_lookback_stateET6_jjj, .Lfunc_end15-_ZN7rocprim17ROCPRIM_304000_NS6detail25onesweep_iteration_kernelINS1_34wrapped_radix_sort_onesweep_configINS0_14default_configEhN2at4cuda3cub6detail10OpaqueTypeILi8EEEEELb1EPhSC_PSA_SD_mNS0_19identity_decomposerEEEvT1_T2_T3_T4_jPT5_SK_PNS1_23onesweep_lookback_stateET6_jjj
                                        ; -- End function
	.section	.AMDGPU.csdata,"",@progbits
; Kernel info:
; codeLenInByte = 11432
; NumSgprs: 57
; NumVgprs: 40
; NumAgprs: 0
; TotalNumVgprs: 40
; ScratchSize: 0
; MemoryBound: 0
; FloatMode: 240
; IeeeMode: 1
; LDSByteSize: 26624 bytes/workgroup (compile time only)
; SGPRBlocks: 7
; VGPRBlocks: 4
; NumSGPRsForWavesPerEU: 57
; NumVGPRsForWavesPerEU: 40
; AccumOffset: 40
; Occupancy: 4
; WaveLimiterHint : 1
; COMPUTE_PGM_RSRC2:SCRATCH_EN: 0
; COMPUTE_PGM_RSRC2:USER_SGPR: 6
; COMPUTE_PGM_RSRC2:TRAP_HANDLER: 0
; COMPUTE_PGM_RSRC2:TGID_X_EN: 1
; COMPUTE_PGM_RSRC2:TGID_Y_EN: 0
; COMPUTE_PGM_RSRC2:TGID_Z_EN: 0
; COMPUTE_PGM_RSRC2:TIDIG_COMP_CNT: 2
; COMPUTE_PGM_RSRC3_GFX90A:ACCUM_OFFSET: 9
; COMPUTE_PGM_RSRC3_GFX90A:TG_SPLIT: 0
	.section	.text._ZN7rocprim17ROCPRIM_304000_NS6detail28radix_sort_block_sort_kernelINS1_36wrapped_radix_sort_block_sort_configINS0_13kernel_configILj256ELj4ELj4294967295EEEhN2at4cuda3cub6detail10OpaqueTypeILi8EEEEELb0EPKhPhPKSB_PSB_NS0_19identity_decomposerEEEvT1_T2_T3_T4_jT5_jj,"axG",@progbits,_ZN7rocprim17ROCPRIM_304000_NS6detail28radix_sort_block_sort_kernelINS1_36wrapped_radix_sort_block_sort_configINS0_13kernel_configILj256ELj4ELj4294967295EEEhN2at4cuda3cub6detail10OpaqueTypeILi8EEEEELb0EPKhPhPKSB_PSB_NS0_19identity_decomposerEEEvT1_T2_T3_T4_jT5_jj,comdat
	.protected	_ZN7rocprim17ROCPRIM_304000_NS6detail28radix_sort_block_sort_kernelINS1_36wrapped_radix_sort_block_sort_configINS0_13kernel_configILj256ELj4ELj4294967295EEEhN2at4cuda3cub6detail10OpaqueTypeILi8EEEEELb0EPKhPhPKSB_PSB_NS0_19identity_decomposerEEEvT1_T2_T3_T4_jT5_jj ; -- Begin function _ZN7rocprim17ROCPRIM_304000_NS6detail28radix_sort_block_sort_kernelINS1_36wrapped_radix_sort_block_sort_configINS0_13kernel_configILj256ELj4ELj4294967295EEEhN2at4cuda3cub6detail10OpaqueTypeILi8EEEEELb0EPKhPhPKSB_PSB_NS0_19identity_decomposerEEEvT1_T2_T3_T4_jT5_jj
	.globl	_ZN7rocprim17ROCPRIM_304000_NS6detail28radix_sort_block_sort_kernelINS1_36wrapped_radix_sort_block_sort_configINS0_13kernel_configILj256ELj4ELj4294967295EEEhN2at4cuda3cub6detail10OpaqueTypeILi8EEEEELb0EPKhPhPKSB_PSB_NS0_19identity_decomposerEEEvT1_T2_T3_T4_jT5_jj
	.p2align	8
	.type	_ZN7rocprim17ROCPRIM_304000_NS6detail28radix_sort_block_sort_kernelINS1_36wrapped_radix_sort_block_sort_configINS0_13kernel_configILj256ELj4ELj4294967295EEEhN2at4cuda3cub6detail10OpaqueTypeILi8EEEEELb0EPKhPhPKSB_PSB_NS0_19identity_decomposerEEEvT1_T2_T3_T4_jT5_jj,@function
_ZN7rocprim17ROCPRIM_304000_NS6detail28radix_sort_block_sort_kernelINS1_36wrapped_radix_sort_block_sort_configINS0_13kernel_configILj256ELj4ELj4294967295EEEhN2at4cuda3cub6detail10OpaqueTypeILi8EEEEELb0EPKhPhPKSB_PSB_NS0_19identity_decomposerEEEvT1_T2_T3_T4_jT5_jj: ; @_ZN7rocprim17ROCPRIM_304000_NS6detail28radix_sort_block_sort_kernelINS1_36wrapped_radix_sort_block_sort_configINS0_13kernel_configILj256ELj4ELj4294967295EEEhN2at4cuda3cub6detail10OpaqueTypeILi8EEEEELb0EPKhPhPKSB_PSB_NS0_19identity_decomposerEEEvT1_T2_T3_T4_jT5_jj
; %bb.0:
	s_load_dword s2, s[4:5], 0x20
	s_load_dwordx8 s[36:43], s[4:5], 0x0
	s_lshl_b32 s28, s6, 10
	v_mbcnt_lo_u32_b32 v1, -1, 0
	v_and_b32_e32 v8, 0x3ff, v0
	s_waitcnt lgkmcnt(0)
	s_lshr_b32 s0, s2, 10
	s_cmp_lg_u32 s6, s0
	s_cselect_b64 s[30:31], -1, 0
	s_add_u32 s1, s36, s28
	s_addc_u32 s3, s37, 0
	v_mbcnt_hi_u32_b32 v2, -1, v1
	v_lshlrev_b32_e32 v1, 2, v8
	v_mov_b32_e32 v3, s3
	v_add_co_u32_e32 v4, vcc, s1, v2
	v_and_b32_e32 v6, 0x300, v1
	v_addc_co_u32_e32 v3, vcc, 0, v3, vcc
	v_add_co_u32_e32 v4, vcc, v4, v6
	s_mov_b32 s29, 0
	s_cmp_eq_u32 s6, s0
	v_addc_co_u32_e32 v5, vcc, 0, v3, vcc
	v_lshlrev_b32_e32 v10, 3, v2
	v_lshlrev_b32_e32 v7, 3, v6
	v_add_u32_e32 v3, v2, v6
	s_cbranch_scc1 .LBB16_2
; %bb.1:
	s_lshl_b64 s[0:1], s[28:29], 3
	s_add_u32 s0, s40, s0
	s_addc_u32 s1, s41, s1
	v_mov_b32_e32 v11, s1
	v_add_co_u32_e32 v12, vcc, s0, v10
	v_addc_co_u32_e32 v11, vcc, 0, v11, vcc
	v_add_co_u32_e32 v12, vcc, v12, v7
	v_addc_co_u32_e32 v13, vcc, 0, v11, vcc
	global_load_ubyte v31, v[4:5], off offset:192
	global_load_ubyte v32, v[4:5], off offset:128
	;; [unrolled: 1-line block ×3, first 2 shown]
	global_load_ubyte v9, v[4:5], off
	global_load_dwordx2 v[20:21], v[12:13], off
	global_load_dwordx2 v[22:23], v[12:13], off offset:512
	global_load_dwordx2 v[24:25], v[12:13], off offset:1024
	;; [unrolled: 1-line block ×3, first 2 shown]
	v_add_u32_e32 v36, v2, v6
	v_add_u32_e32 v33, 64, v36
	;; [unrolled: 1-line block ×4, first 2 shown]
	s_sub_i32 s33, s2, s28
	s_cbranch_execz .LBB16_3
	s_branch .LBB16_17
.LBB16_2:
                                        ; implicit-def: $vgpr9
                                        ; implicit-def: $vgpr29
                                        ; implicit-def: $vgpr32
                                        ; implicit-def: $vgpr31
                                        ; implicit-def: $vgpr20_vgpr21
                                        ; implicit-def: $vgpr22_vgpr23
                                        ; implicit-def: $vgpr24_vgpr25
                                        ; implicit-def: $vgpr26_vgpr27
                                        ; implicit-def: $vgpr36
                                        ; implicit-def: $vgpr33
                                        ; implicit-def: $vgpr34
                                        ; implicit-def: $vgpr35
	s_sub_i32 s33, s2, s28
.LBB16_3:
	v_cmp_gt_u32_e32 vcc, s33, v3
	s_waitcnt vmcnt(4)
	v_mov_b32_e32 v9, 0xff
	v_mov_b32_e32 v31, 0xff
	;; [unrolled: 1-line block ×4, first 2 shown]
	s_and_saveexec_b64 s[0:1], vcc
	s_cbranch_execz .LBB16_5
; %bb.4:
	global_load_ubyte v9, v[4:5], off
	v_mov_b32_e32 v29, 0xff
	v_mov_b32_e32 v32, 0xff
	;; [unrolled: 1-line block ×3, first 2 shown]
.LBB16_5:
	s_or_b64 exec, exec, s[0:1]
	v_add_u32_e32 v33, 64, v3
	v_cmp_gt_u32_e64 s[0:1], s33, v33
	s_and_saveexec_b64 s[2:3], s[0:1]
	s_cbranch_execz .LBB16_7
; %bb.6:
	global_load_ubyte v29, v[4:5], off offset:64
.LBB16_7:
	s_or_b64 exec, exec, s[2:3]
	v_add_u32_e32 v34, 0x80, v3
	v_cmp_gt_u32_e64 s[2:3], s33, v34
	s_and_saveexec_b64 s[6:7], s[2:3]
	s_cbranch_execz .LBB16_9
; %bb.8:
	global_load_ubyte v32, v[4:5], off offset:128
.LBB16_9:
	;; [unrolled: 8-line block ×3, first 2 shown]
	s_or_b64 exec, exec, s[8:9]
	s_lshl_b64 s[8:9], s[28:29], 3
	s_add_u32 s8, s40, s8
	s_addc_u32 s9, s41, s9
	v_mov_b32_e32 v4, s9
	v_add_co_u32_e64 v5, s[8:9], s8, v10
	v_addc_co_u32_e64 v6, s[8:9], 0, v4, s[8:9]
	v_add_co_u32_e64 v4, s[8:9], v5, v7
	v_addc_co_u32_e64 v5, s[8:9], 0, v6, s[8:9]
                                        ; implicit-def: $vgpr20_vgpr21
	s_and_saveexec_b64 s[8:9], vcc
	s_cbranch_execnz .LBB16_54
; %bb.12:
	s_or_b64 exec, exec, s[8:9]
                                        ; implicit-def: $vgpr22_vgpr23
	s_and_saveexec_b64 s[8:9], s[0:1]
	s_cbranch_execnz .LBB16_55
.LBB16_13:
	s_or_b64 exec, exec, s[8:9]
                                        ; implicit-def: $vgpr24_vgpr25
	s_and_saveexec_b64 s[0:1], s[2:3]
	s_cbranch_execnz .LBB16_56
.LBB16_14:
	s_or_b64 exec, exec, s[0:1]
                                        ; implicit-def: $vgpr26_vgpr27
	s_and_saveexec_b64 s[0:1], s[6:7]
	s_cbranch_execz .LBB16_16
.LBB16_15:
	global_load_dwordx2 v[26:27], v[4:5], off offset:1536
.LBB16_16:
	s_or_b64 exec, exec, s[0:1]
	v_mov_b32_e32 v36, v3
.LBB16_17:
	s_load_dwordx2 s[34:35], s[4:5], 0x28
	s_load_dword s0, s[4:5], 0x3c
	v_bfe_u32 v3, v0, 10, 10
	v_bfe_u32 v0, v0, 20, 10
	v_lshlrev_b32_e32 v37, 2, v1
	v_and_b32_e32 v1, 64, v2
	s_waitcnt lgkmcnt(0)
	s_lshr_b32 s1, s0, 16
	s_and_b32 s0, s0, 0xffff
	v_mad_u32_u24 v0, v0, s1, v3
	s_waitcnt vmcnt(0)
	v_mad_u64_u32 v[4:5], s[0:1], v0, s0, v[8:9]
	v_and_b32_e32 v0, 15, v2
	v_cmp_eq_u32_e64 s[0:1], 0, v0
	v_cmp_lt_u32_e64 s[2:3], 1, v0
	v_cmp_lt_u32_e64 s[4:5], 3, v0
	;; [unrolled: 1-line block ×3, first 2 shown]
	v_and_b32_e32 v0, 16, v2
	v_cmp_eq_u32_e64 s[8:9], 0, v0
	v_and_b32_e32 v0, 0x3c0, v8
	v_min_u32_e32 v0, 0xc0, v0
	v_or_b32_e32 v0, 63, v0
	v_cmp_eq_u32_e64 s[12:13], v0, v8
	v_add_u32_e32 v0, -1, v2
	v_cmp_lt_i32_e32 vcc, v0, v1
	v_cndmask_b32_e32 v0, v0, v2, vcc
	s_mov_b32 s26, 0
	v_lshlrev_b32_e32 v39, 2, v0
	v_lshrrev_b32_e32 v0, 4, v8
	v_and_b32_e32 v1, 3, v2
	v_lshrrev_b32_e32 v38, 6, v4
	v_cmp_lt_u32_e64 s[10:11], 31, v2
	v_cmp_eq_u32_e64 s[18:19], 0, v2
	v_and_b32_e32 v40, 60, v0
	v_mul_i32_i24_e32 v0, -12, v8
	v_cmp_eq_u32_e64 s[22:23], 0, v1
	v_cmp_lt_u32_e64 s[24:25], 1, v1
	v_mul_lo_u32 v1, v36, 7
	v_mul_lo_u32 v2, v33, 7
	;; [unrolled: 1-line block ×4, first 2 shown]
	s_mov_b32 s27, s26
	s_mov_b32 s40, s26
	;; [unrolled: 1-line block ×3, first 2 shown]
	s_add_i32 s36, s35, s34
	v_cmp_gt_u32_e64 s[14:15], 4, v8
	v_cmp_lt_u32_e64 s[16:17], 63, v8
	v_cmp_eq_u32_e64 s[20:21], 0, v8
	v_add_u32_e32 v41, -4, v40
	v_pk_mov_b32 v[10:11], s[26:27], s[26:27] op_sel:[0,1]
	v_pk_mov_b32 v[12:13], s[40:41], s[40:41] op_sel:[0,1]
	v_add_u32_e32 v42, v37, v0
	v_add_u32_e32 v43, v36, v1
	;; [unrolled: 1-line block ×5, first 2 shown]
	v_mov_b32_e32 v18, 0
	s_branch .LBB16_19
.LBB16_18:                              ;   in Loop: Header=BB16_19 Depth=1
	s_barrier
	ds_write_b8 v30, v9
	ds_write_b8 v28, v29
	;; [unrolled: 1-line block ×4, first 2 shown]
	s_waitcnt lgkmcnt(0)
	s_barrier
	ds_read_u8 v31, v35
	ds_read_u8 v32, v34
	;; [unrolled: 1-line block ×4, first 2 shown]
	s_waitcnt lgkmcnt(0)
	v_mad_u64_u32 v[20:21], s[26:27], v30, 7, v[30:31]
	s_barrier
	ds_write_b64 v20, v[16:17]
	v_mad_u64_u32 v[20:21], s[26:27], v28, 7, v[28:29]
	ds_write_b64 v20, v[14:15]
	v_mad_u64_u32 v[20:21], s[26:27], v2, 7, v[2:3]
	;; [unrolled: 2-line block ×3, first 2 shown]
	ds_write_b64 v20, v[4:5]
	s_waitcnt lgkmcnt(0)
	s_barrier
	ds_read_b64 v[20:21], v43
	ds_read_b64 v[22:23], v44
	;; [unrolled: 1-line block ×4, first 2 shown]
	s_add_i32 s35, s35, -8
	s_waitcnt lgkmcnt(0)
	s_barrier
	s_cbranch_execz .LBB16_35
.LBB16_19:                              ; =>This Inner Loop Header: Depth=1
	s_min_u32 s26, s35, 8
	s_lshl_b32 s26, -1, s26
	s_not_b32 s37, s26
	v_lshrrev_b32_sdwa v0, s34, v9 dst_sel:DWORD dst_unused:UNUSED_PAD src0_sel:DWORD src1_sel:BYTE_0
	v_and_b32_e32 v0, s37, v0
	v_lshl_add_u32 v1, v0, 2, v38
	v_pk_mov_b32 v[16:17], v[20:21], v[20:21] op_sel:[0,1]
	v_lshl_add_u32 v20, v1, 2, 16
	v_and_b32_e32 v1, 1, v0
	v_add_co_u32_e32 v2, vcc, -1, v1
	v_addc_co_u32_e64 v3, s[26:27], 0, -1, vcc
	v_cmp_ne_u32_e32 vcc, 0, v1
	v_lshlrev_b32_e32 v19, 30, v0
	v_xor_b32_e32 v1, vcc_hi, v3
	v_not_b32_e32 v3, v19
	v_xor_b32_e32 v2, vcc_lo, v2
	v_cmp_gt_i64_e32 vcc, 0, v[18:19]
	v_ashrrev_i32_e32 v3, 31, v3
	v_and_b32_e32 v1, exec_hi, v1
	v_xor_b32_e32 v19, vcc_hi, v3
	v_and_b32_e32 v2, exec_lo, v2
	v_xor_b32_e32 v3, vcc_lo, v3
	v_and_b32_e32 v1, v1, v19
	v_lshlrev_b32_e32 v19, 29, v0
	v_and_b32_e32 v2, v2, v3
	v_not_b32_e32 v3, v19
	v_cmp_gt_i64_e32 vcc, 0, v[18:19]
	v_ashrrev_i32_e32 v3, 31, v3
	v_xor_b32_e32 v19, vcc_hi, v3
	v_xor_b32_e32 v3, vcc_lo, v3
	v_and_b32_e32 v1, v1, v19
	v_lshlrev_b32_e32 v19, 28, v0
	v_and_b32_e32 v2, v2, v3
	v_not_b32_e32 v3, v19
	v_cmp_gt_i64_e32 vcc, 0, v[18:19]
	v_ashrrev_i32_e32 v3, 31, v3
	v_xor_b32_e32 v19, vcc_hi, v3
	;; [unrolled: 8-line block ×5, first 2 shown]
	v_and_b32_e32 v1, v1, v19
	v_lshlrev_b32_e32 v19, 24, v0
	v_not_b32_e32 v0, v19
	v_xor_b32_e32 v3, vcc_lo, v3
	v_cmp_gt_i64_e32 vcc, 0, v[18:19]
	v_ashrrev_i32_e32 v0, 31, v0
	v_and_b32_e32 v2, v2, v3
	v_xor_b32_e32 v3, vcc_hi, v0
	v_xor_b32_e32 v0, vcc_lo, v0
	v_and_b32_e32 v0, v2, v0
	v_and_b32_e32 v1, v1, v3
	v_mbcnt_lo_u32_b32 v2, v0, 0
	v_mbcnt_hi_u32_b32 v21, v1, v2
	v_cmp_eq_u32_e32 vcc, 0, v21
	v_cmp_ne_u64_e64 s[26:27], 0, v[0:1]
	v_pk_mov_b32 v[14:15], v[22:23], v[22:23] op_sel:[0,1]
	v_pk_mov_b32 v[6:7], v[24:25], v[24:25] op_sel:[0,1]
	;; [unrolled: 1-line block ×3, first 2 shown]
	s_and_b64 s[40:41], s[26:27], vcc
	ds_write2_b64 v37, v[10:11], v[12:13] offset0:2 offset1:3
	s_waitcnt lgkmcnt(0)
	s_barrier
	s_waitcnt lgkmcnt(0)
	; wave barrier
	s_and_saveexec_b64 s[26:27], s[40:41]
	s_cbranch_execz .LBB16_21
; %bb.20:                               ;   in Loop: Header=BB16_19 Depth=1
	v_bcnt_u32_b32 v0, v0, 0
	v_bcnt_u32_b32 v0, v1, v0
	ds_write_b32 v20, v0
.LBB16_21:                              ;   in Loop: Header=BB16_19 Depth=1
	s_or_b64 exec, exec, s[26:27]
	v_lshrrev_b32_sdwa v0, s34, v29 dst_sel:DWORD dst_unused:UNUSED_PAD src0_sel:DWORD src1_sel:BYTE_0
	v_and_b32_e32 v0, s37, v0
	v_lshlrev_b32_e32 v1, 2, v0
	v_add_lshl_u32 v1, v1, v38, 2
	; wave barrier
	v_add_u32_e32 v23, 16, v1
	ds_read_b32 v22, v1 offset:16
	v_and_b32_e32 v1, 1, v0
	v_add_co_u32_e32 v2, vcc, -1, v1
	v_addc_co_u32_e64 v3, s[26:27], 0, -1, vcc
	v_cmp_ne_u32_e32 vcc, 0, v1
	v_lshlrev_b32_e32 v19, 30, v0
	v_xor_b32_e32 v1, vcc_hi, v3
	v_not_b32_e32 v3, v19
	v_xor_b32_e32 v2, vcc_lo, v2
	v_cmp_gt_i64_e32 vcc, 0, v[18:19]
	v_ashrrev_i32_e32 v3, 31, v3
	v_and_b32_e32 v1, exec_hi, v1
	v_xor_b32_e32 v19, vcc_hi, v3
	v_and_b32_e32 v2, exec_lo, v2
	v_xor_b32_e32 v3, vcc_lo, v3
	v_and_b32_e32 v1, v1, v19
	v_lshlrev_b32_e32 v19, 29, v0
	v_and_b32_e32 v2, v2, v3
	v_not_b32_e32 v3, v19
	v_cmp_gt_i64_e32 vcc, 0, v[18:19]
	v_ashrrev_i32_e32 v3, 31, v3
	v_xor_b32_e32 v19, vcc_hi, v3
	v_xor_b32_e32 v3, vcc_lo, v3
	v_and_b32_e32 v1, v1, v19
	v_lshlrev_b32_e32 v19, 28, v0
	v_and_b32_e32 v2, v2, v3
	v_not_b32_e32 v3, v19
	v_cmp_gt_i64_e32 vcc, 0, v[18:19]
	v_ashrrev_i32_e32 v3, 31, v3
	v_xor_b32_e32 v19, vcc_hi, v3
	;; [unrolled: 8-line block ×5, first 2 shown]
	v_and_b32_e32 v1, v1, v19
	v_lshlrev_b32_e32 v19, 24, v0
	v_not_b32_e32 v0, v19
	v_xor_b32_e32 v3, vcc_lo, v3
	v_cmp_gt_i64_e32 vcc, 0, v[18:19]
	v_ashrrev_i32_e32 v0, 31, v0
	v_and_b32_e32 v2, v2, v3
	v_xor_b32_e32 v3, vcc_hi, v0
	v_xor_b32_e32 v0, vcc_lo, v0
	v_and_b32_e32 v0, v2, v0
	v_and_b32_e32 v1, v1, v3
	v_mbcnt_lo_u32_b32 v2, v0, 0
	v_mbcnt_hi_u32_b32 v24, v1, v2
	v_cmp_eq_u32_e32 vcc, 0, v24
	v_cmp_ne_u64_e64 s[26:27], 0, v[0:1]
	s_and_b64 s[40:41], s[26:27], vcc
	; wave barrier
	s_and_saveexec_b64 s[26:27], s[40:41]
	s_cbranch_execz .LBB16_23
; %bb.22:                               ;   in Loop: Header=BB16_19 Depth=1
	v_bcnt_u32_b32 v0, v0, 0
	v_bcnt_u32_b32 v0, v1, v0
	s_waitcnt lgkmcnt(0)
	v_add_u32_e32 v0, v22, v0
	ds_write_b32 v23, v0
.LBB16_23:                              ;   in Loop: Header=BB16_19 Depth=1
	s_or_b64 exec, exec, s[26:27]
	v_lshrrev_b32_sdwa v0, s34, v32 dst_sel:DWORD dst_unused:UNUSED_PAD src0_sel:DWORD src1_sel:BYTE_0
	v_and_b32_e32 v0, s37, v0
	v_lshlrev_b32_e32 v1, 2, v0
	v_add_lshl_u32 v1, v1, v38, 2
	; wave barrier
	v_add_u32_e32 v26, 16, v1
	ds_read_b32 v25, v1 offset:16
	v_and_b32_e32 v1, 1, v0
	v_add_co_u32_e32 v2, vcc, -1, v1
	v_addc_co_u32_e64 v3, s[26:27], 0, -1, vcc
	v_cmp_ne_u32_e32 vcc, 0, v1
	v_lshlrev_b32_e32 v19, 30, v0
	v_xor_b32_e32 v1, vcc_hi, v3
	v_not_b32_e32 v3, v19
	v_xor_b32_e32 v2, vcc_lo, v2
	v_cmp_gt_i64_e32 vcc, 0, v[18:19]
	v_ashrrev_i32_e32 v3, 31, v3
	v_and_b32_e32 v1, exec_hi, v1
	v_xor_b32_e32 v19, vcc_hi, v3
	v_and_b32_e32 v2, exec_lo, v2
	v_xor_b32_e32 v3, vcc_lo, v3
	v_and_b32_e32 v1, v1, v19
	v_lshlrev_b32_e32 v19, 29, v0
	v_and_b32_e32 v2, v2, v3
	v_not_b32_e32 v3, v19
	v_cmp_gt_i64_e32 vcc, 0, v[18:19]
	v_ashrrev_i32_e32 v3, 31, v3
	v_xor_b32_e32 v19, vcc_hi, v3
	v_xor_b32_e32 v3, vcc_lo, v3
	v_and_b32_e32 v1, v1, v19
	v_lshlrev_b32_e32 v19, 28, v0
	v_and_b32_e32 v2, v2, v3
	v_not_b32_e32 v3, v19
	v_cmp_gt_i64_e32 vcc, 0, v[18:19]
	v_ashrrev_i32_e32 v3, 31, v3
	v_xor_b32_e32 v19, vcc_hi, v3
	;; [unrolled: 8-line block ×5, first 2 shown]
	v_and_b32_e32 v1, v1, v19
	v_lshlrev_b32_e32 v19, 24, v0
	v_not_b32_e32 v0, v19
	v_xor_b32_e32 v3, vcc_lo, v3
	v_cmp_gt_i64_e32 vcc, 0, v[18:19]
	v_ashrrev_i32_e32 v0, 31, v0
	v_and_b32_e32 v2, v2, v3
	v_xor_b32_e32 v3, vcc_hi, v0
	v_xor_b32_e32 v0, vcc_lo, v0
	v_and_b32_e32 v0, v2, v0
	v_and_b32_e32 v1, v1, v3
	v_mbcnt_lo_u32_b32 v2, v0, 0
	v_mbcnt_hi_u32_b32 v27, v1, v2
	v_cmp_eq_u32_e32 vcc, 0, v27
	v_cmp_ne_u64_e64 s[26:27], 0, v[0:1]
	s_and_b64 s[40:41], s[26:27], vcc
	; wave barrier
	s_and_saveexec_b64 s[26:27], s[40:41]
	s_cbranch_execz .LBB16_25
; %bb.24:                               ;   in Loop: Header=BB16_19 Depth=1
	v_bcnt_u32_b32 v0, v0, 0
	v_bcnt_u32_b32 v0, v1, v0
	s_waitcnt lgkmcnt(0)
	v_add_u32_e32 v0, v25, v0
	ds_write_b32 v26, v0
.LBB16_25:                              ;   in Loop: Header=BB16_19 Depth=1
	s_or_b64 exec, exec, s[26:27]
	v_lshrrev_b32_sdwa v0, s34, v31 dst_sel:DWORD dst_unused:UNUSED_PAD src0_sel:DWORD src1_sel:BYTE_0
	v_and_b32_e32 v0, s37, v0
	v_lshlrev_b32_e32 v1, 2, v0
	v_add_lshl_u32 v1, v1, v38, 2
	; wave barrier
	v_add_u32_e32 v28, 16, v1
	ds_read_b32 v47, v1 offset:16
	v_and_b32_e32 v1, 1, v0
	v_add_co_u32_e32 v2, vcc, -1, v1
	v_addc_co_u32_e64 v3, s[26:27], 0, -1, vcc
	v_cmp_ne_u32_e32 vcc, 0, v1
	v_lshlrev_b32_e32 v19, 30, v0
	v_xor_b32_e32 v1, vcc_hi, v3
	v_not_b32_e32 v3, v19
	v_xor_b32_e32 v2, vcc_lo, v2
	v_cmp_gt_i64_e32 vcc, 0, v[18:19]
	v_ashrrev_i32_e32 v3, 31, v3
	v_and_b32_e32 v1, exec_hi, v1
	v_xor_b32_e32 v19, vcc_hi, v3
	v_and_b32_e32 v2, exec_lo, v2
	v_xor_b32_e32 v3, vcc_lo, v3
	v_and_b32_e32 v1, v1, v19
	v_lshlrev_b32_e32 v19, 29, v0
	v_and_b32_e32 v2, v2, v3
	v_not_b32_e32 v3, v19
	v_cmp_gt_i64_e32 vcc, 0, v[18:19]
	v_ashrrev_i32_e32 v3, 31, v3
	v_xor_b32_e32 v19, vcc_hi, v3
	v_xor_b32_e32 v3, vcc_lo, v3
	v_and_b32_e32 v1, v1, v19
	v_lshlrev_b32_e32 v19, 28, v0
	v_and_b32_e32 v2, v2, v3
	v_not_b32_e32 v3, v19
	v_cmp_gt_i64_e32 vcc, 0, v[18:19]
	v_ashrrev_i32_e32 v3, 31, v3
	v_xor_b32_e32 v19, vcc_hi, v3
	;; [unrolled: 8-line block ×5, first 2 shown]
	v_and_b32_e32 v1, v1, v19
	v_lshlrev_b32_e32 v19, 24, v0
	v_not_b32_e32 v0, v19
	v_xor_b32_e32 v3, vcc_lo, v3
	v_cmp_gt_i64_e32 vcc, 0, v[18:19]
	v_ashrrev_i32_e32 v0, 31, v0
	v_and_b32_e32 v2, v2, v3
	v_xor_b32_e32 v3, vcc_hi, v0
	v_xor_b32_e32 v0, vcc_lo, v0
	v_and_b32_e32 v0, v2, v0
	v_and_b32_e32 v1, v1, v3
	v_mbcnt_lo_u32_b32 v2, v0, 0
	v_mbcnt_hi_u32_b32 v49, v1, v2
	v_cmp_eq_u32_e32 vcc, 0, v49
	v_cmp_ne_u64_e64 s[26:27], 0, v[0:1]
	s_and_b64 s[40:41], s[26:27], vcc
	; wave barrier
	s_and_saveexec_b64 s[26:27], s[40:41]
	s_cbranch_execz .LBB16_27
; %bb.26:                               ;   in Loop: Header=BB16_19 Depth=1
	v_bcnt_u32_b32 v0, v0, 0
	v_bcnt_u32_b32 v0, v1, v0
	s_waitcnt lgkmcnt(0)
	v_add_u32_e32 v0, v47, v0
	ds_write_b32 v28, v0
.LBB16_27:                              ;   in Loop: Header=BB16_19 Depth=1
	s_or_b64 exec, exec, s[26:27]
	; wave barrier
	s_waitcnt lgkmcnt(0)
	s_barrier
	ds_read2_b64 v[0:3], v37 offset0:2 offset1:3
	s_waitcnt lgkmcnt(0)
	v_add_u32_e32 v19, v1, v0
	v_add3_u32 v3, v19, v2, v3
	s_nop 1
	v_mov_b32_dpp v19, v3 row_shr:1 row_mask:0xf bank_mask:0xf
	v_cndmask_b32_e64 v19, v19, 0, s[0:1]
	v_add_u32_e32 v3, v19, v3
	s_nop 1
	v_mov_b32_dpp v19, v3 row_shr:2 row_mask:0xf bank_mask:0xf
	v_cndmask_b32_e64 v19, 0, v19, s[2:3]
	v_add_u32_e32 v3, v3, v19
	s_nop 1
	v_mov_b32_dpp v19, v3 row_shr:4 row_mask:0xf bank_mask:0xf
	v_cndmask_b32_e64 v19, 0, v19, s[4:5]
	v_add_u32_e32 v3, v3, v19
	s_nop 1
	v_mov_b32_dpp v19, v3 row_shr:8 row_mask:0xf bank_mask:0xf
	v_cndmask_b32_e64 v19, 0, v19, s[6:7]
	v_add_u32_e32 v3, v3, v19
	s_nop 1
	v_mov_b32_dpp v19, v3 row_bcast:15 row_mask:0xf bank_mask:0xf
	v_cndmask_b32_e64 v19, v19, 0, s[8:9]
	v_add_u32_e32 v3, v3, v19
	s_nop 1
	v_mov_b32_dpp v19, v3 row_bcast:31 row_mask:0xf bank_mask:0xf
	v_cndmask_b32_e64 v19, 0, v19, s[10:11]
	v_add_u32_e32 v3, v3, v19
	s_and_saveexec_b64 s[26:27], s[12:13]
	s_cbranch_execz .LBB16_29
; %bb.28:                               ;   in Loop: Header=BB16_19 Depth=1
	ds_write_b32 v40, v3
.LBB16_29:                              ;   in Loop: Header=BB16_19 Depth=1
	s_or_b64 exec, exec, s[26:27]
	s_waitcnt lgkmcnt(0)
	s_barrier
	s_and_saveexec_b64 s[26:27], s[14:15]
	s_cbranch_execz .LBB16_31
; %bb.30:                               ;   in Loop: Header=BB16_19 Depth=1
	ds_read_b32 v19, v42
	s_waitcnt lgkmcnt(0)
	s_nop 0
	v_mov_b32_dpp v30, v19 row_shr:1 row_mask:0xf bank_mask:0xf
	v_cndmask_b32_e64 v30, v30, 0, s[22:23]
	v_add_u32_e32 v19, v30, v19
	s_nop 1
	v_mov_b32_dpp v30, v19 row_shr:2 row_mask:0xf bank_mask:0xf
	v_cndmask_b32_e64 v30, 0, v30, s[24:25]
	v_add_u32_e32 v19, v19, v30
	ds_write_b32 v42, v19
.LBB16_31:                              ;   in Loop: Header=BB16_19 Depth=1
	s_or_b64 exec, exec, s[26:27]
	v_mov_b32_e32 v30, 0
	s_waitcnt lgkmcnt(0)
	s_barrier
	s_and_saveexec_b64 s[26:27], s[16:17]
	s_cbranch_execz .LBB16_33
; %bb.32:                               ;   in Loop: Header=BB16_19 Depth=1
	ds_read_b32 v30, v41
.LBB16_33:                              ;   in Loop: Header=BB16_19 Depth=1
	s_or_b64 exec, exec, s[26:27]
	s_waitcnt lgkmcnt(0)
	v_add_u32_e32 v3, v30, v3
	ds_bpermute_b32 v50, v39, v3
	s_add_i32 s34, s34, 8
	v_mov_b32_e32 v3, v9
	v_mov_b32_e32 v19, v29
	;; [unrolled: 1-line block ×3, first 2 shown]
	s_waitcnt lgkmcnt(0)
	v_cndmask_b32_e64 v30, v50, v30, s[18:19]
	v_cndmask_b32_e64 v50, v30, 0, s[20:21]
	v_add_u32_e32 v51, v50, v0
	v_add_u32_e32 v0, v51, v1
	;; [unrolled: 1-line block ×3, first 2 shown]
	ds_write2_b64 v37, v[50:51], v[0:1] offset0:2 offset1:3
	s_waitcnt lgkmcnt(0)
	s_barrier
	ds_read_b32 v0, v20
	ds_read_b32 v2, v23
	;; [unrolled: 1-line block ×4, first 2 shown]
	v_mov_b32_e32 v1, v31
	s_waitcnt lgkmcnt(3)
	v_add_u32_e32 v30, v0, v21
	s_waitcnt lgkmcnt(2)
	v_add3_u32 v28, v24, v22, v2
	s_waitcnt lgkmcnt(1)
	v_add3_u32 v2, v27, v25, v20
	;; [unrolled: 2-line block ×3, first 2 shown]
	s_cmp_ge_u32 s34, s36
	s_cbranch_scc0 .LBB16_18
; %bb.34:
                                        ; implicit-def: $sgpr34
                                        ; implicit-def: $vgpr9
                                        ; implicit-def: $vgpr29
                                        ; implicit-def: $vgpr32
                                        ; implicit-def: $vgpr31
                                        ; implicit-def: $vgpr20_vgpr21
                                        ; implicit-def: $vgpr22_vgpr23
                                        ; implicit-def: $vgpr24_vgpr25
                                        ; implicit-def: $vgpr26_vgpr27
.LBB16_35:
	v_mad_u64_u32 v[10:11], s[0:1], v30, 7, v[30:31]
	s_barrier
	ds_write_b8 v30, v3
	ds_write_b8 v28, v19
	;; [unrolled: 1-line block ×4, first 2 shown]
	s_waitcnt lgkmcnt(0)
	s_barrier
	ds_read_u8 v19, v8
	ds_read_u8 v18, v8 offset:256
	ds_read_u8 v13, v8 offset:512
	;; [unrolled: 1-line block ×3, first 2 shown]
	s_waitcnt lgkmcnt(0)
	s_barrier
	ds_write_b64 v10, v[16:17]
	v_mad_u64_u32 v[10:11], s[0:1], v28, 7, v[28:29]
	v_mad_u64_u32 v[2:3], s[0:1], v2, 7, v[2:3]
	;; [unrolled: 1-line block ×3, first 2 shown]
	ds_write_b64 v10, v[14:15]
	ds_write_b64 v2, v[6:7]
	;; [unrolled: 1-line block ×3, first 2 shown]
	v_mad_u32_u24 v0, v8, 7, v8
	s_waitcnt lgkmcnt(0)
	s_barrier
	ds_read2st64_b64 v[4:7], v0 offset1:4
	ds_read2st64_b64 v[0:3], v0 offset0:8 offset1:12
	s_add_u32 s0, s38, s28
	s_addc_u32 s1, s39, 0
	v_mov_b32_e32 v11, s1
	v_add_co_u32_e32 v10, vcc, s0, v8
	v_addc_co_u32_e32 v11, vcc, 0, v11, vcc
	s_andn2_b64 vcc, exec, s[30:31]
	v_lshlrev_b32_e32 v12, 3, v8
	s_cbranch_vccnz .LBB16_37
; %bb.36:
	s_lshl_b64 s[0:1], s[28:29], 3
	s_add_u32 s0, s42, s0
	s_addc_u32 s1, s43, s1
	v_mov_b32_e32 v14, s1
	v_add_co_u32_e32 v15, vcc, s0, v12
	v_addc_co_u32_e32 v16, vcc, 0, v14, vcc
	v_add_co_u32_e32 v14, vcc, 0x1000, v15
	global_store_byte v[10:11], v19, off
	global_store_byte v[10:11], v18, off offset:256
	global_store_byte v[10:11], v13, off offset:512
	;; [unrolled: 1-line block ×3, first 2 shown]
	s_waitcnt lgkmcnt(1)
	global_store_dwordx2 v12, v[4:5], s[0:1]
	global_store_dwordx2 v12, v[6:7], s[0:1] offset:2048
	v_addc_co_u32_e32 v15, vcc, 0, v16, vcc
	s_mov_b64 s[6:7], -1
	s_waitcnt lgkmcnt(0)
	global_store_dwordx2 v[14:15], v[0:1], off
	s_cbranch_execz .LBB16_38
	s_branch .LBB16_51
.LBB16_37:
	s_mov_b64 s[6:7], 0
.LBB16_38:
	v_cmp_gt_u32_e32 vcc, s33, v8
	s_and_saveexec_b64 s[0:1], vcc
	s_cbranch_execz .LBB16_40
; %bb.39:
	global_store_byte v[10:11], v19, off
.LBB16_40:
	s_or_b64 exec, exec, s[0:1]
	v_add_u32_e32 v14, 0x100, v8
	v_cmp_gt_u32_e64 s[0:1], s33, v14
	s_and_saveexec_b64 s[2:3], s[0:1]
	s_cbranch_execz .LBB16_42
; %bb.41:
	global_store_byte v[10:11], v18, off offset:256
.LBB16_42:
	s_or_b64 exec, exec, s[2:3]
	v_add_u32_e32 v14, 0x200, v8
	v_cmp_gt_u32_e64 s[2:3], s33, v14
	s_and_saveexec_b64 s[4:5], s[2:3]
	s_cbranch_execz .LBB16_44
; %bb.43:
	global_store_byte v[10:11], v13, off offset:512
.LBB16_44:
	;; [unrolled: 8-line block ×3, first 2 shown]
	s_or_b64 exec, exec, s[4:5]
	s_lshl_b64 s[4:5], s[28:29], 3
	s_add_u32 s4, s42, s4
	s_addc_u32 s5, s43, s5
	v_mov_b32_e32 v9, s5
	v_add_co_u32_e64 v8, s[4:5], s4, v12
	v_addc_co_u32_e64 v9, s[4:5], 0, v9, s[4:5]
	s_and_saveexec_b64 s[4:5], vcc
	s_cbranch_execnz .LBB16_57
; %bb.47:
	s_or_b64 exec, exec, s[4:5]
	s_and_saveexec_b64 s[4:5], s[0:1]
	s_cbranch_execnz .LBB16_58
.LBB16_48:
	s_or_b64 exec, exec, s[4:5]
	s_and_saveexec_b64 s[0:1], s[2:3]
	s_cbranch_execz .LBB16_50
.LBB16_49:
	s_waitcnt lgkmcnt(1)
	v_add_co_u32_e32 v4, vcc, 0x1000, v8
	v_addc_co_u32_e32 v5, vcc, 0, v9, vcc
	s_waitcnt lgkmcnt(0)
	global_store_dwordx2 v[4:5], v[0:1], off
.LBB16_50:
	s_or_b64 exec, exec, s[0:1]
.LBB16_51:
	s_and_saveexec_b64 s[0:1], s[6:7]
	s_cbranch_execnz .LBB16_53
; %bb.52:
	s_endpgm
.LBB16_53:
	s_lshl_b64 s[0:1], s[28:29], 3
	s_add_u32 s0, s42, s0
	s_addc_u32 s1, s43, s1
	s_waitcnt lgkmcnt(0)
	v_mov_b32_e32 v0, s1
	v_add_co_u32_e32 v1, vcc, s0, v12
	v_addc_co_u32_e32 v4, vcc, 0, v0, vcc
	v_add_co_u32_e32 v0, vcc, 0x1000, v1
	v_addc_co_u32_e32 v1, vcc, 0, v4, vcc
	global_store_dwordx2 v[0:1], v[2:3], off offset:2048
	s_endpgm
.LBB16_54:
	global_load_dwordx2 v[20:21], v[4:5], off
	s_or_b64 exec, exec, s[8:9]
                                        ; implicit-def: $vgpr22_vgpr23
	s_and_saveexec_b64 s[8:9], s[0:1]
	s_cbranch_execz .LBB16_13
.LBB16_55:
	global_load_dwordx2 v[22:23], v[4:5], off offset:512
	s_or_b64 exec, exec, s[8:9]
                                        ; implicit-def: $vgpr24_vgpr25
	s_and_saveexec_b64 s[0:1], s[2:3]
	s_cbranch_execz .LBB16_14
.LBB16_56:
	global_load_dwordx2 v[24:25], v[4:5], off offset:1024
	s_or_b64 exec, exec, s[0:1]
                                        ; implicit-def: $vgpr26_vgpr27
	s_and_saveexec_b64 s[0:1], s[6:7]
	s_cbranch_execnz .LBB16_15
	s_branch .LBB16_16
.LBB16_57:
	s_waitcnt lgkmcnt(1)
	global_store_dwordx2 v[8:9], v[4:5], off
	s_or_b64 exec, exec, s[4:5]
	s_and_saveexec_b64 s[4:5], s[0:1]
	s_cbranch_execz .LBB16_48
.LBB16_58:
	s_waitcnt lgkmcnt(1)
	global_store_dwordx2 v[8:9], v[6:7], off offset:2048
	s_or_b64 exec, exec, s[4:5]
	s_and_saveexec_b64 s[0:1], s[2:3]
	s_cbranch_execnz .LBB16_49
	s_branch .LBB16_50
	.section	.rodata,"a",@progbits
	.p2align	6, 0x0
	.amdhsa_kernel _ZN7rocprim17ROCPRIM_304000_NS6detail28radix_sort_block_sort_kernelINS1_36wrapped_radix_sort_block_sort_configINS0_13kernel_configILj256ELj4ELj4294967295EEEhN2at4cuda3cub6detail10OpaqueTypeILi8EEEEELb0EPKhPhPKSB_PSB_NS0_19identity_decomposerEEEvT1_T2_T3_T4_jT5_jj
		.amdhsa_group_segment_fixed_size 8192
		.amdhsa_private_segment_fixed_size 0
		.amdhsa_kernarg_size 304
		.amdhsa_user_sgpr_count 6
		.amdhsa_user_sgpr_private_segment_buffer 1
		.amdhsa_user_sgpr_dispatch_ptr 0
		.amdhsa_user_sgpr_queue_ptr 0
		.amdhsa_user_sgpr_kernarg_segment_ptr 1
		.amdhsa_user_sgpr_dispatch_id 0
		.amdhsa_user_sgpr_flat_scratch_init 0
		.amdhsa_user_sgpr_kernarg_preload_length 0
		.amdhsa_user_sgpr_kernarg_preload_offset 0
		.amdhsa_user_sgpr_private_segment_size 0
		.amdhsa_uses_dynamic_stack 0
		.amdhsa_system_sgpr_private_segment_wavefront_offset 0
		.amdhsa_system_sgpr_workgroup_id_x 1
		.amdhsa_system_sgpr_workgroup_id_y 0
		.amdhsa_system_sgpr_workgroup_id_z 0
		.amdhsa_system_sgpr_workgroup_info 0
		.amdhsa_system_vgpr_workitem_id 2
		.amdhsa_next_free_vgpr 52
		.amdhsa_next_free_sgpr 44
		.amdhsa_accum_offset 52
		.amdhsa_reserve_vcc 1
		.amdhsa_reserve_flat_scratch 0
		.amdhsa_float_round_mode_32 0
		.amdhsa_float_round_mode_16_64 0
		.amdhsa_float_denorm_mode_32 3
		.amdhsa_float_denorm_mode_16_64 3
		.amdhsa_dx10_clamp 1
		.amdhsa_ieee_mode 1
		.amdhsa_fp16_overflow 0
		.amdhsa_tg_split 0
		.amdhsa_exception_fp_ieee_invalid_op 0
		.amdhsa_exception_fp_denorm_src 0
		.amdhsa_exception_fp_ieee_div_zero 0
		.amdhsa_exception_fp_ieee_overflow 0
		.amdhsa_exception_fp_ieee_underflow 0
		.amdhsa_exception_fp_ieee_inexact 0
		.amdhsa_exception_int_div_zero 0
	.end_amdhsa_kernel
	.section	.text._ZN7rocprim17ROCPRIM_304000_NS6detail28radix_sort_block_sort_kernelINS1_36wrapped_radix_sort_block_sort_configINS0_13kernel_configILj256ELj4ELj4294967295EEEhN2at4cuda3cub6detail10OpaqueTypeILi8EEEEELb0EPKhPhPKSB_PSB_NS0_19identity_decomposerEEEvT1_T2_T3_T4_jT5_jj,"axG",@progbits,_ZN7rocprim17ROCPRIM_304000_NS6detail28radix_sort_block_sort_kernelINS1_36wrapped_radix_sort_block_sort_configINS0_13kernel_configILj256ELj4ELj4294967295EEEhN2at4cuda3cub6detail10OpaqueTypeILi8EEEEELb0EPKhPhPKSB_PSB_NS0_19identity_decomposerEEEvT1_T2_T3_T4_jT5_jj,comdat
.Lfunc_end16:
	.size	_ZN7rocprim17ROCPRIM_304000_NS6detail28radix_sort_block_sort_kernelINS1_36wrapped_radix_sort_block_sort_configINS0_13kernel_configILj256ELj4ELj4294967295EEEhN2at4cuda3cub6detail10OpaqueTypeILi8EEEEELb0EPKhPhPKSB_PSB_NS0_19identity_decomposerEEEvT1_T2_T3_T4_jT5_jj, .Lfunc_end16-_ZN7rocprim17ROCPRIM_304000_NS6detail28radix_sort_block_sort_kernelINS1_36wrapped_radix_sort_block_sort_configINS0_13kernel_configILj256ELj4ELj4294967295EEEhN2at4cuda3cub6detail10OpaqueTypeILi8EEEEELb0EPKhPhPKSB_PSB_NS0_19identity_decomposerEEEvT1_T2_T3_T4_jT5_jj
                                        ; -- End function
	.section	.AMDGPU.csdata,"",@progbits
; Kernel info:
; codeLenInByte = 3860
; NumSgprs: 48
; NumVgprs: 52
; NumAgprs: 0
; TotalNumVgprs: 52
; ScratchSize: 0
; MemoryBound: 0
; FloatMode: 240
; IeeeMode: 1
; LDSByteSize: 8192 bytes/workgroup (compile time only)
; SGPRBlocks: 5
; VGPRBlocks: 6
; NumSGPRsForWavesPerEU: 48
; NumVGPRsForWavesPerEU: 52
; AccumOffset: 52
; Occupancy: 8
; WaveLimiterHint : 1
; COMPUTE_PGM_RSRC2:SCRATCH_EN: 0
; COMPUTE_PGM_RSRC2:USER_SGPR: 6
; COMPUTE_PGM_RSRC2:TRAP_HANDLER: 0
; COMPUTE_PGM_RSRC2:TGID_X_EN: 1
; COMPUTE_PGM_RSRC2:TGID_Y_EN: 0
; COMPUTE_PGM_RSRC2:TGID_Z_EN: 0
; COMPUTE_PGM_RSRC2:TIDIG_COMP_CNT: 2
; COMPUTE_PGM_RSRC3_GFX90A:ACCUM_OFFSET: 12
; COMPUTE_PGM_RSRC3_GFX90A:TG_SPLIT: 0
	.section	.text._ZN7rocprim17ROCPRIM_304000_NS6detail45device_block_merge_mergepath_partition_kernelINS1_37wrapped_merge_sort_block_merge_configINS0_14default_configEhN2at4cuda3cub6detail10OpaqueTypeILi8EEEEEPhjNS1_19radix_merge_compareILb0ELb0EhNS0_19identity_decomposerEEEEEvT0_T1_jPSH_T2_SH_,"axG",@progbits,_ZN7rocprim17ROCPRIM_304000_NS6detail45device_block_merge_mergepath_partition_kernelINS1_37wrapped_merge_sort_block_merge_configINS0_14default_configEhN2at4cuda3cub6detail10OpaqueTypeILi8EEEEEPhjNS1_19radix_merge_compareILb0ELb0EhNS0_19identity_decomposerEEEEEvT0_T1_jPSH_T2_SH_,comdat
	.protected	_ZN7rocprim17ROCPRIM_304000_NS6detail45device_block_merge_mergepath_partition_kernelINS1_37wrapped_merge_sort_block_merge_configINS0_14default_configEhN2at4cuda3cub6detail10OpaqueTypeILi8EEEEEPhjNS1_19radix_merge_compareILb0ELb0EhNS0_19identity_decomposerEEEEEvT0_T1_jPSH_T2_SH_ ; -- Begin function _ZN7rocprim17ROCPRIM_304000_NS6detail45device_block_merge_mergepath_partition_kernelINS1_37wrapped_merge_sort_block_merge_configINS0_14default_configEhN2at4cuda3cub6detail10OpaqueTypeILi8EEEEEPhjNS1_19radix_merge_compareILb0ELb0EhNS0_19identity_decomposerEEEEEvT0_T1_jPSH_T2_SH_
	.globl	_ZN7rocprim17ROCPRIM_304000_NS6detail45device_block_merge_mergepath_partition_kernelINS1_37wrapped_merge_sort_block_merge_configINS0_14default_configEhN2at4cuda3cub6detail10OpaqueTypeILi8EEEEEPhjNS1_19radix_merge_compareILb0ELb0EhNS0_19identity_decomposerEEEEEvT0_T1_jPSH_T2_SH_
	.p2align	8
	.type	_ZN7rocprim17ROCPRIM_304000_NS6detail45device_block_merge_mergepath_partition_kernelINS1_37wrapped_merge_sort_block_merge_configINS0_14default_configEhN2at4cuda3cub6detail10OpaqueTypeILi8EEEEEPhjNS1_19radix_merge_compareILb0ELb0EhNS0_19identity_decomposerEEEEEvT0_T1_jPSH_T2_SH_,@function
_ZN7rocprim17ROCPRIM_304000_NS6detail45device_block_merge_mergepath_partition_kernelINS1_37wrapped_merge_sort_block_merge_configINS0_14default_configEhN2at4cuda3cub6detail10OpaqueTypeILi8EEEEEPhjNS1_19radix_merge_compareILb0ELb0EhNS0_19identity_decomposerEEEEEvT0_T1_jPSH_T2_SH_: ; @_ZN7rocprim17ROCPRIM_304000_NS6detail45device_block_merge_mergepath_partition_kernelINS1_37wrapped_merge_sort_block_merge_configINS0_14default_configEhN2at4cuda3cub6detail10OpaqueTypeILi8EEEEEPhjNS1_19radix_merge_compareILb0ELb0EhNS0_19identity_decomposerEEEEEvT0_T1_jPSH_T2_SH_
; %bb.0:
	s_load_dwordx2 s[0:1], s[4:5], 0x8
	v_lshl_or_b32 v0, s6, 7, v0
	s_waitcnt lgkmcnt(0)
	v_cmp_gt_u32_e32 vcc, s1, v0
	s_and_saveexec_b64 s[2:3], vcc
	s_cbranch_execz .LBB17_6
; %bb.1:
	s_load_dword s1, s[4:5], 0x1c
	s_waitcnt lgkmcnt(0)
	s_lshr_b32 s2, s1, 9
	s_and_b32 s2, s2, 0x7ffffe
	s_add_i32 s3, s2, -1
	s_sub_i32 s2, 0, s2
	v_and_b32_e32 v1, s2, v0
	v_lshlrev_b32_e32 v3, 10, v1
	v_min_u32_e32 v1, s0, v3
	v_add_u32_e32 v3, s1, v3
	v_min_u32_e32 v7, s0, v3
	v_add_u32_e32 v3, s1, v7
	v_and_b32_e32 v2, s3, v0
	v_min_u32_e32 v4, s0, v3
	v_lshlrev_b32_e32 v2, 10, v2
	v_sub_u32_e32 v3, v4, v1
	v_min_u32_e32 v3, v3, v2
	v_sub_u32_e32 v5, v7, v1
	v_sub_u32_e32 v2, v4, v7
	v_sub_u32_e64 v2, v3, v2 clamp
	v_min_u32_e32 v4, v3, v5
	v_cmp_lt_u32_e32 vcc, v2, v4
	s_and_saveexec_b64 s[0:1], vcc
	s_cbranch_execz .LBB17_5
; %bb.2:
	s_load_dwordx2 s[2:3], s[4:5], 0x0
	s_waitcnt lgkmcnt(0)
	v_mov_b32_e32 v8, s3
	v_add_co_u32_e32 v5, vcc, s2, v1
	v_addc_co_u32_e32 v6, vcc, 0, v8, vcc
	v_add_co_u32_e32 v7, vcc, s2, v7
	v_addc_co_u32_e32 v8, vcc, 0, v8, vcc
	s_mov_b64 s[2:3], 0
.LBB17_3:                               ; =>This Inner Loop Header: Depth=1
	v_add_u32_e32 v9, v4, v2
	v_lshrrev_b32_e32 v9, 1, v9
	v_add_co_u32_e32 v10, vcc, v5, v9
	v_xad_u32 v12, v9, -1, v3
	v_addc_co_u32_e32 v11, vcc, 0, v6, vcc
	v_add_co_u32_e32 v12, vcc, v7, v12
	v_addc_co_u32_e32 v13, vcc, 0, v8, vcc
	global_load_ubyte v14, v[10:11], off
	global_load_ubyte v15, v[12:13], off
	v_add_u32_e32 v10, 1, v9
	s_waitcnt vmcnt(0)
	v_cmp_gt_u16_e32 vcc, v14, v15
	v_cndmask_b32_e32 v4, v4, v9, vcc
	v_cndmask_b32_e32 v2, v10, v2, vcc
	v_cmp_ge_u32_e32 vcc, v2, v4
	s_or_b64 s[2:3], vcc, s[2:3]
	s_andn2_b64 exec, exec, s[2:3]
	s_cbranch_execnz .LBB17_3
; %bb.4:
	s_or_b64 exec, exec, s[2:3]
.LBB17_5:
	s_or_b64 exec, exec, s[0:1]
	s_load_dwordx2 s[0:1], s[4:5], 0x10
	v_add_u32_e32 v2, v2, v1
	v_mov_b32_e32 v1, 0
	v_lshlrev_b64 v[0:1], 2, v[0:1]
	s_waitcnt lgkmcnt(0)
	v_mov_b32_e32 v3, s1
	v_add_co_u32_e32 v0, vcc, s0, v0
	v_addc_co_u32_e32 v1, vcc, v3, v1, vcc
	global_store_dword v[0:1], v2, off
.LBB17_6:
	s_endpgm
	.section	.rodata,"a",@progbits
	.p2align	6, 0x0
	.amdhsa_kernel _ZN7rocprim17ROCPRIM_304000_NS6detail45device_block_merge_mergepath_partition_kernelINS1_37wrapped_merge_sort_block_merge_configINS0_14default_configEhN2at4cuda3cub6detail10OpaqueTypeILi8EEEEEPhjNS1_19radix_merge_compareILb0ELb0EhNS0_19identity_decomposerEEEEEvT0_T1_jPSH_T2_SH_
		.amdhsa_group_segment_fixed_size 0
		.amdhsa_private_segment_fixed_size 0
		.amdhsa_kernarg_size 32
		.amdhsa_user_sgpr_count 6
		.amdhsa_user_sgpr_private_segment_buffer 1
		.amdhsa_user_sgpr_dispatch_ptr 0
		.amdhsa_user_sgpr_queue_ptr 0
		.amdhsa_user_sgpr_kernarg_segment_ptr 1
		.amdhsa_user_sgpr_dispatch_id 0
		.amdhsa_user_sgpr_flat_scratch_init 0
		.amdhsa_user_sgpr_kernarg_preload_length 0
		.amdhsa_user_sgpr_kernarg_preload_offset 0
		.amdhsa_user_sgpr_private_segment_size 0
		.amdhsa_uses_dynamic_stack 0
		.amdhsa_system_sgpr_private_segment_wavefront_offset 0
		.amdhsa_system_sgpr_workgroup_id_x 1
		.amdhsa_system_sgpr_workgroup_id_y 0
		.amdhsa_system_sgpr_workgroup_id_z 0
		.amdhsa_system_sgpr_workgroup_info 0
		.amdhsa_system_vgpr_workitem_id 0
		.amdhsa_next_free_vgpr 16
		.amdhsa_next_free_sgpr 7
		.amdhsa_accum_offset 16
		.amdhsa_reserve_vcc 1
		.amdhsa_reserve_flat_scratch 0
		.amdhsa_float_round_mode_32 0
		.amdhsa_float_round_mode_16_64 0
		.amdhsa_float_denorm_mode_32 3
		.amdhsa_float_denorm_mode_16_64 3
		.amdhsa_dx10_clamp 1
		.amdhsa_ieee_mode 1
		.amdhsa_fp16_overflow 0
		.amdhsa_tg_split 0
		.amdhsa_exception_fp_ieee_invalid_op 0
		.amdhsa_exception_fp_denorm_src 0
		.amdhsa_exception_fp_ieee_div_zero 0
		.amdhsa_exception_fp_ieee_overflow 0
		.amdhsa_exception_fp_ieee_underflow 0
		.amdhsa_exception_fp_ieee_inexact 0
		.amdhsa_exception_int_div_zero 0
	.end_amdhsa_kernel
	.section	.text._ZN7rocprim17ROCPRIM_304000_NS6detail45device_block_merge_mergepath_partition_kernelINS1_37wrapped_merge_sort_block_merge_configINS0_14default_configEhN2at4cuda3cub6detail10OpaqueTypeILi8EEEEEPhjNS1_19radix_merge_compareILb0ELb0EhNS0_19identity_decomposerEEEEEvT0_T1_jPSH_T2_SH_,"axG",@progbits,_ZN7rocprim17ROCPRIM_304000_NS6detail45device_block_merge_mergepath_partition_kernelINS1_37wrapped_merge_sort_block_merge_configINS0_14default_configEhN2at4cuda3cub6detail10OpaqueTypeILi8EEEEEPhjNS1_19radix_merge_compareILb0ELb0EhNS0_19identity_decomposerEEEEEvT0_T1_jPSH_T2_SH_,comdat
.Lfunc_end17:
	.size	_ZN7rocprim17ROCPRIM_304000_NS6detail45device_block_merge_mergepath_partition_kernelINS1_37wrapped_merge_sort_block_merge_configINS0_14default_configEhN2at4cuda3cub6detail10OpaqueTypeILi8EEEEEPhjNS1_19radix_merge_compareILb0ELb0EhNS0_19identity_decomposerEEEEEvT0_T1_jPSH_T2_SH_, .Lfunc_end17-_ZN7rocprim17ROCPRIM_304000_NS6detail45device_block_merge_mergepath_partition_kernelINS1_37wrapped_merge_sort_block_merge_configINS0_14default_configEhN2at4cuda3cub6detail10OpaqueTypeILi8EEEEEPhjNS1_19radix_merge_compareILb0ELb0EhNS0_19identity_decomposerEEEEEvT0_T1_jPSH_T2_SH_
                                        ; -- End function
	.section	.AMDGPU.csdata,"",@progbits
; Kernel info:
; codeLenInByte = 320
; NumSgprs: 11
; NumVgprs: 16
; NumAgprs: 0
; TotalNumVgprs: 16
; ScratchSize: 0
; MemoryBound: 0
; FloatMode: 240
; IeeeMode: 1
; LDSByteSize: 0 bytes/workgroup (compile time only)
; SGPRBlocks: 1
; VGPRBlocks: 1
; NumSGPRsForWavesPerEU: 11
; NumVGPRsForWavesPerEU: 16
; AccumOffset: 16
; Occupancy: 8
; WaveLimiterHint : 0
; COMPUTE_PGM_RSRC2:SCRATCH_EN: 0
; COMPUTE_PGM_RSRC2:USER_SGPR: 6
; COMPUTE_PGM_RSRC2:TRAP_HANDLER: 0
; COMPUTE_PGM_RSRC2:TGID_X_EN: 1
; COMPUTE_PGM_RSRC2:TGID_Y_EN: 0
; COMPUTE_PGM_RSRC2:TGID_Z_EN: 0
; COMPUTE_PGM_RSRC2:TIDIG_COMP_CNT: 0
; COMPUTE_PGM_RSRC3_GFX90A:ACCUM_OFFSET: 3
; COMPUTE_PGM_RSRC3_GFX90A:TG_SPLIT: 0
	.section	.text._ZN7rocprim17ROCPRIM_304000_NS6detail35device_block_merge_mergepath_kernelINS1_37wrapped_merge_sort_block_merge_configINS0_14default_configEhN2at4cuda3cub6detail10OpaqueTypeILi8EEEEEPhSC_PSA_SD_jNS1_19radix_merge_compareILb0ELb0EhNS0_19identity_decomposerEEEEEvT0_T1_T2_T3_T4_SL_jT5_PKSL_NS1_7vsmem_tE,"axG",@progbits,_ZN7rocprim17ROCPRIM_304000_NS6detail35device_block_merge_mergepath_kernelINS1_37wrapped_merge_sort_block_merge_configINS0_14default_configEhN2at4cuda3cub6detail10OpaqueTypeILi8EEEEEPhSC_PSA_SD_jNS1_19radix_merge_compareILb0ELb0EhNS0_19identity_decomposerEEEEEvT0_T1_T2_T3_T4_SL_jT5_PKSL_NS1_7vsmem_tE,comdat
	.protected	_ZN7rocprim17ROCPRIM_304000_NS6detail35device_block_merge_mergepath_kernelINS1_37wrapped_merge_sort_block_merge_configINS0_14default_configEhN2at4cuda3cub6detail10OpaqueTypeILi8EEEEEPhSC_PSA_SD_jNS1_19radix_merge_compareILb0ELb0EhNS0_19identity_decomposerEEEEEvT0_T1_T2_T3_T4_SL_jT5_PKSL_NS1_7vsmem_tE ; -- Begin function _ZN7rocprim17ROCPRIM_304000_NS6detail35device_block_merge_mergepath_kernelINS1_37wrapped_merge_sort_block_merge_configINS0_14default_configEhN2at4cuda3cub6detail10OpaqueTypeILi8EEEEEPhSC_PSA_SD_jNS1_19radix_merge_compareILb0ELb0EhNS0_19identity_decomposerEEEEEvT0_T1_T2_T3_T4_SL_jT5_PKSL_NS1_7vsmem_tE
	.globl	_ZN7rocprim17ROCPRIM_304000_NS6detail35device_block_merge_mergepath_kernelINS1_37wrapped_merge_sort_block_merge_configINS0_14default_configEhN2at4cuda3cub6detail10OpaqueTypeILi8EEEEEPhSC_PSA_SD_jNS1_19radix_merge_compareILb0ELb0EhNS0_19identity_decomposerEEEEEvT0_T1_T2_T3_T4_SL_jT5_PKSL_NS1_7vsmem_tE
	.p2align	8
	.type	_ZN7rocprim17ROCPRIM_304000_NS6detail35device_block_merge_mergepath_kernelINS1_37wrapped_merge_sort_block_merge_configINS0_14default_configEhN2at4cuda3cub6detail10OpaqueTypeILi8EEEEEPhSC_PSA_SD_jNS1_19radix_merge_compareILb0ELb0EhNS0_19identity_decomposerEEEEEvT0_T1_T2_T3_T4_SL_jT5_PKSL_NS1_7vsmem_tE,@function
_ZN7rocprim17ROCPRIM_304000_NS6detail35device_block_merge_mergepath_kernelINS1_37wrapped_merge_sort_block_merge_configINS0_14default_configEhN2at4cuda3cub6detail10OpaqueTypeILi8EEEEEPhSC_PSA_SD_jNS1_19radix_merge_compareILb0ELb0EhNS0_19identity_decomposerEEEEEvT0_T1_T2_T3_T4_SL_jT5_PKSL_NS1_7vsmem_tE: ; @_ZN7rocprim17ROCPRIM_304000_NS6detail35device_block_merge_mergepath_kernelINS1_37wrapped_merge_sort_block_merge_configINS0_14default_configEhN2at4cuda3cub6detail10OpaqueTypeILi8EEEEEPhSC_PSA_SD_jNS1_19radix_merge_compareILb0ELb0EhNS0_19identity_decomposerEEEEEvT0_T1_T2_T3_T4_SL_jT5_PKSL_NS1_7vsmem_tE
; %bb.0:
	s_load_dwordx2 s[24:25], s[4:5], 0x40
	s_load_dwordx4 s[16:19], s[4:5], 0x20
	s_add_u32 s2, s4, 64
	s_addc_u32 s3, s5, 0
	s_waitcnt lgkmcnt(0)
	s_mul_i32 s0, s25, s8
	s_add_i32 s0, s0, s7
	s_mul_i32 s0, s0, s24
	s_add_i32 s0, s0, s6
	s_cmp_ge_u32 s0, s18
	s_cbranch_scc1 .LBB18_75
; %bb.1:
	s_load_dwordx8 s[8:15], s[4:5], 0x0
	s_load_dwordx2 s[20:21], s[4:5], 0x30
	s_lshr_b32 s29, s16, 10
	s_cmp_lg_u32 s0, s29
	s_mov_b32 s1, 0
	s_cselect_b64 s[18:19], -1, 0
	s_lshl_b64 s[4:5], s[0:1], 2
	s_waitcnt lgkmcnt(0)
	s_add_u32 s4, s20, s4
	s_addc_u32 s5, s21, s5
	s_load_dwordx2 s[20:21], s[4:5], 0x0
	s_lshr_b32 s4, s17, 9
	s_and_b32 s4, s4, 0x7ffffe
	s_sub_i32 s4, 0, s4
	s_and_b32 s5, s0, s4
	s_lshl_b32 s7, s5, 10
	s_lshl_b32 s25, s0, 10
	;; [unrolled: 1-line block ×3, first 2 shown]
	s_sub_i32 s22, s25, s7
	s_add_i32 s5, s5, s17
	s_add_i32 s23, s5, s22
	s_waitcnt lgkmcnt(0)
	s_sub_i32 s22, s23, s20
	s_sub_i32 s23, s23, s21
	;; [unrolled: 1-line block ×3, first 2 shown]
	s_min_u32 s22, s16, s22
	s_addk_i32 s23, 0x400
	s_or_b32 s4, s0, s4
	s_min_u32 s7, s16, s5
	s_add_i32 s5, s5, s17
	s_cmp_eq_u32 s4, -1
	s_cselect_b32 s4, s5, s23
	s_cselect_b32 s5, s7, s21
	s_min_u32 s4, s4, s16
	s_sub_i32 s26, s5, s20
	s_sub_i32 s27, s4, s22
	s_add_u32 s5, s8, s20
	s_addc_u32 s28, s9, 0
	s_add_u32 s4, s8, s22
	s_addc_u32 s7, s9, 0
	s_cmp_lt_u32 s6, s24
	v_mov_b32_e32 v1, 0
	s_cselect_b32 s6, 12, 18
	global_load_dword v2, v1, s[2:3] offset:14
	s_add_u32 s2, s2, s6
	s_addc_u32 s3, s3, 0
	global_load_ushort v1, v1, s[2:3]
	s_mov_b32 s23, s1
	s_mov_b32 s21, s1
	s_cmp_eq_u32 s0, s29
	v_cmp_gt_u32_e32 vcc, s26, v0
	s_waitcnt vmcnt(1)
	v_lshrrev_b32_e32 v3, 16, v2
	v_and_b32_e32 v2, 0xffff, v2
	v_mul_lo_u32 v2, v2, v3
	s_waitcnt vmcnt(0)
	v_mul_lo_u32 v2, v2, v1
	v_add_u32_e32 v4, v2, v0
	v_add_u32_e32 v3, v4, v2
	s_cbranch_scc1 .LBB18_3
; %bb.2:
	v_mov_b32_e32 v1, s28
	v_add_co_u32_e64 v5, s[0:1], s5, v0
	v_addc_co_u32_e64 v1, s[0:1], 0, v1, s[0:1]
	v_subrev_u32_e32 v6, s26, v0
	v_mov_b32_e32 v7, s7
	v_add_co_u32_e64 v6, s[0:1], s4, v6
	v_addc_co_u32_e64 v7, s[0:1], 0, v7, s[0:1]
	v_cndmask_b32_e32 v11, v7, v1, vcc
	v_cndmask_b32_e32 v10, v6, v5, vcc
	v_mov_b32_e32 v1, s28
	v_add_co_u32_e32 v5, vcc, s5, v4
	v_addc_co_u32_e32 v1, vcc, 0, v1, vcc
	v_subrev_u32_e32 v6, s26, v4
	v_mov_b32_e32 v7, s7
	v_add_co_u32_e32 v6, vcc, s4, v6
	v_addc_co_u32_e32 v7, vcc, 0, v7, vcc
	v_cmp_gt_u32_e32 vcc, s26, v4
	v_cndmask_b32_e32 v13, v7, v1, vcc
	v_cndmask_b32_e32 v12, v6, v5, vcc
	v_mov_b32_e32 v1, s28
	v_add_co_u32_e32 v5, vcc, s5, v3
	v_addc_co_u32_e32 v1, vcc, 0, v1, vcc
	v_subrev_u32_e32 v6, s26, v3
	v_mov_b32_e32 v7, s7
	v_add_co_u32_e32 v6, vcc, s4, v6
	v_addc_co_u32_e32 v7, vcc, 0, v7, vcc
	v_cmp_gt_u32_e32 vcc, s26, v3
	v_cndmask_b32_e32 v15, v7, v1, vcc
	v_add_u32_e32 v1, v3, v2
	v_cndmask_b32_e32 v14, v6, v5, vcc
	v_mov_b32_e32 v5, s28
	v_add_co_u32_e32 v6, vcc, s5, v1
	v_addc_co_u32_e32 v5, vcc, 0, v5, vcc
	v_subrev_u32_e32 v7, s26, v1
	v_mov_b32_e32 v8, s7
	v_add_co_u32_e32 v7, vcc, s4, v7
	v_addc_co_u32_e32 v8, vcc, 0, v8, vcc
	v_cmp_gt_u32_e32 vcc, s26, v1
	v_cndmask_b32_e32 v17, v8, v5, vcc
	v_cndmask_b32_e32 v16, v7, v6, vcc
	global_load_ubyte v1, v[10:11], off
	global_load_ubyte v6, v[12:13], off
	;; [unrolled: 1-line block ×4, first 2 shown]
	s_add_i32 s17, s27, s26
	s_cbranch_execz .LBB18_4
	s_branch .LBB18_13
.LBB18_3:
                                        ; implicit-def: $vgpr1
                                        ; implicit-def: $vgpr6
                                        ; implicit-def: $vgpr7
                                        ; implicit-def: $vgpr9
                                        ; implicit-def: $sgpr17
.LBB18_4:
	s_add_i32 s17, s27, s26
	v_cmp_gt_u32_e32 vcc, s17, v0
                                        ; implicit-def: $vgpr1
	s_and_saveexec_b64 s[0:1], vcc
	s_cbranch_execz .LBB18_6
; %bb.5:
	s_waitcnt vmcnt(3)
	v_mov_b32_e32 v1, s28
	v_add_co_u32_e32 v5, vcc, s5, v0
	v_addc_co_u32_e32 v1, vcc, 0, v1, vcc
	s_waitcnt vmcnt(2)
	v_subrev_u32_e32 v6, s26, v0
	s_waitcnt vmcnt(1)
	v_mov_b32_e32 v7, s7
	v_add_co_u32_e32 v6, vcc, s4, v6
	v_addc_co_u32_e32 v7, vcc, 0, v7, vcc
	v_cmp_gt_u32_e32 vcc, s26, v0
	v_cndmask_b32_e32 v7, v7, v1, vcc
	v_cndmask_b32_e32 v6, v6, v5, vcc
	global_load_ubyte v1, v[6:7], off
.LBB18_6:
	s_or_b64 exec, exec, s[0:1]
	v_cmp_gt_u32_e32 vcc, s17, v4
                                        ; implicit-def: $vgpr6
	s_and_saveexec_b64 s[0:1], vcc
	s_cbranch_execz .LBB18_8
; %bb.7:
	v_mov_b32_e32 v5, s28
	s_waitcnt vmcnt(2)
	v_add_co_u32_e32 v6, vcc, s5, v4
	v_addc_co_u32_e32 v5, vcc, 0, v5, vcc
	s_waitcnt vmcnt(1)
	v_subrev_u32_e32 v7, s26, v4
	v_mov_b32_e32 v8, s7
	v_add_co_u32_e32 v7, vcc, s4, v7
	v_addc_co_u32_e32 v8, vcc, 0, v8, vcc
	v_cmp_gt_u32_e32 vcc, s26, v4
	v_cndmask_b32_e32 v5, v8, v5, vcc
	v_cndmask_b32_e32 v4, v7, v6, vcc
	global_load_ubyte v6, v[4:5], off
.LBB18_8:
	s_or_b64 exec, exec, s[0:1]
	v_cmp_gt_u32_e32 vcc, s17, v3
                                        ; implicit-def: $vgpr7
	s_and_saveexec_b64 s[0:1], vcc
	s_cbranch_execz .LBB18_10
; %bb.9:
	v_mov_b32_e32 v4, s28
	s_waitcnt vmcnt(1)
	v_add_co_u32_e32 v7, vcc, s5, v3
	v_addc_co_u32_e32 v4, vcc, 0, v4, vcc
	v_subrev_u32_e32 v5, s26, v3
	v_mov_b32_e32 v8, s7
	s_waitcnt vmcnt(0)
	v_add_co_u32_e32 v9, vcc, s4, v5
	v_addc_co_u32_e32 v5, vcc, 0, v8, vcc
	v_cmp_gt_u32_e32 vcc, s26, v3
	v_cndmask_b32_e32 v5, v5, v4, vcc
	v_cndmask_b32_e32 v4, v9, v7, vcc
	global_load_ubyte v7, v[4:5], off
.LBB18_10:
	s_or_b64 exec, exec, s[0:1]
	v_add_u32_e32 v2, v3, v2
	v_cmp_gt_u32_e32 vcc, s17, v2
                                        ; implicit-def: $vgpr9
	s_and_saveexec_b64 s[0:1], vcc
	s_cbranch_execz .LBB18_12
; %bb.11:
	v_mov_b32_e32 v3, s28
	v_add_co_u32_e32 v4, vcc, s5, v2
	v_addc_co_u32_e32 v3, vcc, 0, v3, vcc
	v_subrev_u32_e32 v5, s26, v2
	v_mov_b32_e32 v8, s7
	v_add_co_u32_e32 v5, vcc, s4, v5
	v_addc_co_u32_e32 v8, vcc, 0, v8, vcc
	v_cmp_gt_u32_e32 vcc, s26, v2
	v_cndmask_b32_e32 v3, v8, v3, vcc
	v_cndmask_b32_e32 v2, v5, v4, vcc
	global_load_ubyte v9, v[2:3], off
.LBB18_12:
	s_or_b64 exec, exec, s[0:1]
.LBB18_13:
	v_lshlrev_b32_e32 v8, 2, v0
	v_min_u32_e32 v3, s17, v8
	v_sub_u32_e64 v2, v3, s27 clamp
	v_min_u32_e32 v4, s26, v3
	v_cmp_lt_u32_e32 vcc, v2, v4
	s_waitcnt vmcnt(0)
	ds_write_b8 v0, v1
	ds_write_b8 v0, v6 offset:256
	ds_write_b8 v0, v7 offset:512
	;; [unrolled: 1-line block ×3, first 2 shown]
	s_waitcnt lgkmcnt(0)
	s_barrier
	s_and_saveexec_b64 s[0:1], vcc
	s_cbranch_execz .LBB18_17
; %bb.14:
	v_add_u32_e32 v5, s26, v3
	s_mov_b64 s[2:3], 0
.LBB18_15:                              ; =>This Inner Loop Header: Depth=1
	v_add_u32_e32 v10, v4, v2
	v_lshrrev_b32_e32 v10, 1, v10
	v_xad_u32 v11, v10, -1, v5
	ds_read_u8 v12, v10
	ds_read_u8 v11, v11
	v_add_u32_e32 v13, 1, v10
	s_waitcnt lgkmcnt(0)
	v_cmp_gt_u16_e32 vcc, v12, v11
	v_cndmask_b32_e32 v4, v4, v10, vcc
	v_cndmask_b32_e32 v2, v13, v2, vcc
	v_cmp_ge_u32_e32 vcc, v2, v4
	s_or_b64 s[2:3], vcc, s[2:3]
	s_andn2_b64 exec, exec, s[2:3]
	s_cbranch_execnz .LBB18_15
; %bb.16:
	s_or_b64 exec, exec, s[2:3]
.LBB18_17:
	s_or_b64 exec, exec, s[0:1]
	v_sub_u32_e32 v3, v3, v2
	v_add_u32_e32 v3, s26, v3
	v_cmp_ge_u32_e32 vcc, s26, v2
	v_cmp_ge_u32_e64 s[0:1], s17, v3
	s_or_b64 s[0:1], vcc, s[0:1]
                                        ; implicit-def: $vgpr10
                                        ; implicit-def: $vgpr11
                                        ; implicit-def: $vgpr12
                                        ; implicit-def: $vgpr13
	s_and_saveexec_b64 s[6:7], s[0:1]
	s_cbranch_execz .LBB18_23
; %bb.18:
	v_cmp_gt_u32_e32 vcc, s26, v2
                                        ; implicit-def: $vgpr1
	s_and_saveexec_b64 s[0:1], vcc
	s_cbranch_execz .LBB18_20
; %bb.19:
	ds_read_u8 v1, v2
.LBB18_20:
	s_or_b64 exec, exec, s[0:1]
	v_cmp_le_u32_e64 s[0:1], s17, v3
	v_cmp_gt_u32_e64 s[2:3], s17, v3
                                        ; implicit-def: $vgpr4
	s_and_saveexec_b64 s[4:5], s[2:3]
	s_cbranch_execz .LBB18_22
; %bb.21:
	ds_read_u8 v4, v3
.LBB18_22:
	s_or_b64 exec, exec, s[4:5]
	s_waitcnt lgkmcnt(0)
	v_cmp_le_u16_sdwa s[2:3], v1, v4 src0_sel:BYTE_0 src1_sel:BYTE_0
	s_and_b64 s[2:3], vcc, s[2:3]
	s_or_b64 vcc, s[0:1], s[2:3]
	v_mov_b32_e32 v5, s17
	v_mov_b32_e32 v6, s26
	v_cndmask_b32_e32 v13, v3, v2, vcc
	v_cndmask_b32_e32 v7, v5, v6, vcc
	v_add_u32_e32 v9, 1, v13
	v_add_u32_e32 v7, -1, v7
	v_min_u32_e32 v7, v9, v7
	ds_read_u8 v7, v7
	v_cndmask_b32_e32 v2, v2, v9, vcc
	v_cndmask_b32_e32 v3, v9, v3, vcc
	v_cmp_gt_u32_e64 s[2:3], s26, v2
	v_cmp_le_u32_e64 s[0:1], s17, v3
	s_waitcnt lgkmcnt(0)
	v_cndmask_b32_e32 v10, v7, v4, vcc
	v_cndmask_b32_e32 v7, v1, v7, vcc
	v_cmp_le_u16_sdwa s[4:5], v7, v10 src0_sel:BYTE_0 src1_sel:BYTE_0
	s_and_b64 s[2:3], s[2:3], s[4:5]
	s_or_b64 s[0:1], s[0:1], s[2:3]
	v_cndmask_b32_e64 v12, v3, v2, s[0:1]
	v_cndmask_b32_e64 v9, v5, v6, s[0:1]
	v_add_u32_e32 v11, 1, v12
	v_add_u32_e32 v9, -1, v9
	v_min_u32_e32 v9, v11, v9
	ds_read_u8 v9, v9
	v_cndmask_b32_e64 v2, v2, v11, s[0:1]
	v_cndmask_b32_e64 v3, v11, v3, s[0:1]
	v_cmp_gt_u32_e64 s[4:5], s26, v2
	v_cmp_le_u32_e64 s[2:3], s17, v3
	s_waitcnt lgkmcnt(0)
	v_cndmask_b32_e64 v14, v9, v10, s[0:1]
	v_cndmask_b32_e64 v9, v7, v9, s[0:1]
	v_cmp_le_u16_sdwa s[8:9], v9, v14 src0_sel:BYTE_0 src1_sel:BYTE_0
	s_and_b64 s[4:5], s[4:5], s[8:9]
	s_or_b64 s[2:3], s[2:3], s[4:5]
	v_cndmask_b32_e64 v11, v3, v2, s[2:3]
	v_cndmask_b32_e64 v5, v5, v6, s[2:3]
	v_add_u32_e32 v15, 1, v11
	v_add_u32_e32 v5, -1, v5
	v_min_u32_e32 v5, v15, v5
	ds_read_u8 v5, v5
	v_cndmask_b32_e32 v1, v4, v1, vcc
	v_cndmask_b32_e64 v2, v2, v15, s[2:3]
	v_cndmask_b32_e64 v6, v10, v7, s[0:1]
	;; [unrolled: 1-line block ×3, first 2 shown]
	s_waitcnt lgkmcnt(0)
	v_cndmask_b32_e64 v4, v5, v14, s[2:3]
	v_cndmask_b32_e64 v5, v9, v5, s[2:3]
	;; [unrolled: 1-line block ×3, first 2 shown]
	v_cmp_gt_u32_e64 s[0:1], s26, v2
	v_cmp_le_u16_sdwa s[2:3], v5, v4 src0_sel:BYTE_0 src1_sel:BYTE_0
	v_cmp_le_u32_e32 vcc, s17, v3
	s_and_b64 s[0:1], s[0:1], s[2:3]
	s_or_b64 vcc, vcc, s[0:1]
	v_cndmask_b32_e32 v10, v3, v2, vcc
	v_cndmask_b32_e32 v9, v4, v5, vcc
.LBB18_23:
	s_or_b64 exec, exec, s[6:7]
	s_lshl_b64 s[0:1], s[20:21], 3
	s_add_u32 s24, s12, s0
	s_addc_u32 s28, s13, s1
	s_lshl_b64 s[0:1], s[22:23], 3
	s_add_u32 s29, s12, s0
	v_cndmask_b32_e64 v2, 0, 1, s[18:19]
	s_addc_u32 s30, s13, s1
	v_cmp_gt_u32_e64 s[4:5], s26, v0
	v_cmp_ne_u32_e64 s[0:1], 1, v2
	s_andn2_b64 vcc, exec, s[18:19]
	v_cmp_le_u32_e64 s[2:3], s26, v0
	s_barrier
	s_cbranch_vccnz .LBB18_25
; %bb.24:
	v_subrev_u32_e32 v2, s26, v0
	v_mov_b32_e32 v3, 0
	v_lshlrev_b64 v[4:5], 3, v[2:3]
	v_mov_b32_e32 v2, s30
	v_add_co_u32_e32 v4, vcc, s29, v4
	v_addc_co_u32_e32 v2, vcc, v2, v5, vcc
	v_lshlrev_b32_e32 v20, 3, v0
	v_mov_b32_e32 v5, s28
	v_add_co_u32_e32 v21, vcc, s24, v20
	v_addc_co_u32_e32 v22, vcc, 0, v5, vcc
	v_cndmask_b32_e64 v5, v2, v22, s[4:5]
	v_cndmask_b32_e64 v4, v4, v21, s[4:5]
	v_or_b32_e32 v16, 0x100, v0
	s_movk_i32 s4, 0x800
	v_add_co_u32_e32 v17, vcc, s4, v21
	v_subrev_u32_e32 v2, s26, v16
	v_addc_co_u32_e32 v18, vcc, 0, v22, vcc
	v_lshlrev_b64 v[14:15], 3, v[2:3]
	v_mov_b32_e32 v2, s30
	v_add_co_u32_e32 v14, vcc, s29, v14
	v_addc_co_u32_e32 v2, vcc, v2, v15, vcc
	v_cmp_gt_u32_e32 vcc, s26, v16
	v_cndmask_b32_e32 v15, v2, v18, vcc
	v_or_b32_e32 v18, 0x200, v0
	s_movk_i32 s4, 0x1000
	v_cndmask_b32_e32 v14, v14, v17, vcc
	v_add_co_u32_e32 v19, vcc, s4, v21
	v_subrev_u32_e32 v2, s26, v18
	global_load_dwordx2 v[16:17], v[14:15], off
	v_addc_co_u32_e32 v23, vcc, 0, v22, vcc
	v_lshlrev_b64 v[14:15], 3, v[2:3]
	v_mov_b32_e32 v2, s30
	v_add_co_u32_e32 v14, vcc, s29, v14
	v_addc_co_u32_e32 v2, vcc, v2, v15, vcc
	v_cmp_gt_u32_e32 vcc, s26, v18
	global_load_dwordx2 v[4:5], v[4:5], off
	v_cndmask_b32_e32 v15, v2, v23, vcc
	v_cndmask_b32_e32 v14, v14, v19, vcc
	global_load_dwordx2 v[18:19], v[14:15], off
	v_or_b32_e32 v15, 0x300, v0
	s_movk_i32 s4, 0x1800
	v_add_co_u32_e32 v21, vcc, s4, v21
	v_subrev_u32_e32 v2, s26, v15
	v_addc_co_u32_e32 v22, vcc, 0, v22, vcc
	v_lshlrev_b64 v[2:3], 3, v[2:3]
	v_mov_b32_e32 v23, s30
	v_add_co_u32_e32 v2, vcc, s29, v2
	v_addc_co_u32_e32 v3, vcc, v23, v3, vcc
	v_cmp_gt_u32_e32 vcc, s26, v15
	v_or_b32_e32 v14, 0x1800, v20
	v_cndmask_b32_e32 v3, v3, v22, vcc
	v_cndmask_b32_e32 v2, v2, v21, vcc
	s_mov_b64 s[4:5], -1
	s_waitcnt vmcnt(1)
	ds_write2st64_b64 v20, v[4:5], v[16:17] offset1:4
	s_waitcnt vmcnt(0)
	ds_write_b64 v20, v[18:19] offset:4096
	s_cbranch_execz .LBB18_26
	s_branch .LBB18_47
.LBB18_25:
	s_mov_b64 s[4:5], 0
                                        ; implicit-def: $vgpr14
                                        ; implicit-def: $vgpr2_vgpr3
.LBB18_26:
	s_mov_b64 s[6:7], 0
                                        ; implicit-def: $vgpr2_vgpr3
	s_and_saveexec_b64 s[8:9], s[2:3]
	s_xor_b64 s[2:3], exec, s[8:9]
	s_cbranch_execz .LBB18_51
; %bb.27:
	v_subrev_u32_e32 v4, s26, v0
	v_cmp_gt_u32_e32 vcc, s27, v4
                                        ; implicit-def: $vgpr2_vgpr3
	s_and_saveexec_b64 s[8:9], vcc
	s_xor_b64 s[8:9], exec, s[8:9]
; %bb.28:
	v_mov_b32_e32 v5, 0
	v_lshlrev_b64 v[2:3], 3, v[4:5]
	v_mov_b32_e32 v4, s30
	v_add_co_u32_e32 v2, vcc, s29, v2
	s_mov_b64 s[6:7], exec
	v_addc_co_u32_e32 v3, vcc, v4, v3, vcc
; %bb.29:
	s_or_b64 exec, exec, s[8:9]
	s_and_b64 s[6:7], s[6:7], exec
	s_andn2_saveexec_b64 s[2:3], s[2:3]
	s_cbranch_execnz .LBB18_52
.LBB18_30:
	s_or_b64 exec, exec, s[2:3]
	v_mad_u32_u24 v14, v0, 7, v0
	s_and_saveexec_b64 s[2:3], s[6:7]
	s_cbranch_execz .LBB18_32
.LBB18_31:
	global_load_dwordx2 v[2:3], v[2:3], off
	s_waitcnt vmcnt(0)
	ds_write_b64 v14, v[2:3]
.LBB18_32:
	s_or_b64 exec, exec, s[2:3]
	v_or_b32_e32 v2, 0x100, v0
	v_cmp_le_u32_e32 vcc, s26, v2
	s_mov_b64 s[6:7], -1
	v_pk_mov_b32 v[4:5], s[20:21], s[20:21] op_sel:[0,1]
	s_and_saveexec_b64 s[2:3], vcc
; %bb.33:
	v_subrev_u32_e32 v2, s26, v2
	v_cmp_gt_u32_e32 vcc, s27, v2
	v_pk_mov_b32 v[4:5], s[22:23], s[22:23] op_sel:[0,1]
	s_orn2_b64 s[6:7], vcc, exec
; %bb.34:
	s_or_b64 exec, exec, s[2:3]
	s_and_saveexec_b64 s[2:3], s[6:7]
	s_cbranch_execz .LBB18_36
; %bb.35:
	v_lshlrev_b64 v[4:5], 3, v[4:5]
	v_mov_b32_e32 v3, s13
	v_add_co_u32_e32 v4, vcc, s12, v4
	v_addc_co_u32_e32 v5, vcc, v3, v5, vcc
	v_mov_b32_e32 v3, 0
	v_lshlrev_b64 v[2:3], 3, v[2:3]
	v_add_co_u32_e32 v2, vcc, v4, v2
	v_addc_co_u32_e32 v3, vcc, v5, v3, vcc
	global_load_dwordx2 v[2:3], v[2:3], off
	s_waitcnt vmcnt(0)
	ds_write_b64 v14, v[2:3] offset:2048
.LBB18_36:
	s_or_b64 exec, exec, s[2:3]
	v_or_b32_e32 v2, 0x200, v0
	v_cmp_le_u32_e32 vcc, s26, v2
	s_mov_b64 s[6:7], -1
	v_pk_mov_b32 v[4:5], s[20:21], s[20:21] op_sel:[0,1]
	s_and_saveexec_b64 s[2:3], vcc
; %bb.37:
	v_subrev_u32_e32 v2, s26, v2
	v_cmp_gt_u32_e32 vcc, s27, v2
	v_pk_mov_b32 v[4:5], s[22:23], s[22:23] op_sel:[0,1]
	s_orn2_b64 s[6:7], vcc, exec
; %bb.38:
	s_or_b64 exec, exec, s[2:3]
	s_and_saveexec_b64 s[2:3], s[6:7]
	s_cbranch_execz .LBB18_40
; %bb.39:
	v_lshlrev_b64 v[4:5], 3, v[4:5]
	v_mov_b32_e32 v3, s13
	v_add_co_u32_e32 v4, vcc, s12, v4
	v_addc_co_u32_e32 v5, vcc, v3, v5, vcc
	v_mov_b32_e32 v3, 0
	v_lshlrev_b64 v[2:3], 3, v[2:3]
	v_add_co_u32_e32 v2, vcc, v4, v2
	v_addc_co_u32_e32 v3, vcc, v5, v3, vcc
	global_load_dwordx2 v[2:3], v[2:3], off
	s_waitcnt vmcnt(0)
	ds_write_b64 v14, v[2:3] offset:4096
.LBB18_40:
	s_or_b64 exec, exec, s[2:3]
	v_or_b32_e32 v4, 0x300, v0
	v_cmp_le_u32_e32 vcc, s26, v4
                                        ; implicit-def: $vgpr14
                                        ; implicit-def: $vgpr2_vgpr3
	s_and_saveexec_b64 s[2:3], vcc
	s_xor_b64 s[2:3], exec, s[2:3]
	s_cbranch_execz .LBB18_44
; %bb.41:
	v_subrev_u32_e32 v4, s26, v4
	v_cmp_gt_u32_e32 vcc, s27, v4
	s_mov_b64 s[8:9], s[4:5]
                                        ; implicit-def: $vgpr14
                                        ; implicit-def: $vgpr2_vgpr3
	s_and_saveexec_b64 s[6:7], vcc
; %bb.42:
	v_mul_u32_u24_e32 v2, 7, v0
	s_movk_i32 s8, 0x1800
	v_mov_b32_e32 v5, 0
	v_add3_u32 v14, v0, v2, s8
	v_lshlrev_b64 v[2:3], 3, v[4:5]
	v_mov_b32_e32 v4, s30
	v_add_co_u32_e32 v2, vcc, s29, v2
	v_addc_co_u32_e32 v3, vcc, v4, v3, vcc
	s_or_b64 s[8:9], s[4:5], exec
; %bb.43:
	s_or_b64 exec, exec, s[6:7]
	s_andn2_b64 s[4:5], s[4:5], exec
	s_and_b64 s[6:7], s[8:9], exec
	s_or_b64 s[4:5], s[4:5], s[6:7]
                                        ; implicit-def: $vgpr4
.LBB18_44:
	s_andn2_saveexec_b64 s[2:3], s[2:3]
; %bb.45:
	v_lshlrev_b32_e32 v2, 3, v4
	v_mov_b32_e32 v3, s28
	v_add_co_u32_e32 v2, vcc, s24, v2
	v_mul_u32_u24_e32 v4, 7, v0
	s_movk_i32 s6, 0x1800
	v_addc_co_u32_e32 v3, vcc, 0, v3, vcc
	v_add3_u32 v14, v0, v4, s6
	s_or_b64 s[4:5], s[4:5], exec
; %bb.46:
	s_or_b64 exec, exec, s[2:3]
.LBB18_47:
	s_and_saveexec_b64 s[2:3], s[4:5]
	s_cbranch_execz .LBB18_49
; %bb.48:
	global_load_dwordx2 v[2:3], v[2:3], off
	s_waitcnt vmcnt(0)
	ds_write_b64 v14, v[2:3]
.LBB18_49:
	s_or_b64 exec, exec, s[2:3]
	s_and_b64 vcc, exec, s[0:1]
	v_add_u32_e32 v2, s25, v8
	s_waitcnt lgkmcnt(0)
	s_barrier
	s_cbranch_vccnz .LBB18_53
; %bb.50:
	v_lshlrev_b32_e32 v14, 3, v13
	v_lshlrev_b32_e32 v16, 3, v12
	;; [unrolled: 1-line block ×3, first 2 shown]
	ds_read_b64 v[14:15], v14
	ds_read_b64 v[16:17], v16
	;; [unrolled: 1-line block ×3, first 2 shown]
	v_mov_b32_e32 v3, 0
	v_lshlrev_b64 v[4:5], 3, v[2:3]
	v_mov_b32_e32 v20, s15
	v_add_co_u32_e32 v4, vcc, s14, v4
	v_addc_co_u32_e32 v5, vcc, v20, v5, vcc
	s_mov_b64 s[0:1], -1
	s_waitcnt lgkmcnt(1)
	global_store_dwordx4 v[4:5], v[14:17], off
	s_waitcnt lgkmcnt(0)
	global_store_dwordx2 v[4:5], v[18:19], off offset:16
	s_cbranch_execz .LBB18_54
	s_branch .LBB18_63
.LBB18_51:
	s_andn2_saveexec_b64 s[2:3], s[2:3]
	s_cbranch_execz .LBB18_30
.LBB18_52:
	v_lshlrev_b32_e32 v2, 3, v0
	v_mov_b32_e32 v3, s28
	v_add_co_u32_e32 v2, vcc, s24, v2
	v_addc_co_u32_e32 v3, vcc, 0, v3, vcc
	s_or_b64 s[6:7], s[6:7], exec
	s_or_b64 exec, exec, s[2:3]
	v_mad_u32_u24 v14, v0, 7, v0
	s_and_saveexec_b64 s[2:3], s[6:7]
	s_cbranch_execnz .LBB18_31
	s_branch .LBB18_32
.LBB18_53:
	s_mov_b64 s[0:1], 0
.LBB18_54:
	v_cmp_gt_u32_e32 vcc, s17, v8
	s_and_saveexec_b64 s[2:3], vcc
	s_cbranch_execz .LBB18_56
; %bb.55:
	v_lshlrev_b32_e32 v13, 3, v13
	ds_read_b64 v[14:15], v13
	v_mov_b32_e32 v3, 0
	v_lshlrev_b64 v[4:5], 3, v[2:3]
	v_mov_b32_e32 v3, s15
	v_add_co_u32_e32 v4, vcc, s14, v4
	v_addc_co_u32_e32 v5, vcc, v3, v5, vcc
	s_waitcnt lgkmcnt(0)
	global_store_dwordx2 v[4:5], v[14:15], off
.LBB18_56:
	s_or_b64 exec, exec, s[2:3]
	v_or_b32_e32 v3, 1, v8
	v_cmp_gt_u32_e32 vcc, s17, v3
	s_and_saveexec_b64 s[2:3], vcc
	s_cbranch_execz .LBB18_58
; %bb.57:
	v_lshlrev_b32_e32 v12, 3, v12
	ds_read_b64 v[12:13], v12
	v_mov_b32_e32 v3, 0
	v_lshlrev_b64 v[4:5], 3, v[2:3]
	v_mov_b32_e32 v3, s15
	v_add_co_u32_e32 v4, vcc, s14, v4
	v_addc_co_u32_e32 v5, vcc, v3, v5, vcc
	s_waitcnt lgkmcnt(0)
	global_store_dwordx2 v[4:5], v[12:13], off offset:8
.LBB18_58:
	s_or_b64 exec, exec, s[2:3]
	v_or_b32_e32 v3, 2, v8
	v_cmp_gt_u32_e32 vcc, s17, v3
	s_and_saveexec_b64 s[2:3], vcc
	s_cbranch_execz .LBB18_60
; %bb.59:
	v_lshlrev_b32_e32 v11, 3, v11
	ds_read_b64 v[12:13], v11
	v_mov_b32_e32 v3, 0
	v_lshlrev_b64 v[4:5], 3, v[2:3]
	v_mov_b32_e32 v3, s15
	v_add_co_u32_e32 v4, vcc, s14, v4
	v_addc_co_u32_e32 v5, vcc, v3, v5, vcc
	s_waitcnt lgkmcnt(0)
	global_store_dwordx2 v[4:5], v[12:13], off offset:16
.LBB18_60:
	s_or_b64 exec, exec, s[2:3]
	v_or_b32_e32 v3, 3, v8
	v_cmp_gt_u32_e32 vcc, s17, v3
	s_and_saveexec_b64 s[2:3], vcc
; %bb.61:
	v_mov_b32_e32 v3, 0
	s_or_b64 s[0:1], s[0:1], exec
; %bb.62:
	s_or_b64 exec, exec, s[2:3]
.LBB18_63:
	s_and_saveexec_b64 s[2:3], s[0:1]
	s_cbranch_execz .LBB18_65
; %bb.64:
	v_lshlrev_b32_e32 v4, 3, v10
	ds_read_b64 v[4:5], v4
	v_lshlrev_b64 v[2:3], 3, v[2:3]
	v_mov_b32_e32 v11, s15
	v_add_co_u32_e32 v2, vcc, s14, v2
	v_addc_co_u32_e32 v3, vcc, v11, v3, vcc
	s_waitcnt lgkmcnt(0)
	global_store_dwordx2 v[2:3], v[4:5], off offset:24
.LBB18_65:
	s_or_b64 exec, exec, s[2:3]
	v_lshlrev_b16_e32 v3, 8, v6
	v_lshrrev_b32_e32 v2, 3, v0
	v_or_b32_sdwa v1, v1, v3 dst_sel:DWORD dst_unused:UNUSED_PAD src0_sel:BYTE_0 src1_sel:DWORD
	v_lshlrev_b16_e32 v3, 8, v9
	v_and_b32_e32 v2, 28, v2
	v_or_b32_sdwa v3, v7, v3 dst_sel:WORD_1 dst_unused:UNUSED_PAD src0_sel:BYTE_0 src1_sel:DWORD
	v_add_u32_e32 v2, v2, v8
	v_or_b32_sdwa v1, v1, v3 dst_sel:DWORD dst_unused:UNUSED_PAD src0_sel:WORD_0 src1_sel:DWORD
	s_barrier
	s_barrier
	ds_write_b32 v2, v1
	v_lshrrev_b32_e32 v1, 5, v0
	v_or_b32_e32 v5, 0x100, v0
	v_and_b32_e32 v6, 4, v1
	v_lshrrev_b32_e32 v1, 5, v5
	v_or_b32_e32 v4, 0x200, v0
	v_and_b32_e32 v7, 12, v1
	v_lshrrev_b32_e32 v1, 5, v4
	s_add_u32 s0, s10, s25
	v_and_b32_e32 v9, 20, v1
	v_or_b32_e32 v1, 0x300, v0
	s_addc_u32 s1, s11, 0
	v_lshrrev_b32_e32 v2, 5, v1
	v_and_b32_e32 v10, 28, v2
	v_mov_b32_e32 v3, s1
	v_add_co_u32_e32 v2, vcc, s0, v0
	v_addc_co_u32_e32 v3, vcc, 0, v3, vcc
	s_and_b64 vcc, exec, s[18:19]
	v_add_u32_e32 v8, v0, v7
	v_add_u32_e32 v9, v0, v9
	;; [unrolled: 1-line block ×3, first 2 shown]
	s_waitcnt lgkmcnt(0)
	s_cbranch_vccz .LBB18_67
; %bb.66:
	v_add_u32_e32 v7, v0, v6
	s_barrier
	ds_read_u8 v11, v7
	ds_read_u8 v12, v8 offset:256
	ds_read_u8 v13, v9 offset:512
	;; [unrolled: 1-line block ×3, first 2 shown]
	s_waitcnt lgkmcnt(3)
	global_store_byte v[2:3], v11, off
	s_waitcnt lgkmcnt(2)
	global_store_byte v[2:3], v12, off offset:256
	s_waitcnt lgkmcnt(1)
	global_store_byte v[2:3], v13, off offset:512
	s_mov_b64 s[0:1], -1
	s_cbranch_execz .LBB18_68
	s_branch .LBB18_73
.LBB18_67:
	s_mov_b64 s[0:1], 0
                                        ; implicit-def: $vgpr7
.LBB18_68:
	s_barrier
	s_waitcnt lgkmcnt(0)
	ds_read_u8 v11, v8 offset:256
	ds_read_u8 v8, v9 offset:512
	;; [unrolled: 1-line block ×3, first 2 shown]
	s_sub_i32 s2, s16, s25
	v_cmp_gt_u32_e32 vcc, s2, v0
	s_and_saveexec_b64 s[0:1], vcc
	s_cbranch_execz .LBB18_76
; %bb.69:
	v_add_u32_e32 v0, v0, v6
	ds_read_u8 v0, v0
	s_waitcnt lgkmcnt(0)
	global_store_byte v[2:3], v0, off
	s_or_b64 exec, exec, s[0:1]
	v_cmp_gt_u32_e32 vcc, s2, v5
	s_and_saveexec_b64 s[0:1], vcc
	s_cbranch_execnz .LBB18_77
.LBB18_70:
	s_or_b64 exec, exec, s[0:1]
	v_cmp_gt_u32_e32 vcc, s2, v4
	s_and_saveexec_b64 s[0:1], vcc
	s_cbranch_execz .LBB18_72
.LBB18_71:
	s_waitcnt lgkmcnt(1)
	global_store_byte v[2:3], v8, off offset:512
.LBB18_72:
	s_or_b64 exec, exec, s[0:1]
	v_cmp_gt_u32_e64 s[0:1], s2, v1
.LBB18_73:
	s_and_saveexec_b64 s[2:3], s[0:1]
	s_cbranch_execz .LBB18_75
; %bb.74:
	s_waitcnt lgkmcnt(0)
	global_store_byte v[2:3], v7, off offset:768
.LBB18_75:
	s_endpgm
.LBB18_76:
	s_or_b64 exec, exec, s[0:1]
	v_cmp_gt_u32_e32 vcc, s2, v5
	s_and_saveexec_b64 s[0:1], vcc
	s_cbranch_execz .LBB18_70
.LBB18_77:
	s_waitcnt lgkmcnt(2)
	global_store_byte v[2:3], v11, off offset:256
	s_or_b64 exec, exec, s[0:1]
	v_cmp_gt_u32_e32 vcc, s2, v4
	s_and_saveexec_b64 s[0:1], vcc
	s_cbranch_execnz .LBB18_71
	s_branch .LBB18_72
	.section	.rodata,"a",@progbits
	.p2align	6, 0x0
	.amdhsa_kernel _ZN7rocprim17ROCPRIM_304000_NS6detail35device_block_merge_mergepath_kernelINS1_37wrapped_merge_sort_block_merge_configINS0_14default_configEhN2at4cuda3cub6detail10OpaqueTypeILi8EEEEEPhSC_PSA_SD_jNS1_19radix_merge_compareILb0ELb0EhNS0_19identity_decomposerEEEEEvT0_T1_T2_T3_T4_SL_jT5_PKSL_NS1_7vsmem_tE
		.amdhsa_group_segment_fixed_size 8208
		.amdhsa_private_segment_fixed_size 0
		.amdhsa_kernarg_size 320
		.amdhsa_user_sgpr_count 6
		.amdhsa_user_sgpr_private_segment_buffer 1
		.amdhsa_user_sgpr_dispatch_ptr 0
		.amdhsa_user_sgpr_queue_ptr 0
		.amdhsa_user_sgpr_kernarg_segment_ptr 1
		.amdhsa_user_sgpr_dispatch_id 0
		.amdhsa_user_sgpr_flat_scratch_init 0
		.amdhsa_user_sgpr_kernarg_preload_length 0
		.amdhsa_user_sgpr_kernarg_preload_offset 0
		.amdhsa_user_sgpr_private_segment_size 0
		.amdhsa_uses_dynamic_stack 0
		.amdhsa_system_sgpr_private_segment_wavefront_offset 0
		.amdhsa_system_sgpr_workgroup_id_x 1
		.amdhsa_system_sgpr_workgroup_id_y 1
		.amdhsa_system_sgpr_workgroup_id_z 1
		.amdhsa_system_sgpr_workgroup_info 0
		.amdhsa_system_vgpr_workitem_id 0
		.amdhsa_next_free_vgpr 24
		.amdhsa_next_free_sgpr 31
		.amdhsa_accum_offset 24
		.amdhsa_reserve_vcc 1
		.amdhsa_reserve_flat_scratch 0
		.amdhsa_float_round_mode_32 0
		.amdhsa_float_round_mode_16_64 0
		.amdhsa_float_denorm_mode_32 3
		.amdhsa_float_denorm_mode_16_64 3
		.amdhsa_dx10_clamp 1
		.amdhsa_ieee_mode 1
		.amdhsa_fp16_overflow 0
		.amdhsa_tg_split 0
		.amdhsa_exception_fp_ieee_invalid_op 0
		.amdhsa_exception_fp_denorm_src 0
		.amdhsa_exception_fp_ieee_div_zero 0
		.amdhsa_exception_fp_ieee_overflow 0
		.amdhsa_exception_fp_ieee_underflow 0
		.amdhsa_exception_fp_ieee_inexact 0
		.amdhsa_exception_int_div_zero 0
	.end_amdhsa_kernel
	.section	.text._ZN7rocprim17ROCPRIM_304000_NS6detail35device_block_merge_mergepath_kernelINS1_37wrapped_merge_sort_block_merge_configINS0_14default_configEhN2at4cuda3cub6detail10OpaqueTypeILi8EEEEEPhSC_PSA_SD_jNS1_19radix_merge_compareILb0ELb0EhNS0_19identity_decomposerEEEEEvT0_T1_T2_T3_T4_SL_jT5_PKSL_NS1_7vsmem_tE,"axG",@progbits,_ZN7rocprim17ROCPRIM_304000_NS6detail35device_block_merge_mergepath_kernelINS1_37wrapped_merge_sort_block_merge_configINS0_14default_configEhN2at4cuda3cub6detail10OpaqueTypeILi8EEEEEPhSC_PSA_SD_jNS1_19radix_merge_compareILb0ELb0EhNS0_19identity_decomposerEEEEEvT0_T1_T2_T3_T4_SL_jT5_PKSL_NS1_7vsmem_tE,comdat
.Lfunc_end18:
	.size	_ZN7rocprim17ROCPRIM_304000_NS6detail35device_block_merge_mergepath_kernelINS1_37wrapped_merge_sort_block_merge_configINS0_14default_configEhN2at4cuda3cub6detail10OpaqueTypeILi8EEEEEPhSC_PSA_SD_jNS1_19radix_merge_compareILb0ELb0EhNS0_19identity_decomposerEEEEEvT0_T1_T2_T3_T4_SL_jT5_PKSL_NS1_7vsmem_tE, .Lfunc_end18-_ZN7rocprim17ROCPRIM_304000_NS6detail35device_block_merge_mergepath_kernelINS1_37wrapped_merge_sort_block_merge_configINS0_14default_configEhN2at4cuda3cub6detail10OpaqueTypeILi8EEEEEPhSC_PSA_SD_jNS1_19radix_merge_compareILb0ELb0EhNS0_19identity_decomposerEEEEEvT0_T1_T2_T3_T4_SL_jT5_PKSL_NS1_7vsmem_tE
                                        ; -- End function
	.section	.AMDGPU.csdata,"",@progbits
; Kernel info:
; codeLenInByte = 3252
; NumSgprs: 35
; NumVgprs: 24
; NumAgprs: 0
; TotalNumVgprs: 24
; ScratchSize: 0
; MemoryBound: 1
; FloatMode: 240
; IeeeMode: 1
; LDSByteSize: 8208 bytes/workgroup (compile time only)
; SGPRBlocks: 4
; VGPRBlocks: 2
; NumSGPRsForWavesPerEU: 35
; NumVGPRsForWavesPerEU: 24
; AccumOffset: 24
; Occupancy: 7
; WaveLimiterHint : 1
; COMPUTE_PGM_RSRC2:SCRATCH_EN: 0
; COMPUTE_PGM_RSRC2:USER_SGPR: 6
; COMPUTE_PGM_RSRC2:TRAP_HANDLER: 0
; COMPUTE_PGM_RSRC2:TGID_X_EN: 1
; COMPUTE_PGM_RSRC2:TGID_Y_EN: 1
; COMPUTE_PGM_RSRC2:TGID_Z_EN: 1
; COMPUTE_PGM_RSRC2:TIDIG_COMP_CNT: 0
; COMPUTE_PGM_RSRC3_GFX90A:ACCUM_OFFSET: 5
; COMPUTE_PGM_RSRC3_GFX90A:TG_SPLIT: 0
	.section	.text._ZN7rocprim17ROCPRIM_304000_NS6detail33device_block_merge_oddeven_kernelINS1_37wrapped_merge_sort_block_merge_configINS0_14default_configEhN2at4cuda3cub6detail10OpaqueTypeILi8EEEEEPhSC_PSA_SD_jNS1_19radix_merge_compareILb0ELb0EhNS0_19identity_decomposerEEEEEvT0_T1_T2_T3_T4_SL_T5_,"axG",@progbits,_ZN7rocprim17ROCPRIM_304000_NS6detail33device_block_merge_oddeven_kernelINS1_37wrapped_merge_sort_block_merge_configINS0_14default_configEhN2at4cuda3cub6detail10OpaqueTypeILi8EEEEEPhSC_PSA_SD_jNS1_19radix_merge_compareILb0ELb0EhNS0_19identity_decomposerEEEEEvT0_T1_T2_T3_T4_SL_T5_,comdat
	.protected	_ZN7rocprim17ROCPRIM_304000_NS6detail33device_block_merge_oddeven_kernelINS1_37wrapped_merge_sort_block_merge_configINS0_14default_configEhN2at4cuda3cub6detail10OpaqueTypeILi8EEEEEPhSC_PSA_SD_jNS1_19radix_merge_compareILb0ELb0EhNS0_19identity_decomposerEEEEEvT0_T1_T2_T3_T4_SL_T5_ ; -- Begin function _ZN7rocprim17ROCPRIM_304000_NS6detail33device_block_merge_oddeven_kernelINS1_37wrapped_merge_sort_block_merge_configINS0_14default_configEhN2at4cuda3cub6detail10OpaqueTypeILi8EEEEEPhSC_PSA_SD_jNS1_19radix_merge_compareILb0ELb0EhNS0_19identity_decomposerEEEEEvT0_T1_T2_T3_T4_SL_T5_
	.globl	_ZN7rocprim17ROCPRIM_304000_NS6detail33device_block_merge_oddeven_kernelINS1_37wrapped_merge_sort_block_merge_configINS0_14default_configEhN2at4cuda3cub6detail10OpaqueTypeILi8EEEEEPhSC_PSA_SD_jNS1_19radix_merge_compareILb0ELb0EhNS0_19identity_decomposerEEEEEvT0_T1_T2_T3_T4_SL_T5_
	.p2align	8
	.type	_ZN7rocprim17ROCPRIM_304000_NS6detail33device_block_merge_oddeven_kernelINS1_37wrapped_merge_sort_block_merge_configINS0_14default_configEhN2at4cuda3cub6detail10OpaqueTypeILi8EEEEEPhSC_PSA_SD_jNS1_19radix_merge_compareILb0ELb0EhNS0_19identity_decomposerEEEEEvT0_T1_T2_T3_T4_SL_T5_,@function
_ZN7rocprim17ROCPRIM_304000_NS6detail33device_block_merge_oddeven_kernelINS1_37wrapped_merge_sort_block_merge_configINS0_14default_configEhN2at4cuda3cub6detail10OpaqueTypeILi8EEEEEPhSC_PSA_SD_jNS1_19radix_merge_compareILb0ELb0EhNS0_19identity_decomposerEEEEEvT0_T1_T2_T3_T4_SL_T5_: ; @_ZN7rocprim17ROCPRIM_304000_NS6detail33device_block_merge_oddeven_kernelINS1_37wrapped_merge_sort_block_merge_configINS0_14default_configEhN2at4cuda3cub6detail10OpaqueTypeILi8EEEEEPhSC_PSA_SD_jNS1_19radix_merge_compareILb0ELb0EhNS0_19identity_decomposerEEEEEvT0_T1_T2_T3_T4_SL_T5_
; %bb.0:
	s_load_dwordx2 s[16:17], s[4:5], 0x20
	s_waitcnt lgkmcnt(0)
	s_lshr_b32 s2, s16, 8
	s_cmp_lg_u32 s6, s2
	s_cselect_b64 s[0:1], -1, 0
	s_cmp_eq_u32 s6, s2
	s_cselect_b64 s[18:19], -1, 0
	s_lshl_b32 s20, s6, 8
	s_sub_i32 s2, s16, s20
	v_cmp_gt_u32_e64 s[2:3], s2, v0
	s_or_b64 s[0:1], s[0:1], s[2:3]
	s_and_saveexec_b64 s[8:9], s[0:1]
	s_cbranch_execz .LBB19_26
; %bb.1:
	s_load_dwordx8 s[8:15], s[4:5], 0x0
	s_mov_b32 s21, 0
	v_lshlrev_b32_e32 v1, 3, v0
	v_add_u32_e32 v4, s20, v0
	s_waitcnt lgkmcnt(0)
	s_add_u32 s0, s8, s20
	s_addc_u32 s1, s9, 0
	s_lshl_b64 s[4:5], s[20:21], 3
	s_add_u32 s4, s12, s4
	s_addc_u32 s5, s13, s5
	global_load_dwordx2 v[2:3], v1, s[4:5]
	global_load_ubyte v6, v0, s[0:1]
	s_lshr_b32 s0, s17, 8
	s_sub_i32 s1, 0, s0
	s_and_b32 s1, s6, s1
	s_and_b32 s0, s1, s0
	s_lshl_b32 s22, s1, 8
	s_sub_i32 s6, 0, s17
	s_cmp_eq_u32 s0, 0
	s_cselect_b64 s[0:1], -1, 0
	s_and_b64 s[4:5], s[0:1], exec
	s_cselect_b32 s21, s17, s6
	s_add_i32 s21, s21, s22
	s_cmp_lt_u32 s21, s16
	s_cbranch_scc1 .LBB19_6
; %bb.2:
	s_and_b64 vcc, exec, s[18:19]
	s_cbranch_vccz .LBB19_7
; %bb.3:
	v_cmp_gt_u32_e32 vcc, s16, v4
	s_mov_b64 s[6:7], 0
	s_mov_b64 s[4:5], 0
                                        ; implicit-def: $vgpr0_vgpr1
	s_and_saveexec_b64 s[12:13], vcc
	s_cbranch_execz .LBB19_5
; %bb.4:
	v_mov_b32_e32 v5, 0
	v_lshlrev_b64 v[0:1], 3, v[4:5]
	v_mov_b32_e32 v5, s15
	v_add_co_u32_e32 v0, vcc, s14, v0
	s_mov_b64 s[4:5], exec
	v_addc_co_u32_e32 v1, vcc, v5, v1, vcc
	s_waitcnt vmcnt(0)
	global_store_byte v4, v6, s[10:11]
.LBB19_5:
	s_or_b64 exec, exec, s[12:13]
	s_and_b64 vcc, exec, s[6:7]
	s_cbranch_vccnz .LBB19_8
	s_branch .LBB19_9
.LBB19_6:
	s_mov_b64 s[4:5], 0
                                        ; implicit-def: $vgpr0_vgpr1
	s_cbranch_execnz .LBB19_10
	s_branch .LBB19_24
.LBB19_7:
	s_mov_b64 s[4:5], 0
                                        ; implicit-def: $vgpr0_vgpr1
	s_cbranch_execz .LBB19_9
.LBB19_8:
	v_mov_b32_e32 v5, 0
	v_lshlrev_b64 v[0:1], 3, v[4:5]
	v_mov_b32_e32 v5, s15
	v_add_co_u32_e32 v0, vcc, s14, v0
	v_addc_co_u32_e32 v1, vcc, v5, v1, vcc
	s_or_b64 s[4:5], s[4:5], exec
	s_waitcnt vmcnt(0)
	global_store_byte v4, v6, s[10:11]
.LBB19_9:
	s_branch .LBB19_24
.LBB19_10:
	s_min_u32 s12, s21, s16
	s_add_i32 s6, s12, s17
	s_min_u32 s13, s6, s16
	s_min_u32 s6, s22, s12
	s_add_i32 s22, s22, s12
	v_subrev_u32_e32 v0, s22, v4
	v_add_u32_e32 v4, s6, v0
	s_and_b64 vcc, exec, s[18:19]
	s_cbranch_vccz .LBB19_18
; %bb.11:
                                        ; implicit-def: $vgpr0_vgpr1
	s_and_saveexec_b64 s[6:7], s[2:3]
	s_cbranch_execz .LBB19_17
; %bb.12:
	s_cmp_ge_u32 s21, s13
	v_mov_b32_e32 v0, s12
	s_cbranch_scc1 .LBB19_16
; %bb.13:
	s_mov_b64 s[2:3], 0
	v_mov_b32_e32 v1, s13
	v_mov_b32_e32 v0, s12
.LBB19_14:                              ; =>This Inner Loop Header: Depth=1
	v_add_u32_e32 v5, v0, v1
	v_lshrrev_b32_e32 v5, 1, v5
	global_load_ubyte v7, v5, s[8:9]
	v_add_u32_e32 v8, 1, v5
	s_waitcnt vmcnt(0)
	v_cmp_gt_u16_sdwa s[16:17], v6, v7 src0_sel:BYTE_0 src1_sel:DWORD
	v_cndmask_b32_e64 v9, 0, 1, s[16:17]
	v_cmp_le_u16_sdwa s[16:17], v7, v6 src0_sel:DWORD src1_sel:BYTE_0
	v_cndmask_b32_e64 v7, 0, 1, s[16:17]
	v_cndmask_b32_e64 v7, v7, v9, s[0:1]
	v_and_b32_e32 v7, 1, v7
	v_cmp_eq_u32_e32 vcc, 1, v7
	v_cndmask_b32_e32 v1, v5, v1, vcc
	v_cndmask_b32_e32 v0, v0, v8, vcc
	v_cmp_ge_u32_e32 vcc, v0, v1
	s_or_b64 s[2:3], vcc, s[2:3]
	s_andn2_b64 exec, exec, s[2:3]
	s_cbranch_execnz .LBB19_14
; %bb.15:
	s_or_b64 exec, exec, s[2:3]
.LBB19_16:
	v_add_u32_e32 v0, v0, v4
	v_mov_b32_e32 v1, 0
	s_waitcnt vmcnt(0)
	global_store_byte v0, v6, s[10:11]
	v_lshlrev_b64 v[0:1], 3, v[0:1]
	v_mov_b32_e32 v5, s15
	v_add_co_u32_e32 v0, vcc, s14, v0
	v_addc_co_u32_e32 v1, vcc, v5, v1, vcc
	s_or_b64 s[4:5], s[4:5], exec
.LBB19_17:
	s_or_b64 exec, exec, s[6:7]
	s_branch .LBB19_24
.LBB19_18:
                                        ; implicit-def: $vgpr0_vgpr1
	s_cbranch_execz .LBB19_24
; %bb.19:
	s_cmp_ge_u32 s21, s13
	v_mov_b32_e32 v0, s12
	s_cbranch_scc1 .LBB19_23
; %bb.20:
	s_mov_b64 s[2:3], 0
	v_mov_b32_e32 v1, s13
	v_mov_b32_e32 v0, s12
.LBB19_21:                              ; =>This Inner Loop Header: Depth=1
	v_add_u32_e32 v5, v0, v1
	v_lshrrev_b32_e32 v5, 1, v5
	global_load_ubyte v7, v5, s[8:9]
	v_add_u32_e32 v8, 1, v5
	s_waitcnt vmcnt(0)
	v_cmp_gt_u16_sdwa s[4:5], v6, v7 src0_sel:BYTE_0 src1_sel:DWORD
	v_cndmask_b32_e64 v9, 0, 1, s[4:5]
	v_cmp_le_u16_sdwa s[4:5], v7, v6 src0_sel:DWORD src1_sel:BYTE_0
	v_cndmask_b32_e64 v7, 0, 1, s[4:5]
	v_cndmask_b32_e64 v7, v7, v9, s[0:1]
	v_and_b32_e32 v7, 1, v7
	v_cmp_eq_u32_e32 vcc, 1, v7
	v_cndmask_b32_e32 v1, v5, v1, vcc
	v_cndmask_b32_e32 v0, v0, v8, vcc
	v_cmp_ge_u32_e32 vcc, v0, v1
	s_or_b64 s[2:3], vcc, s[2:3]
	s_andn2_b64 exec, exec, s[2:3]
	s_cbranch_execnz .LBB19_21
; %bb.22:
	s_or_b64 exec, exec, s[2:3]
.LBB19_23:
	v_add_u32_e32 v0, v0, v4
	v_mov_b32_e32 v1, 0
	s_waitcnt vmcnt(0)
	global_store_byte v0, v6, s[10:11]
	v_lshlrev_b64 v[0:1], 3, v[0:1]
	v_mov_b32_e32 v4, s15
	v_add_co_u32_e32 v0, vcc, s14, v0
	v_addc_co_u32_e32 v1, vcc, v4, v1, vcc
	s_mov_b64 s[4:5], -1
.LBB19_24:
	s_and_b64 exec, exec, s[4:5]
	s_cbranch_execz .LBB19_26
; %bb.25:
	s_waitcnt vmcnt(1)
	global_store_dwordx2 v[0:1], v[2:3], off
.LBB19_26:
	s_endpgm
	.section	.rodata,"a",@progbits
	.p2align	6, 0x0
	.amdhsa_kernel _ZN7rocprim17ROCPRIM_304000_NS6detail33device_block_merge_oddeven_kernelINS1_37wrapped_merge_sort_block_merge_configINS0_14default_configEhN2at4cuda3cub6detail10OpaqueTypeILi8EEEEEPhSC_PSA_SD_jNS1_19radix_merge_compareILb0ELb0EhNS0_19identity_decomposerEEEEEvT0_T1_T2_T3_T4_SL_T5_
		.amdhsa_group_segment_fixed_size 0
		.amdhsa_private_segment_fixed_size 0
		.amdhsa_kernarg_size 44
		.amdhsa_user_sgpr_count 6
		.amdhsa_user_sgpr_private_segment_buffer 1
		.amdhsa_user_sgpr_dispatch_ptr 0
		.amdhsa_user_sgpr_queue_ptr 0
		.amdhsa_user_sgpr_kernarg_segment_ptr 1
		.amdhsa_user_sgpr_dispatch_id 0
		.amdhsa_user_sgpr_flat_scratch_init 0
		.amdhsa_user_sgpr_kernarg_preload_length 0
		.amdhsa_user_sgpr_kernarg_preload_offset 0
		.amdhsa_user_sgpr_private_segment_size 0
		.amdhsa_uses_dynamic_stack 0
		.amdhsa_system_sgpr_private_segment_wavefront_offset 0
		.amdhsa_system_sgpr_workgroup_id_x 1
		.amdhsa_system_sgpr_workgroup_id_y 0
		.amdhsa_system_sgpr_workgroup_id_z 0
		.amdhsa_system_sgpr_workgroup_info 0
		.amdhsa_system_vgpr_workitem_id 0
		.amdhsa_next_free_vgpr 10
		.amdhsa_next_free_sgpr 23
		.amdhsa_accum_offset 12
		.amdhsa_reserve_vcc 1
		.amdhsa_reserve_flat_scratch 0
		.amdhsa_float_round_mode_32 0
		.amdhsa_float_round_mode_16_64 0
		.amdhsa_float_denorm_mode_32 3
		.amdhsa_float_denorm_mode_16_64 3
		.amdhsa_dx10_clamp 1
		.amdhsa_ieee_mode 1
		.amdhsa_fp16_overflow 0
		.amdhsa_tg_split 0
		.amdhsa_exception_fp_ieee_invalid_op 0
		.amdhsa_exception_fp_denorm_src 0
		.amdhsa_exception_fp_ieee_div_zero 0
		.amdhsa_exception_fp_ieee_overflow 0
		.amdhsa_exception_fp_ieee_underflow 0
		.amdhsa_exception_fp_ieee_inexact 0
		.amdhsa_exception_int_div_zero 0
	.end_amdhsa_kernel
	.section	.text._ZN7rocprim17ROCPRIM_304000_NS6detail33device_block_merge_oddeven_kernelINS1_37wrapped_merge_sort_block_merge_configINS0_14default_configEhN2at4cuda3cub6detail10OpaqueTypeILi8EEEEEPhSC_PSA_SD_jNS1_19radix_merge_compareILb0ELb0EhNS0_19identity_decomposerEEEEEvT0_T1_T2_T3_T4_SL_T5_,"axG",@progbits,_ZN7rocprim17ROCPRIM_304000_NS6detail33device_block_merge_oddeven_kernelINS1_37wrapped_merge_sort_block_merge_configINS0_14default_configEhN2at4cuda3cub6detail10OpaqueTypeILi8EEEEEPhSC_PSA_SD_jNS1_19radix_merge_compareILb0ELb0EhNS0_19identity_decomposerEEEEEvT0_T1_T2_T3_T4_SL_T5_,comdat
.Lfunc_end19:
	.size	_ZN7rocprim17ROCPRIM_304000_NS6detail33device_block_merge_oddeven_kernelINS1_37wrapped_merge_sort_block_merge_configINS0_14default_configEhN2at4cuda3cub6detail10OpaqueTypeILi8EEEEEPhSC_PSA_SD_jNS1_19radix_merge_compareILb0ELb0EhNS0_19identity_decomposerEEEEEvT0_T1_T2_T3_T4_SL_T5_, .Lfunc_end19-_ZN7rocprim17ROCPRIM_304000_NS6detail33device_block_merge_oddeven_kernelINS1_37wrapped_merge_sort_block_merge_configINS0_14default_configEhN2at4cuda3cub6detail10OpaqueTypeILi8EEEEEPhSC_PSA_SD_jNS1_19radix_merge_compareILb0ELb0EhNS0_19identity_decomposerEEEEEvT0_T1_T2_T3_T4_SL_T5_
                                        ; -- End function
	.section	.AMDGPU.csdata,"",@progbits
; Kernel info:
; codeLenInByte = 736
; NumSgprs: 27
; NumVgprs: 10
; NumAgprs: 0
; TotalNumVgprs: 10
; ScratchSize: 0
; MemoryBound: 0
; FloatMode: 240
; IeeeMode: 1
; LDSByteSize: 0 bytes/workgroup (compile time only)
; SGPRBlocks: 3
; VGPRBlocks: 1
; NumSGPRsForWavesPerEU: 27
; NumVGPRsForWavesPerEU: 10
; AccumOffset: 12
; Occupancy: 8
; WaveLimiterHint : 0
; COMPUTE_PGM_RSRC2:SCRATCH_EN: 0
; COMPUTE_PGM_RSRC2:USER_SGPR: 6
; COMPUTE_PGM_RSRC2:TRAP_HANDLER: 0
; COMPUTE_PGM_RSRC2:TGID_X_EN: 1
; COMPUTE_PGM_RSRC2:TGID_Y_EN: 0
; COMPUTE_PGM_RSRC2:TGID_Z_EN: 0
; COMPUTE_PGM_RSRC2:TIDIG_COMP_CNT: 0
; COMPUTE_PGM_RSRC3_GFX90A:ACCUM_OFFSET: 2
; COMPUTE_PGM_RSRC3_GFX90A:TG_SPLIT: 0
	.section	.text._ZN7rocprim17ROCPRIM_304000_NS6detail45device_block_merge_mergepath_partition_kernelINS1_37wrapped_merge_sort_block_merge_configINS0_14default_configEhN2at4cuda3cub6detail10OpaqueTypeILi8EEEEEPhjNS1_19radix_merge_compareILb0ELb1EhNS0_19identity_decomposerEEEEEvT0_T1_jPSH_T2_SH_,"axG",@progbits,_ZN7rocprim17ROCPRIM_304000_NS6detail45device_block_merge_mergepath_partition_kernelINS1_37wrapped_merge_sort_block_merge_configINS0_14default_configEhN2at4cuda3cub6detail10OpaqueTypeILi8EEEEEPhjNS1_19radix_merge_compareILb0ELb1EhNS0_19identity_decomposerEEEEEvT0_T1_jPSH_T2_SH_,comdat
	.protected	_ZN7rocprim17ROCPRIM_304000_NS6detail45device_block_merge_mergepath_partition_kernelINS1_37wrapped_merge_sort_block_merge_configINS0_14default_configEhN2at4cuda3cub6detail10OpaqueTypeILi8EEEEEPhjNS1_19radix_merge_compareILb0ELb1EhNS0_19identity_decomposerEEEEEvT0_T1_jPSH_T2_SH_ ; -- Begin function _ZN7rocprim17ROCPRIM_304000_NS6detail45device_block_merge_mergepath_partition_kernelINS1_37wrapped_merge_sort_block_merge_configINS0_14default_configEhN2at4cuda3cub6detail10OpaqueTypeILi8EEEEEPhjNS1_19radix_merge_compareILb0ELb1EhNS0_19identity_decomposerEEEEEvT0_T1_jPSH_T2_SH_
	.globl	_ZN7rocprim17ROCPRIM_304000_NS6detail45device_block_merge_mergepath_partition_kernelINS1_37wrapped_merge_sort_block_merge_configINS0_14default_configEhN2at4cuda3cub6detail10OpaqueTypeILi8EEEEEPhjNS1_19radix_merge_compareILb0ELb1EhNS0_19identity_decomposerEEEEEvT0_T1_jPSH_T2_SH_
	.p2align	8
	.type	_ZN7rocprim17ROCPRIM_304000_NS6detail45device_block_merge_mergepath_partition_kernelINS1_37wrapped_merge_sort_block_merge_configINS0_14default_configEhN2at4cuda3cub6detail10OpaqueTypeILi8EEEEEPhjNS1_19radix_merge_compareILb0ELb1EhNS0_19identity_decomposerEEEEEvT0_T1_jPSH_T2_SH_,@function
_ZN7rocprim17ROCPRIM_304000_NS6detail45device_block_merge_mergepath_partition_kernelINS1_37wrapped_merge_sort_block_merge_configINS0_14default_configEhN2at4cuda3cub6detail10OpaqueTypeILi8EEEEEPhjNS1_19radix_merge_compareILb0ELb1EhNS0_19identity_decomposerEEEEEvT0_T1_jPSH_T2_SH_: ; @_ZN7rocprim17ROCPRIM_304000_NS6detail45device_block_merge_mergepath_partition_kernelINS1_37wrapped_merge_sort_block_merge_configINS0_14default_configEhN2at4cuda3cub6detail10OpaqueTypeILi8EEEEEPhjNS1_19radix_merge_compareILb0ELb1EhNS0_19identity_decomposerEEEEEvT0_T1_jPSH_T2_SH_
; %bb.0:
	s_load_dwordx2 s[2:3], s[4:5], 0x8
	v_lshl_or_b32 v0, s6, 7, v0
	s_waitcnt lgkmcnt(0)
	v_cmp_gt_u32_e32 vcc, s3, v0
	s_and_saveexec_b64 s[0:1], vcc
	s_cbranch_execz .LBB20_6
; %bb.1:
	s_load_dwordx2 s[0:1], s[4:5], 0x18
	s_waitcnt lgkmcnt(0)
	s_lshr_b32 s3, s1, 9
	s_and_b32 s3, s3, 0x7ffffe
	s_add_i32 s6, s3, -1
	s_sub_i32 s3, 0, s3
	v_and_b32_e32 v1, s3, v0
	v_lshlrev_b32_e32 v3, 10, v1
	v_min_u32_e32 v1, s2, v3
	v_add_u32_e32 v3, s1, v3
	v_min_u32_e32 v7, s2, v3
	v_add_u32_e32 v3, s1, v7
	v_and_b32_e32 v2, s6, v0
	v_min_u32_e32 v4, s2, v3
	v_lshlrev_b32_e32 v2, 10, v2
	v_sub_u32_e32 v3, v4, v1
	v_min_u32_e32 v3, v3, v2
	v_sub_u32_e32 v5, v7, v1
	v_sub_u32_e32 v2, v4, v7
	v_sub_u32_e64 v2, v3, v2 clamp
	v_min_u32_e32 v4, v3, v5
	v_cmp_lt_u32_e32 vcc, v2, v4
	s_and_saveexec_b64 s[2:3], vcc
	s_cbranch_execz .LBB20_5
; %bb.2:
	s_load_dwordx2 s[6:7], s[4:5], 0x0
	s_waitcnt lgkmcnt(0)
	v_mov_b32_e32 v8, s7
	v_add_co_u32_e32 v5, vcc, s6, v1
	v_addc_co_u32_e32 v6, vcc, 0, v8, vcc
	v_add_co_u32_e32 v7, vcc, s6, v7
	v_addc_co_u32_e32 v8, vcc, 0, v8, vcc
	s_mov_b64 s[6:7], 0
.LBB20_3:                               ; =>This Inner Loop Header: Depth=1
	v_add_u32_e32 v9, v4, v2
	v_lshrrev_b32_e32 v9, 1, v9
	v_add_co_u32_e32 v10, vcc, v5, v9
	v_xad_u32 v12, v9, -1, v3
	v_addc_co_u32_e32 v11, vcc, 0, v6, vcc
	v_add_co_u32_e32 v12, vcc, v7, v12
	v_addc_co_u32_e32 v13, vcc, 0, v8, vcc
	global_load_ubyte v14, v[10:11], off
	global_load_ubyte v15, v[12:13], off
	v_add_u32_e32 v10, 1, v9
	s_waitcnt vmcnt(1)
	v_and_b32_e32 v11, s0, v14
	s_waitcnt vmcnt(0)
	v_and_b32_e32 v12, s0, v15
	v_cmp_gt_u16_sdwa vcc, v11, v12 src0_sel:BYTE_0 src1_sel:BYTE_0
	v_cndmask_b32_e32 v4, v4, v9, vcc
	v_cndmask_b32_e32 v2, v10, v2, vcc
	v_cmp_ge_u32_e32 vcc, v2, v4
	s_or_b64 s[6:7], vcc, s[6:7]
	s_andn2_b64 exec, exec, s[6:7]
	s_cbranch_execnz .LBB20_3
; %bb.4:
	s_or_b64 exec, exec, s[6:7]
.LBB20_5:
	s_or_b64 exec, exec, s[2:3]
	s_load_dwordx2 s[0:1], s[4:5], 0x10
	v_add_u32_e32 v2, v2, v1
	v_mov_b32_e32 v1, 0
	v_lshlrev_b64 v[0:1], 2, v[0:1]
	s_waitcnt lgkmcnt(0)
	v_mov_b32_e32 v3, s1
	v_add_co_u32_e32 v0, vcc, s0, v0
	v_addc_co_u32_e32 v1, vcc, v3, v1, vcc
	global_store_dword v[0:1], v2, off
.LBB20_6:
	s_endpgm
	.section	.rodata,"a",@progbits
	.p2align	6, 0x0
	.amdhsa_kernel _ZN7rocprim17ROCPRIM_304000_NS6detail45device_block_merge_mergepath_partition_kernelINS1_37wrapped_merge_sort_block_merge_configINS0_14default_configEhN2at4cuda3cub6detail10OpaqueTypeILi8EEEEEPhjNS1_19radix_merge_compareILb0ELb1EhNS0_19identity_decomposerEEEEEvT0_T1_jPSH_T2_SH_
		.amdhsa_group_segment_fixed_size 0
		.amdhsa_private_segment_fixed_size 0
		.amdhsa_kernarg_size 32
		.amdhsa_user_sgpr_count 6
		.amdhsa_user_sgpr_private_segment_buffer 1
		.amdhsa_user_sgpr_dispatch_ptr 0
		.amdhsa_user_sgpr_queue_ptr 0
		.amdhsa_user_sgpr_kernarg_segment_ptr 1
		.amdhsa_user_sgpr_dispatch_id 0
		.amdhsa_user_sgpr_flat_scratch_init 0
		.amdhsa_user_sgpr_kernarg_preload_length 0
		.amdhsa_user_sgpr_kernarg_preload_offset 0
		.amdhsa_user_sgpr_private_segment_size 0
		.amdhsa_uses_dynamic_stack 0
		.amdhsa_system_sgpr_private_segment_wavefront_offset 0
		.amdhsa_system_sgpr_workgroup_id_x 1
		.amdhsa_system_sgpr_workgroup_id_y 0
		.amdhsa_system_sgpr_workgroup_id_z 0
		.amdhsa_system_sgpr_workgroup_info 0
		.amdhsa_system_vgpr_workitem_id 0
		.amdhsa_next_free_vgpr 16
		.amdhsa_next_free_sgpr 8
		.amdhsa_accum_offset 16
		.amdhsa_reserve_vcc 1
		.amdhsa_reserve_flat_scratch 0
		.amdhsa_float_round_mode_32 0
		.amdhsa_float_round_mode_16_64 0
		.amdhsa_float_denorm_mode_32 3
		.amdhsa_float_denorm_mode_16_64 3
		.amdhsa_dx10_clamp 1
		.amdhsa_ieee_mode 1
		.amdhsa_fp16_overflow 0
		.amdhsa_tg_split 0
		.amdhsa_exception_fp_ieee_invalid_op 0
		.amdhsa_exception_fp_denorm_src 0
		.amdhsa_exception_fp_ieee_div_zero 0
		.amdhsa_exception_fp_ieee_overflow 0
		.amdhsa_exception_fp_ieee_underflow 0
		.amdhsa_exception_fp_ieee_inexact 0
		.amdhsa_exception_int_div_zero 0
	.end_amdhsa_kernel
	.section	.text._ZN7rocprim17ROCPRIM_304000_NS6detail45device_block_merge_mergepath_partition_kernelINS1_37wrapped_merge_sort_block_merge_configINS0_14default_configEhN2at4cuda3cub6detail10OpaqueTypeILi8EEEEEPhjNS1_19radix_merge_compareILb0ELb1EhNS0_19identity_decomposerEEEEEvT0_T1_jPSH_T2_SH_,"axG",@progbits,_ZN7rocprim17ROCPRIM_304000_NS6detail45device_block_merge_mergepath_partition_kernelINS1_37wrapped_merge_sort_block_merge_configINS0_14default_configEhN2at4cuda3cub6detail10OpaqueTypeILi8EEEEEPhjNS1_19radix_merge_compareILb0ELb1EhNS0_19identity_decomposerEEEEEvT0_T1_jPSH_T2_SH_,comdat
.Lfunc_end20:
	.size	_ZN7rocprim17ROCPRIM_304000_NS6detail45device_block_merge_mergepath_partition_kernelINS1_37wrapped_merge_sort_block_merge_configINS0_14default_configEhN2at4cuda3cub6detail10OpaqueTypeILi8EEEEEPhjNS1_19radix_merge_compareILb0ELb1EhNS0_19identity_decomposerEEEEEvT0_T1_jPSH_T2_SH_, .Lfunc_end20-_ZN7rocprim17ROCPRIM_304000_NS6detail45device_block_merge_mergepath_partition_kernelINS1_37wrapped_merge_sort_block_merge_configINS0_14default_configEhN2at4cuda3cub6detail10OpaqueTypeILi8EEEEEPhjNS1_19radix_merge_compareILb0ELb1EhNS0_19identity_decomposerEEEEEvT0_T1_jPSH_T2_SH_
                                        ; -- End function
	.section	.AMDGPU.csdata,"",@progbits
; Kernel info:
; codeLenInByte = 336
; NumSgprs: 12
; NumVgprs: 16
; NumAgprs: 0
; TotalNumVgprs: 16
; ScratchSize: 0
; MemoryBound: 0
; FloatMode: 240
; IeeeMode: 1
; LDSByteSize: 0 bytes/workgroup (compile time only)
; SGPRBlocks: 1
; VGPRBlocks: 1
; NumSGPRsForWavesPerEU: 12
; NumVGPRsForWavesPerEU: 16
; AccumOffset: 16
; Occupancy: 8
; WaveLimiterHint : 0
; COMPUTE_PGM_RSRC2:SCRATCH_EN: 0
; COMPUTE_PGM_RSRC2:USER_SGPR: 6
; COMPUTE_PGM_RSRC2:TRAP_HANDLER: 0
; COMPUTE_PGM_RSRC2:TGID_X_EN: 1
; COMPUTE_PGM_RSRC2:TGID_Y_EN: 0
; COMPUTE_PGM_RSRC2:TGID_Z_EN: 0
; COMPUTE_PGM_RSRC2:TIDIG_COMP_CNT: 0
; COMPUTE_PGM_RSRC3_GFX90A:ACCUM_OFFSET: 3
; COMPUTE_PGM_RSRC3_GFX90A:TG_SPLIT: 0
	.section	.text._ZN7rocprim17ROCPRIM_304000_NS6detail35device_block_merge_mergepath_kernelINS1_37wrapped_merge_sort_block_merge_configINS0_14default_configEhN2at4cuda3cub6detail10OpaqueTypeILi8EEEEEPhSC_PSA_SD_jNS1_19radix_merge_compareILb0ELb1EhNS0_19identity_decomposerEEEEEvT0_T1_T2_T3_T4_SL_jT5_PKSL_NS1_7vsmem_tE,"axG",@progbits,_ZN7rocprim17ROCPRIM_304000_NS6detail35device_block_merge_mergepath_kernelINS1_37wrapped_merge_sort_block_merge_configINS0_14default_configEhN2at4cuda3cub6detail10OpaqueTypeILi8EEEEEPhSC_PSA_SD_jNS1_19radix_merge_compareILb0ELb1EhNS0_19identity_decomposerEEEEEvT0_T1_T2_T3_T4_SL_jT5_PKSL_NS1_7vsmem_tE,comdat
	.protected	_ZN7rocprim17ROCPRIM_304000_NS6detail35device_block_merge_mergepath_kernelINS1_37wrapped_merge_sort_block_merge_configINS0_14default_configEhN2at4cuda3cub6detail10OpaqueTypeILi8EEEEEPhSC_PSA_SD_jNS1_19radix_merge_compareILb0ELb1EhNS0_19identity_decomposerEEEEEvT0_T1_T2_T3_T4_SL_jT5_PKSL_NS1_7vsmem_tE ; -- Begin function _ZN7rocprim17ROCPRIM_304000_NS6detail35device_block_merge_mergepath_kernelINS1_37wrapped_merge_sort_block_merge_configINS0_14default_configEhN2at4cuda3cub6detail10OpaqueTypeILi8EEEEEPhSC_PSA_SD_jNS1_19radix_merge_compareILb0ELb1EhNS0_19identity_decomposerEEEEEvT0_T1_T2_T3_T4_SL_jT5_PKSL_NS1_7vsmem_tE
	.globl	_ZN7rocprim17ROCPRIM_304000_NS6detail35device_block_merge_mergepath_kernelINS1_37wrapped_merge_sort_block_merge_configINS0_14default_configEhN2at4cuda3cub6detail10OpaqueTypeILi8EEEEEPhSC_PSA_SD_jNS1_19radix_merge_compareILb0ELb1EhNS0_19identity_decomposerEEEEEvT0_T1_T2_T3_T4_SL_jT5_PKSL_NS1_7vsmem_tE
	.p2align	8
	.type	_ZN7rocprim17ROCPRIM_304000_NS6detail35device_block_merge_mergepath_kernelINS1_37wrapped_merge_sort_block_merge_configINS0_14default_configEhN2at4cuda3cub6detail10OpaqueTypeILi8EEEEEPhSC_PSA_SD_jNS1_19radix_merge_compareILb0ELb1EhNS0_19identity_decomposerEEEEEvT0_T1_T2_T3_T4_SL_jT5_PKSL_NS1_7vsmem_tE,@function
_ZN7rocprim17ROCPRIM_304000_NS6detail35device_block_merge_mergepath_kernelINS1_37wrapped_merge_sort_block_merge_configINS0_14default_configEhN2at4cuda3cub6detail10OpaqueTypeILi8EEEEEPhSC_PSA_SD_jNS1_19radix_merge_compareILb0ELb1EhNS0_19identity_decomposerEEEEEvT0_T1_T2_T3_T4_SL_jT5_PKSL_NS1_7vsmem_tE: ; @_ZN7rocprim17ROCPRIM_304000_NS6detail35device_block_merge_mergepath_kernelINS1_37wrapped_merge_sort_block_merge_configINS0_14default_configEhN2at4cuda3cub6detail10OpaqueTypeILi8EEEEEPhSC_PSA_SD_jNS1_19radix_merge_compareILb0ELb1EhNS0_19identity_decomposerEEEEEvT0_T1_T2_T3_T4_SL_jT5_PKSL_NS1_7vsmem_tE
; %bb.0:
	s_load_dwordx2 s[26:27], s[4:5], 0x40
	s_load_dwordx4 s[16:19], s[4:5], 0x20
	s_add_u32 s2, s4, 64
	s_addc_u32 s3, s5, 0
	s_waitcnt lgkmcnt(0)
	s_mul_i32 s0, s27, s8
	s_add_i32 s0, s0, s7
	s_mul_i32 s0, s0, s26
	s_add_i32 s0, s0, s6
	s_cmp_ge_u32 s0, s18
	s_cbranch_scc1 .LBB21_75
; %bb.1:
	s_load_dwordx8 s[8:15], s[4:5], 0x0
	s_load_dwordx2 s[22:23], s[4:5], 0x30
	s_lshr_b32 s30, s16, 10
	s_cmp_lg_u32 s0, s30
	s_mov_b32 s1, 0
	s_cselect_b64 s[20:21], -1, 0
	s_lshl_b64 s[4:5], s[0:1], 2
	s_waitcnt lgkmcnt(0)
	s_add_u32 s4, s22, s4
	s_addc_u32 s5, s23, s5
	s_load_dwordx2 s[22:23], s[4:5], 0x0
	s_lshr_b32 s4, s17, 9
	s_and_b32 s4, s4, 0x7ffffe
	s_sub_i32 s4, 0, s4
	s_and_b32 s5, s0, s4
	s_lshl_b32 s7, s5, 10
	s_lshl_b32 s18, s0, 10
	s_lshl_b32 s5, s5, 11
	s_sub_i32 s24, s18, s7
	s_add_i32 s5, s5, s17
	s_add_i32 s25, s5, s24
	s_waitcnt lgkmcnt(0)
	s_sub_i32 s24, s25, s22
	s_sub_i32 s25, s25, s23
	s_sub_i32 s5, s5, s7
	s_min_u32 s24, s16, s24
	s_addk_i32 s25, 0x400
	s_or_b32 s4, s0, s4
	s_min_u32 s7, s16, s5
	s_add_i32 s5, s5, s17
	s_cmp_eq_u32 s4, -1
	s_cselect_b32 s4, s5, s25
	s_cselect_b32 s5, s7, s23
	s_min_u32 s4, s4, s16
	s_sub_i32 s27, s5, s22
	s_sub_i32 s28, s4, s24
	s_add_u32 s5, s8, s22
	s_addc_u32 s29, s9, 0
	s_add_u32 s4, s8, s24
	s_addc_u32 s7, s9, 0
	s_cmp_lt_u32 s6, s26
	v_mov_b32_e32 v1, 0
	s_cselect_b32 s6, 12, 18
	global_load_dword v2, v1, s[2:3] offset:14
	s_add_u32 s2, s2, s6
	s_addc_u32 s3, s3, 0
	global_load_ushort v1, v1, s[2:3]
	s_mov_b32 s25, s1
	s_mov_b32 s23, s1
	s_cmp_eq_u32 s0, s30
	v_cmp_gt_u32_e32 vcc, s27, v0
	s_waitcnt vmcnt(1)
	v_lshrrev_b32_e32 v3, 16, v2
	v_and_b32_e32 v2, 0xffff, v2
	v_mul_lo_u32 v2, v2, v3
	s_waitcnt vmcnt(0)
	v_mul_lo_u32 v2, v2, v1
	v_add_u32_e32 v4, v2, v0
	v_add_u32_e32 v3, v4, v2
	s_cbranch_scc1 .LBB21_3
; %bb.2:
	v_mov_b32_e32 v1, s29
	v_add_co_u32_e64 v5, s[0:1], s5, v0
	v_addc_co_u32_e64 v1, s[0:1], 0, v1, s[0:1]
	v_subrev_u32_e32 v6, s27, v0
	v_mov_b32_e32 v7, s7
	v_add_co_u32_e64 v6, s[0:1], s4, v6
	v_addc_co_u32_e64 v7, s[0:1], 0, v7, s[0:1]
	v_cndmask_b32_e32 v11, v7, v1, vcc
	v_cndmask_b32_e32 v10, v6, v5, vcc
	v_mov_b32_e32 v1, s29
	v_add_co_u32_e32 v5, vcc, s5, v4
	v_addc_co_u32_e32 v1, vcc, 0, v1, vcc
	v_subrev_u32_e32 v6, s27, v4
	v_mov_b32_e32 v7, s7
	v_add_co_u32_e32 v6, vcc, s4, v6
	v_addc_co_u32_e32 v7, vcc, 0, v7, vcc
	v_cmp_gt_u32_e32 vcc, s27, v4
	v_cndmask_b32_e32 v13, v7, v1, vcc
	v_cndmask_b32_e32 v12, v6, v5, vcc
	v_mov_b32_e32 v1, s29
	v_add_co_u32_e32 v5, vcc, s5, v3
	v_addc_co_u32_e32 v1, vcc, 0, v1, vcc
	v_subrev_u32_e32 v6, s27, v3
	v_mov_b32_e32 v7, s7
	v_add_co_u32_e32 v6, vcc, s4, v6
	v_addc_co_u32_e32 v7, vcc, 0, v7, vcc
	v_cmp_gt_u32_e32 vcc, s27, v3
	v_cndmask_b32_e32 v15, v7, v1, vcc
	v_add_u32_e32 v1, v3, v2
	v_cndmask_b32_e32 v14, v6, v5, vcc
	v_mov_b32_e32 v5, s29
	v_add_co_u32_e32 v6, vcc, s5, v1
	v_addc_co_u32_e32 v5, vcc, 0, v5, vcc
	v_subrev_u32_e32 v7, s27, v1
	v_mov_b32_e32 v8, s7
	v_add_co_u32_e32 v7, vcc, s4, v7
	v_addc_co_u32_e32 v8, vcc, 0, v8, vcc
	v_cmp_gt_u32_e32 vcc, s27, v1
	v_cndmask_b32_e32 v17, v8, v5, vcc
	v_cndmask_b32_e32 v16, v7, v6, vcc
	global_load_ubyte v1, v[10:11], off
	global_load_ubyte v6, v[12:13], off
	global_load_ubyte v7, v[14:15], off
	global_load_ubyte v9, v[16:17], off
	s_add_i32 s17, s28, s27
	s_cbranch_execz .LBB21_4
	s_branch .LBB21_13
.LBB21_3:
                                        ; implicit-def: $vgpr1
                                        ; implicit-def: $vgpr6
                                        ; implicit-def: $vgpr7
                                        ; implicit-def: $vgpr9
                                        ; implicit-def: $sgpr17
.LBB21_4:
	s_add_i32 s17, s28, s27
	v_cmp_gt_u32_e32 vcc, s17, v0
                                        ; implicit-def: $vgpr1
	s_and_saveexec_b64 s[0:1], vcc
	s_cbranch_execz .LBB21_6
; %bb.5:
	s_waitcnt vmcnt(3)
	v_mov_b32_e32 v1, s29
	v_add_co_u32_e32 v5, vcc, s5, v0
	v_addc_co_u32_e32 v1, vcc, 0, v1, vcc
	s_waitcnt vmcnt(2)
	v_subrev_u32_e32 v6, s27, v0
	s_waitcnt vmcnt(1)
	v_mov_b32_e32 v7, s7
	v_add_co_u32_e32 v6, vcc, s4, v6
	v_addc_co_u32_e32 v7, vcc, 0, v7, vcc
	v_cmp_gt_u32_e32 vcc, s27, v0
	v_cndmask_b32_e32 v7, v7, v1, vcc
	v_cndmask_b32_e32 v6, v6, v5, vcc
	global_load_ubyte v1, v[6:7], off
.LBB21_6:
	s_or_b64 exec, exec, s[0:1]
	v_cmp_gt_u32_e32 vcc, s17, v4
                                        ; implicit-def: $vgpr6
	s_and_saveexec_b64 s[0:1], vcc
	s_cbranch_execz .LBB21_8
; %bb.7:
	v_mov_b32_e32 v5, s29
	s_waitcnt vmcnt(2)
	v_add_co_u32_e32 v6, vcc, s5, v4
	v_addc_co_u32_e32 v5, vcc, 0, v5, vcc
	s_waitcnt vmcnt(1)
	v_subrev_u32_e32 v7, s27, v4
	v_mov_b32_e32 v8, s7
	v_add_co_u32_e32 v7, vcc, s4, v7
	v_addc_co_u32_e32 v8, vcc, 0, v8, vcc
	v_cmp_gt_u32_e32 vcc, s27, v4
	v_cndmask_b32_e32 v5, v8, v5, vcc
	v_cndmask_b32_e32 v4, v7, v6, vcc
	global_load_ubyte v6, v[4:5], off
.LBB21_8:
	s_or_b64 exec, exec, s[0:1]
	v_cmp_gt_u32_e32 vcc, s17, v3
                                        ; implicit-def: $vgpr7
	s_and_saveexec_b64 s[0:1], vcc
	s_cbranch_execz .LBB21_10
; %bb.9:
	v_mov_b32_e32 v4, s29
	s_waitcnt vmcnt(1)
	v_add_co_u32_e32 v7, vcc, s5, v3
	v_addc_co_u32_e32 v4, vcc, 0, v4, vcc
	v_subrev_u32_e32 v5, s27, v3
	v_mov_b32_e32 v8, s7
	s_waitcnt vmcnt(0)
	v_add_co_u32_e32 v9, vcc, s4, v5
	v_addc_co_u32_e32 v5, vcc, 0, v8, vcc
	v_cmp_gt_u32_e32 vcc, s27, v3
	v_cndmask_b32_e32 v5, v5, v4, vcc
	v_cndmask_b32_e32 v4, v9, v7, vcc
	global_load_ubyte v7, v[4:5], off
.LBB21_10:
	s_or_b64 exec, exec, s[0:1]
	v_add_u32_e32 v2, v3, v2
	v_cmp_gt_u32_e32 vcc, s17, v2
                                        ; implicit-def: $vgpr9
	s_and_saveexec_b64 s[0:1], vcc
	s_cbranch_execz .LBB21_12
; %bb.11:
	v_mov_b32_e32 v3, s29
	v_add_co_u32_e32 v4, vcc, s5, v2
	v_addc_co_u32_e32 v3, vcc, 0, v3, vcc
	v_subrev_u32_e32 v5, s27, v2
	v_mov_b32_e32 v8, s7
	v_add_co_u32_e32 v5, vcc, s4, v5
	v_addc_co_u32_e32 v8, vcc, 0, v8, vcc
	v_cmp_gt_u32_e32 vcc, s27, v2
	v_cndmask_b32_e32 v3, v8, v3, vcc
	v_cndmask_b32_e32 v2, v5, v4, vcc
	global_load_ubyte v9, v[2:3], off
.LBB21_12:
	s_or_b64 exec, exec, s[0:1]
.LBB21_13:
	v_lshlrev_b32_e32 v8, 2, v0
	v_min_u32_e32 v3, s17, v8
	v_sub_u32_e64 v2, v3, s28 clamp
	v_min_u32_e32 v4, s27, v3
	v_cmp_lt_u32_e32 vcc, v2, v4
	s_waitcnt vmcnt(0)
	ds_write_b8 v0, v1
	ds_write_b8 v0, v6 offset:256
	ds_write_b8 v0, v7 offset:512
	;; [unrolled: 1-line block ×3, first 2 shown]
	s_waitcnt lgkmcnt(0)
	s_barrier
	s_and_saveexec_b64 s[0:1], vcc
	s_cbranch_execz .LBB21_17
; %bb.14:
	v_add_u32_e32 v5, s27, v3
	s_mov_b64 s[2:3], 0
.LBB21_15:                              ; =>This Inner Loop Header: Depth=1
	v_add_u32_e32 v10, v4, v2
	v_lshrrev_b32_e32 v10, 1, v10
	v_xad_u32 v11, v10, -1, v5
	ds_read_u8 v12, v10
	ds_read_u8 v11, v11
	v_add_u32_e32 v13, 1, v10
	s_waitcnt lgkmcnt(1)
	v_and_b32_e32 v12, s19, v12
	s_waitcnt lgkmcnt(0)
	v_and_b32_e32 v11, s19, v11
	v_cmp_gt_u16_sdwa vcc, v12, v11 src0_sel:BYTE_0 src1_sel:BYTE_0
	v_cndmask_b32_e32 v4, v4, v10, vcc
	v_cndmask_b32_e32 v2, v13, v2, vcc
	v_cmp_ge_u32_e32 vcc, v2, v4
	s_or_b64 s[2:3], vcc, s[2:3]
	s_andn2_b64 exec, exec, s[2:3]
	s_cbranch_execnz .LBB21_15
; %bb.16:
	s_or_b64 exec, exec, s[2:3]
.LBB21_17:
	s_or_b64 exec, exec, s[0:1]
	v_sub_u32_e32 v3, v3, v2
	v_add_u32_e32 v3, s27, v3
	v_cmp_ge_u32_e32 vcc, s27, v2
	v_cmp_ge_u32_e64 s[0:1], s17, v3
	s_or_b64 s[0:1], vcc, s[0:1]
                                        ; implicit-def: $vgpr10
                                        ; implicit-def: $vgpr11
                                        ; implicit-def: $vgpr12
                                        ; implicit-def: $vgpr13
	s_and_saveexec_b64 s[6:7], s[0:1]
	s_cbranch_execz .LBB21_23
; %bb.18:
	v_cmp_gt_u32_e32 vcc, s27, v2
                                        ; implicit-def: $vgpr1
	s_and_saveexec_b64 s[0:1], vcc
	s_cbranch_execz .LBB21_20
; %bb.19:
	ds_read_u8 v1, v2
.LBB21_20:
	s_or_b64 exec, exec, s[0:1]
	v_cmp_le_u32_e64 s[0:1], s17, v3
	v_cmp_gt_u32_e64 s[2:3], s17, v3
                                        ; implicit-def: $vgpr4
	s_and_saveexec_b64 s[4:5], s[2:3]
	s_cbranch_execz .LBB21_22
; %bb.21:
	ds_read_u8 v4, v3
.LBB21_22:
	s_or_b64 exec, exec, s[4:5]
	s_waitcnt lgkmcnt(0)
	v_and_b32_e32 v5, s19, v4
	v_and_b32_e32 v6, s19, v1
	v_cmp_le_u16_sdwa s[2:3], v6, v5 src0_sel:BYTE_0 src1_sel:BYTE_0
	s_and_b64 s[2:3], vcc, s[2:3]
	s_or_b64 vcc, s[0:1], s[2:3]
	v_mov_b32_e32 v5, s17
	v_mov_b32_e32 v6, s27
	v_cndmask_b32_e32 v13, v3, v2, vcc
	v_cndmask_b32_e32 v7, v5, v6, vcc
	v_add_u32_e32 v9, 1, v13
	v_add_u32_e32 v7, -1, v7
	v_min_u32_e32 v7, v9, v7
	ds_read_u8 v7, v7
	v_cndmask_b32_e32 v3, v9, v3, vcc
	v_cndmask_b32_e32 v2, v2, v9, vcc
	v_cmp_gt_u32_e64 s[2:3], s27, v2
	v_cmp_le_u32_e64 s[0:1], s17, v3
	s_waitcnt lgkmcnt(0)
	v_cndmask_b32_e32 v10, v7, v4, vcc
	v_cndmask_b32_e32 v7, v1, v7, vcc
	v_and_b32_e32 v9, s19, v10
	v_and_b32_e32 v11, s19, v7
	v_cmp_le_u16_sdwa s[4:5], v11, v9 src0_sel:BYTE_0 src1_sel:BYTE_0
	s_and_b64 s[2:3], s[2:3], s[4:5]
	s_or_b64 s[0:1], s[0:1], s[2:3]
	v_cndmask_b32_e64 v12, v3, v2, s[0:1]
	v_cndmask_b32_e64 v9, v5, v6, s[0:1]
	v_add_u32_e32 v11, 1, v12
	v_add_u32_e32 v9, -1, v9
	v_min_u32_e32 v9, v11, v9
	ds_read_u8 v9, v9
	v_cndmask_b32_e64 v3, v11, v3, s[0:1]
	v_cndmask_b32_e64 v2, v2, v11, s[0:1]
	v_cmp_gt_u32_e64 s[4:5], s27, v2
	v_cmp_le_u32_e64 s[2:3], s17, v3
	s_waitcnt lgkmcnt(0)
	v_cndmask_b32_e64 v14, v9, v10, s[0:1]
	v_cndmask_b32_e64 v9, v7, v9, s[0:1]
	v_and_b32_e32 v11, s19, v14
	v_and_b32_e32 v15, s19, v9
	v_cmp_le_u16_sdwa s[8:9], v15, v11 src0_sel:BYTE_0 src1_sel:BYTE_0
	s_and_b64 s[4:5], s[4:5], s[8:9]
	s_or_b64 s[2:3], s[2:3], s[4:5]
	v_cndmask_b32_e64 v11, v3, v2, s[2:3]
	v_cndmask_b32_e64 v5, v5, v6, s[2:3]
	v_add_u32_e32 v15, 1, v11
	v_add_u32_e32 v5, -1, v5
	v_min_u32_e32 v5, v15, v5
	ds_read_u8 v5, v5
	v_cndmask_b32_e32 v1, v4, v1, vcc
	v_cndmask_b32_e64 v6, v10, v7, s[0:1]
	v_cndmask_b32_e64 v7, v14, v9, s[2:3]
	;; [unrolled: 1-line block ×3, first 2 shown]
	s_waitcnt lgkmcnt(0)
	v_cndmask_b32_e64 v4, v5, v14, s[2:3]
	v_cndmask_b32_e64 v5, v9, v5, s[2:3]
	v_and_b32_e32 v9, s19, v4
	v_and_b32_e32 v10, s19, v5
	v_cndmask_b32_e64 v3, v15, v3, s[2:3]
	v_cmp_gt_u32_e64 s[0:1], s27, v2
	v_cmp_le_u16_sdwa s[2:3], v10, v9 src0_sel:BYTE_0 src1_sel:BYTE_0
	v_cmp_le_u32_e32 vcc, s17, v3
	s_and_b64 s[0:1], s[0:1], s[2:3]
	s_or_b64 vcc, vcc, s[0:1]
	v_cndmask_b32_e32 v10, v3, v2, vcc
	v_cndmask_b32_e32 v9, v4, v5, vcc
.LBB21_23:
	s_or_b64 exec, exec, s[6:7]
	s_lshl_b64 s[0:1], s[22:23], 3
	s_add_u32 s19, s12, s0
	s_addc_u32 s26, s13, s1
	s_lshl_b64 s[0:1], s[24:25], 3
	s_add_u32 s29, s12, s0
	v_cndmask_b32_e64 v2, 0, 1, s[20:21]
	s_addc_u32 s30, s13, s1
	v_cmp_gt_u32_e64 s[4:5], s27, v0
	v_cmp_ne_u32_e64 s[0:1], 1, v2
	s_andn2_b64 vcc, exec, s[20:21]
	v_cmp_le_u32_e64 s[2:3], s27, v0
	s_barrier
	s_cbranch_vccnz .LBB21_25
; %bb.24:
	v_subrev_u32_e32 v2, s27, v0
	v_mov_b32_e32 v3, 0
	v_lshlrev_b64 v[4:5], 3, v[2:3]
	v_mov_b32_e32 v2, s30
	v_add_co_u32_e32 v4, vcc, s29, v4
	v_addc_co_u32_e32 v2, vcc, v2, v5, vcc
	v_lshlrev_b32_e32 v20, 3, v0
	v_mov_b32_e32 v5, s26
	v_add_co_u32_e32 v21, vcc, s19, v20
	v_addc_co_u32_e32 v22, vcc, 0, v5, vcc
	v_cndmask_b32_e64 v5, v2, v22, s[4:5]
	v_cndmask_b32_e64 v4, v4, v21, s[4:5]
	v_or_b32_e32 v16, 0x100, v0
	s_movk_i32 s4, 0x800
	v_add_co_u32_e32 v17, vcc, s4, v21
	v_subrev_u32_e32 v2, s27, v16
	v_addc_co_u32_e32 v18, vcc, 0, v22, vcc
	v_lshlrev_b64 v[14:15], 3, v[2:3]
	v_mov_b32_e32 v2, s30
	v_add_co_u32_e32 v14, vcc, s29, v14
	v_addc_co_u32_e32 v2, vcc, v2, v15, vcc
	v_cmp_gt_u32_e32 vcc, s27, v16
	v_cndmask_b32_e32 v15, v2, v18, vcc
	v_or_b32_e32 v18, 0x200, v0
	s_movk_i32 s4, 0x1000
	v_cndmask_b32_e32 v14, v14, v17, vcc
	v_add_co_u32_e32 v19, vcc, s4, v21
	v_subrev_u32_e32 v2, s27, v18
	global_load_dwordx2 v[16:17], v[14:15], off
	v_addc_co_u32_e32 v23, vcc, 0, v22, vcc
	v_lshlrev_b64 v[14:15], 3, v[2:3]
	v_mov_b32_e32 v2, s30
	v_add_co_u32_e32 v14, vcc, s29, v14
	v_addc_co_u32_e32 v2, vcc, v2, v15, vcc
	v_cmp_gt_u32_e32 vcc, s27, v18
	global_load_dwordx2 v[4:5], v[4:5], off
	v_cndmask_b32_e32 v15, v2, v23, vcc
	v_cndmask_b32_e32 v14, v14, v19, vcc
	global_load_dwordx2 v[18:19], v[14:15], off
	v_or_b32_e32 v15, 0x300, v0
	s_movk_i32 s4, 0x1800
	v_add_co_u32_e32 v21, vcc, s4, v21
	v_subrev_u32_e32 v2, s27, v15
	v_addc_co_u32_e32 v22, vcc, 0, v22, vcc
	v_lshlrev_b64 v[2:3], 3, v[2:3]
	v_mov_b32_e32 v23, s30
	v_add_co_u32_e32 v2, vcc, s29, v2
	v_addc_co_u32_e32 v3, vcc, v23, v3, vcc
	v_cmp_gt_u32_e32 vcc, s27, v15
	v_or_b32_e32 v14, 0x1800, v20
	v_cndmask_b32_e32 v3, v3, v22, vcc
	v_cndmask_b32_e32 v2, v2, v21, vcc
	s_mov_b64 s[4:5], -1
	s_waitcnt vmcnt(1)
	ds_write2st64_b64 v20, v[4:5], v[16:17] offset1:4
	s_waitcnt vmcnt(0)
	ds_write_b64 v20, v[18:19] offset:4096
	s_cbranch_execz .LBB21_26
	s_branch .LBB21_47
.LBB21_25:
	s_mov_b64 s[4:5], 0
                                        ; implicit-def: $vgpr14
                                        ; implicit-def: $vgpr2_vgpr3
.LBB21_26:
	s_mov_b64 s[6:7], 0
                                        ; implicit-def: $vgpr2_vgpr3
	s_and_saveexec_b64 s[8:9], s[2:3]
	s_xor_b64 s[2:3], exec, s[8:9]
	s_cbranch_execz .LBB21_51
; %bb.27:
	v_subrev_u32_e32 v4, s27, v0
	v_cmp_gt_u32_e32 vcc, s28, v4
                                        ; implicit-def: $vgpr2_vgpr3
	s_and_saveexec_b64 s[8:9], vcc
	s_xor_b64 s[8:9], exec, s[8:9]
; %bb.28:
	v_mov_b32_e32 v5, 0
	v_lshlrev_b64 v[2:3], 3, v[4:5]
	v_mov_b32_e32 v4, s30
	v_add_co_u32_e32 v2, vcc, s29, v2
	s_mov_b64 s[6:7], exec
	v_addc_co_u32_e32 v3, vcc, v4, v3, vcc
; %bb.29:
	s_or_b64 exec, exec, s[8:9]
	s_and_b64 s[6:7], s[6:7], exec
	s_andn2_saveexec_b64 s[2:3], s[2:3]
	s_cbranch_execnz .LBB21_52
.LBB21_30:
	s_or_b64 exec, exec, s[2:3]
	v_mad_u32_u24 v14, v0, 7, v0
	s_and_saveexec_b64 s[2:3], s[6:7]
	s_cbranch_execz .LBB21_32
.LBB21_31:
	global_load_dwordx2 v[2:3], v[2:3], off
	s_waitcnt vmcnt(0)
	ds_write_b64 v14, v[2:3]
.LBB21_32:
	s_or_b64 exec, exec, s[2:3]
	v_or_b32_e32 v2, 0x100, v0
	v_cmp_le_u32_e32 vcc, s27, v2
	s_mov_b64 s[6:7], -1
	v_pk_mov_b32 v[4:5], s[22:23], s[22:23] op_sel:[0,1]
	s_and_saveexec_b64 s[2:3], vcc
; %bb.33:
	v_subrev_u32_e32 v2, s27, v2
	v_cmp_gt_u32_e32 vcc, s28, v2
	v_pk_mov_b32 v[4:5], s[24:25], s[24:25] op_sel:[0,1]
	s_orn2_b64 s[6:7], vcc, exec
; %bb.34:
	s_or_b64 exec, exec, s[2:3]
	s_and_saveexec_b64 s[2:3], s[6:7]
	s_cbranch_execz .LBB21_36
; %bb.35:
	v_lshlrev_b64 v[4:5], 3, v[4:5]
	v_mov_b32_e32 v3, s13
	v_add_co_u32_e32 v4, vcc, s12, v4
	v_addc_co_u32_e32 v5, vcc, v3, v5, vcc
	v_mov_b32_e32 v3, 0
	v_lshlrev_b64 v[2:3], 3, v[2:3]
	v_add_co_u32_e32 v2, vcc, v4, v2
	v_addc_co_u32_e32 v3, vcc, v5, v3, vcc
	global_load_dwordx2 v[2:3], v[2:3], off
	s_waitcnt vmcnt(0)
	ds_write_b64 v14, v[2:3] offset:2048
.LBB21_36:
	s_or_b64 exec, exec, s[2:3]
	v_or_b32_e32 v2, 0x200, v0
	v_cmp_le_u32_e32 vcc, s27, v2
	s_mov_b64 s[6:7], -1
	v_pk_mov_b32 v[4:5], s[22:23], s[22:23] op_sel:[0,1]
	s_and_saveexec_b64 s[2:3], vcc
; %bb.37:
	v_subrev_u32_e32 v2, s27, v2
	v_cmp_gt_u32_e32 vcc, s28, v2
	v_pk_mov_b32 v[4:5], s[24:25], s[24:25] op_sel:[0,1]
	s_orn2_b64 s[6:7], vcc, exec
; %bb.38:
	s_or_b64 exec, exec, s[2:3]
	s_and_saveexec_b64 s[2:3], s[6:7]
	s_cbranch_execz .LBB21_40
; %bb.39:
	v_lshlrev_b64 v[4:5], 3, v[4:5]
	v_mov_b32_e32 v3, s13
	v_add_co_u32_e32 v4, vcc, s12, v4
	v_addc_co_u32_e32 v5, vcc, v3, v5, vcc
	v_mov_b32_e32 v3, 0
	v_lshlrev_b64 v[2:3], 3, v[2:3]
	v_add_co_u32_e32 v2, vcc, v4, v2
	v_addc_co_u32_e32 v3, vcc, v5, v3, vcc
	global_load_dwordx2 v[2:3], v[2:3], off
	s_waitcnt vmcnt(0)
	ds_write_b64 v14, v[2:3] offset:4096
.LBB21_40:
	s_or_b64 exec, exec, s[2:3]
	v_or_b32_e32 v4, 0x300, v0
	v_cmp_le_u32_e32 vcc, s27, v4
                                        ; implicit-def: $vgpr14
                                        ; implicit-def: $vgpr2_vgpr3
	s_and_saveexec_b64 s[2:3], vcc
	s_xor_b64 s[2:3], exec, s[2:3]
	s_cbranch_execz .LBB21_44
; %bb.41:
	v_subrev_u32_e32 v4, s27, v4
	v_cmp_gt_u32_e32 vcc, s28, v4
	s_mov_b64 s[8:9], s[4:5]
                                        ; implicit-def: $vgpr14
                                        ; implicit-def: $vgpr2_vgpr3
	s_and_saveexec_b64 s[6:7], vcc
; %bb.42:
	v_mul_u32_u24_e32 v2, 7, v0
	s_movk_i32 s8, 0x1800
	v_mov_b32_e32 v5, 0
	v_add3_u32 v14, v0, v2, s8
	v_lshlrev_b64 v[2:3], 3, v[4:5]
	v_mov_b32_e32 v4, s30
	v_add_co_u32_e32 v2, vcc, s29, v2
	v_addc_co_u32_e32 v3, vcc, v4, v3, vcc
	s_or_b64 s[8:9], s[4:5], exec
; %bb.43:
	s_or_b64 exec, exec, s[6:7]
	s_andn2_b64 s[4:5], s[4:5], exec
	s_and_b64 s[6:7], s[8:9], exec
	s_or_b64 s[4:5], s[4:5], s[6:7]
                                        ; implicit-def: $vgpr4
.LBB21_44:
	s_andn2_saveexec_b64 s[2:3], s[2:3]
; %bb.45:
	v_lshlrev_b32_e32 v2, 3, v4
	v_mov_b32_e32 v3, s26
	v_add_co_u32_e32 v2, vcc, s19, v2
	v_mul_u32_u24_e32 v4, 7, v0
	s_movk_i32 s6, 0x1800
	v_addc_co_u32_e32 v3, vcc, 0, v3, vcc
	v_add3_u32 v14, v0, v4, s6
	s_or_b64 s[4:5], s[4:5], exec
; %bb.46:
	s_or_b64 exec, exec, s[2:3]
.LBB21_47:
	s_and_saveexec_b64 s[2:3], s[4:5]
	s_cbranch_execz .LBB21_49
; %bb.48:
	global_load_dwordx2 v[2:3], v[2:3], off
	s_waitcnt vmcnt(0)
	ds_write_b64 v14, v[2:3]
.LBB21_49:
	s_or_b64 exec, exec, s[2:3]
	s_and_b64 vcc, exec, s[0:1]
	v_add_u32_e32 v2, s18, v8
	s_waitcnt lgkmcnt(0)
	s_barrier
	s_cbranch_vccnz .LBB21_53
; %bb.50:
	v_lshlrev_b32_e32 v14, 3, v13
	v_lshlrev_b32_e32 v16, 3, v12
	;; [unrolled: 1-line block ×3, first 2 shown]
	ds_read_b64 v[14:15], v14
	ds_read_b64 v[16:17], v16
	;; [unrolled: 1-line block ×3, first 2 shown]
	v_mov_b32_e32 v3, 0
	v_lshlrev_b64 v[4:5], 3, v[2:3]
	v_mov_b32_e32 v20, s15
	v_add_co_u32_e32 v4, vcc, s14, v4
	v_addc_co_u32_e32 v5, vcc, v20, v5, vcc
	s_mov_b64 s[0:1], -1
	s_waitcnt lgkmcnt(1)
	global_store_dwordx4 v[4:5], v[14:17], off
	s_waitcnt lgkmcnt(0)
	global_store_dwordx2 v[4:5], v[18:19], off offset:16
	s_cbranch_execz .LBB21_54
	s_branch .LBB21_63
.LBB21_51:
	s_andn2_saveexec_b64 s[2:3], s[2:3]
	s_cbranch_execz .LBB21_30
.LBB21_52:
	v_lshlrev_b32_e32 v2, 3, v0
	v_mov_b32_e32 v3, s26
	v_add_co_u32_e32 v2, vcc, s19, v2
	v_addc_co_u32_e32 v3, vcc, 0, v3, vcc
	s_or_b64 s[6:7], s[6:7], exec
	s_or_b64 exec, exec, s[2:3]
	v_mad_u32_u24 v14, v0, 7, v0
	s_and_saveexec_b64 s[2:3], s[6:7]
	s_cbranch_execnz .LBB21_31
	s_branch .LBB21_32
.LBB21_53:
	s_mov_b64 s[0:1], 0
.LBB21_54:
	v_cmp_gt_u32_e32 vcc, s17, v8
	s_and_saveexec_b64 s[2:3], vcc
	s_cbranch_execz .LBB21_56
; %bb.55:
	v_lshlrev_b32_e32 v13, 3, v13
	ds_read_b64 v[14:15], v13
	v_mov_b32_e32 v3, 0
	v_lshlrev_b64 v[4:5], 3, v[2:3]
	v_mov_b32_e32 v3, s15
	v_add_co_u32_e32 v4, vcc, s14, v4
	v_addc_co_u32_e32 v5, vcc, v3, v5, vcc
	s_waitcnt lgkmcnt(0)
	global_store_dwordx2 v[4:5], v[14:15], off
.LBB21_56:
	s_or_b64 exec, exec, s[2:3]
	v_or_b32_e32 v3, 1, v8
	v_cmp_gt_u32_e32 vcc, s17, v3
	s_and_saveexec_b64 s[2:3], vcc
	s_cbranch_execz .LBB21_58
; %bb.57:
	v_lshlrev_b32_e32 v12, 3, v12
	ds_read_b64 v[12:13], v12
	v_mov_b32_e32 v3, 0
	v_lshlrev_b64 v[4:5], 3, v[2:3]
	v_mov_b32_e32 v3, s15
	v_add_co_u32_e32 v4, vcc, s14, v4
	v_addc_co_u32_e32 v5, vcc, v3, v5, vcc
	s_waitcnt lgkmcnt(0)
	global_store_dwordx2 v[4:5], v[12:13], off offset:8
.LBB21_58:
	s_or_b64 exec, exec, s[2:3]
	v_or_b32_e32 v3, 2, v8
	v_cmp_gt_u32_e32 vcc, s17, v3
	s_and_saveexec_b64 s[2:3], vcc
	s_cbranch_execz .LBB21_60
; %bb.59:
	v_lshlrev_b32_e32 v11, 3, v11
	ds_read_b64 v[12:13], v11
	v_mov_b32_e32 v3, 0
	v_lshlrev_b64 v[4:5], 3, v[2:3]
	v_mov_b32_e32 v3, s15
	v_add_co_u32_e32 v4, vcc, s14, v4
	v_addc_co_u32_e32 v5, vcc, v3, v5, vcc
	s_waitcnt lgkmcnt(0)
	global_store_dwordx2 v[4:5], v[12:13], off offset:16
.LBB21_60:
	s_or_b64 exec, exec, s[2:3]
	v_or_b32_e32 v3, 3, v8
	v_cmp_gt_u32_e32 vcc, s17, v3
	s_and_saveexec_b64 s[2:3], vcc
; %bb.61:
	v_mov_b32_e32 v3, 0
	s_or_b64 s[0:1], s[0:1], exec
; %bb.62:
	s_or_b64 exec, exec, s[2:3]
.LBB21_63:
	s_and_saveexec_b64 s[2:3], s[0:1]
	s_cbranch_execz .LBB21_65
; %bb.64:
	v_lshlrev_b32_e32 v4, 3, v10
	ds_read_b64 v[4:5], v4
	v_lshlrev_b64 v[2:3], 3, v[2:3]
	v_mov_b32_e32 v11, s15
	v_add_co_u32_e32 v2, vcc, s14, v2
	v_addc_co_u32_e32 v3, vcc, v11, v3, vcc
	s_waitcnt lgkmcnt(0)
	global_store_dwordx2 v[2:3], v[4:5], off offset:24
.LBB21_65:
	s_or_b64 exec, exec, s[2:3]
	v_lshlrev_b16_e32 v3, 8, v6
	v_lshrrev_b32_e32 v2, 3, v0
	v_or_b32_sdwa v1, v1, v3 dst_sel:DWORD dst_unused:UNUSED_PAD src0_sel:BYTE_0 src1_sel:DWORD
	v_lshlrev_b16_e32 v3, 8, v9
	v_and_b32_e32 v2, 28, v2
	v_or_b32_sdwa v3, v7, v3 dst_sel:WORD_1 dst_unused:UNUSED_PAD src0_sel:BYTE_0 src1_sel:DWORD
	v_add_u32_e32 v2, v2, v8
	v_or_b32_sdwa v1, v1, v3 dst_sel:DWORD dst_unused:UNUSED_PAD src0_sel:WORD_0 src1_sel:DWORD
	s_barrier
	s_barrier
	ds_write_b32 v2, v1
	v_lshrrev_b32_e32 v1, 5, v0
	v_or_b32_e32 v5, 0x100, v0
	v_and_b32_e32 v6, 4, v1
	v_lshrrev_b32_e32 v1, 5, v5
	v_or_b32_e32 v4, 0x200, v0
	v_and_b32_e32 v7, 12, v1
	v_lshrrev_b32_e32 v1, 5, v4
	s_add_u32 s0, s10, s18
	v_and_b32_e32 v9, 20, v1
	v_or_b32_e32 v1, 0x300, v0
	s_addc_u32 s1, s11, 0
	v_lshrrev_b32_e32 v2, 5, v1
	v_and_b32_e32 v10, 28, v2
	v_mov_b32_e32 v3, s1
	v_add_co_u32_e32 v2, vcc, s0, v0
	v_addc_co_u32_e32 v3, vcc, 0, v3, vcc
	s_and_b64 vcc, exec, s[20:21]
	v_add_u32_e32 v8, v0, v7
	v_add_u32_e32 v9, v0, v9
	;; [unrolled: 1-line block ×3, first 2 shown]
	s_waitcnt lgkmcnt(0)
	s_cbranch_vccz .LBB21_67
; %bb.66:
	v_add_u32_e32 v7, v0, v6
	s_barrier
	ds_read_u8 v11, v7
	ds_read_u8 v12, v8 offset:256
	ds_read_u8 v13, v9 offset:512
	;; [unrolled: 1-line block ×3, first 2 shown]
	s_waitcnt lgkmcnt(3)
	global_store_byte v[2:3], v11, off
	s_waitcnt lgkmcnt(2)
	global_store_byte v[2:3], v12, off offset:256
	s_waitcnt lgkmcnt(1)
	global_store_byte v[2:3], v13, off offset:512
	s_mov_b64 s[0:1], -1
	s_cbranch_execz .LBB21_68
	s_branch .LBB21_73
.LBB21_67:
	s_mov_b64 s[0:1], 0
                                        ; implicit-def: $vgpr7
.LBB21_68:
	s_barrier
	s_waitcnt lgkmcnt(0)
	ds_read_u8 v11, v8 offset:256
	ds_read_u8 v8, v9 offset:512
	;; [unrolled: 1-line block ×3, first 2 shown]
	s_sub_i32 s2, s16, s18
	v_cmp_gt_u32_e32 vcc, s2, v0
	s_and_saveexec_b64 s[0:1], vcc
	s_cbranch_execz .LBB21_76
; %bb.69:
	v_add_u32_e32 v0, v0, v6
	ds_read_u8 v0, v0
	s_waitcnt lgkmcnt(0)
	global_store_byte v[2:3], v0, off
	s_or_b64 exec, exec, s[0:1]
	v_cmp_gt_u32_e32 vcc, s2, v5
	s_and_saveexec_b64 s[0:1], vcc
	s_cbranch_execnz .LBB21_77
.LBB21_70:
	s_or_b64 exec, exec, s[0:1]
	v_cmp_gt_u32_e32 vcc, s2, v4
	s_and_saveexec_b64 s[0:1], vcc
	s_cbranch_execz .LBB21_72
.LBB21_71:
	s_waitcnt lgkmcnt(1)
	global_store_byte v[2:3], v8, off offset:512
.LBB21_72:
	s_or_b64 exec, exec, s[0:1]
	v_cmp_gt_u32_e64 s[0:1], s2, v1
.LBB21_73:
	s_and_saveexec_b64 s[2:3], s[0:1]
	s_cbranch_execz .LBB21_75
; %bb.74:
	s_waitcnt lgkmcnt(0)
	global_store_byte v[2:3], v7, off offset:768
.LBB21_75:
	s_endpgm
.LBB21_76:
	s_or_b64 exec, exec, s[0:1]
	v_cmp_gt_u32_e32 vcc, s2, v5
	s_and_saveexec_b64 s[0:1], vcc
	s_cbranch_execz .LBB21_70
.LBB21_77:
	s_waitcnt lgkmcnt(2)
	global_store_byte v[2:3], v11, off offset:256
	s_or_b64 exec, exec, s[0:1]
	v_cmp_gt_u32_e32 vcc, s2, v4
	s_and_saveexec_b64 s[0:1], vcc
	s_cbranch_execnz .LBB21_71
	s_branch .LBB21_72
	.section	.rodata,"a",@progbits
	.p2align	6, 0x0
	.amdhsa_kernel _ZN7rocprim17ROCPRIM_304000_NS6detail35device_block_merge_mergepath_kernelINS1_37wrapped_merge_sort_block_merge_configINS0_14default_configEhN2at4cuda3cub6detail10OpaqueTypeILi8EEEEEPhSC_PSA_SD_jNS1_19radix_merge_compareILb0ELb1EhNS0_19identity_decomposerEEEEEvT0_T1_T2_T3_T4_SL_jT5_PKSL_NS1_7vsmem_tE
		.amdhsa_group_segment_fixed_size 8208
		.amdhsa_private_segment_fixed_size 0
		.amdhsa_kernarg_size 320
		.amdhsa_user_sgpr_count 6
		.amdhsa_user_sgpr_private_segment_buffer 1
		.amdhsa_user_sgpr_dispatch_ptr 0
		.amdhsa_user_sgpr_queue_ptr 0
		.amdhsa_user_sgpr_kernarg_segment_ptr 1
		.amdhsa_user_sgpr_dispatch_id 0
		.amdhsa_user_sgpr_flat_scratch_init 0
		.amdhsa_user_sgpr_kernarg_preload_length 0
		.amdhsa_user_sgpr_kernarg_preload_offset 0
		.amdhsa_user_sgpr_private_segment_size 0
		.amdhsa_uses_dynamic_stack 0
		.amdhsa_system_sgpr_private_segment_wavefront_offset 0
		.amdhsa_system_sgpr_workgroup_id_x 1
		.amdhsa_system_sgpr_workgroup_id_y 1
		.amdhsa_system_sgpr_workgroup_id_z 1
		.amdhsa_system_sgpr_workgroup_info 0
		.amdhsa_system_vgpr_workitem_id 0
		.amdhsa_next_free_vgpr 24
		.amdhsa_next_free_sgpr 31
		.amdhsa_accum_offset 24
		.amdhsa_reserve_vcc 1
		.amdhsa_reserve_flat_scratch 0
		.amdhsa_float_round_mode_32 0
		.amdhsa_float_round_mode_16_64 0
		.amdhsa_float_denorm_mode_32 3
		.amdhsa_float_denorm_mode_16_64 3
		.amdhsa_dx10_clamp 1
		.amdhsa_ieee_mode 1
		.amdhsa_fp16_overflow 0
		.amdhsa_tg_split 0
		.amdhsa_exception_fp_ieee_invalid_op 0
		.amdhsa_exception_fp_denorm_src 0
		.amdhsa_exception_fp_ieee_div_zero 0
		.amdhsa_exception_fp_ieee_overflow 0
		.amdhsa_exception_fp_ieee_underflow 0
		.amdhsa_exception_fp_ieee_inexact 0
		.amdhsa_exception_int_div_zero 0
	.end_amdhsa_kernel
	.section	.text._ZN7rocprim17ROCPRIM_304000_NS6detail35device_block_merge_mergepath_kernelINS1_37wrapped_merge_sort_block_merge_configINS0_14default_configEhN2at4cuda3cub6detail10OpaqueTypeILi8EEEEEPhSC_PSA_SD_jNS1_19radix_merge_compareILb0ELb1EhNS0_19identity_decomposerEEEEEvT0_T1_T2_T3_T4_SL_jT5_PKSL_NS1_7vsmem_tE,"axG",@progbits,_ZN7rocprim17ROCPRIM_304000_NS6detail35device_block_merge_mergepath_kernelINS1_37wrapped_merge_sort_block_merge_configINS0_14default_configEhN2at4cuda3cub6detail10OpaqueTypeILi8EEEEEPhSC_PSA_SD_jNS1_19radix_merge_compareILb0ELb1EhNS0_19identity_decomposerEEEEEvT0_T1_T2_T3_T4_SL_jT5_PKSL_NS1_7vsmem_tE,comdat
.Lfunc_end21:
	.size	_ZN7rocprim17ROCPRIM_304000_NS6detail35device_block_merge_mergepath_kernelINS1_37wrapped_merge_sort_block_merge_configINS0_14default_configEhN2at4cuda3cub6detail10OpaqueTypeILi8EEEEEPhSC_PSA_SD_jNS1_19radix_merge_compareILb0ELb1EhNS0_19identity_decomposerEEEEEvT0_T1_T2_T3_T4_SL_jT5_PKSL_NS1_7vsmem_tE, .Lfunc_end21-_ZN7rocprim17ROCPRIM_304000_NS6detail35device_block_merge_mergepath_kernelINS1_37wrapped_merge_sort_block_merge_configINS0_14default_configEhN2at4cuda3cub6detail10OpaqueTypeILi8EEEEEPhSC_PSA_SD_jNS1_19radix_merge_compareILb0ELb1EhNS0_19identity_decomposerEEEEEvT0_T1_T2_T3_T4_SL_jT5_PKSL_NS1_7vsmem_tE
                                        ; -- End function
	.section	.AMDGPU.csdata,"",@progbits
; Kernel info:
; codeLenInByte = 3300
; NumSgprs: 35
; NumVgprs: 24
; NumAgprs: 0
; TotalNumVgprs: 24
; ScratchSize: 0
; MemoryBound: 1
; FloatMode: 240
; IeeeMode: 1
; LDSByteSize: 8208 bytes/workgroup (compile time only)
; SGPRBlocks: 4
; VGPRBlocks: 2
; NumSGPRsForWavesPerEU: 35
; NumVGPRsForWavesPerEU: 24
; AccumOffset: 24
; Occupancy: 7
; WaveLimiterHint : 1
; COMPUTE_PGM_RSRC2:SCRATCH_EN: 0
; COMPUTE_PGM_RSRC2:USER_SGPR: 6
; COMPUTE_PGM_RSRC2:TRAP_HANDLER: 0
; COMPUTE_PGM_RSRC2:TGID_X_EN: 1
; COMPUTE_PGM_RSRC2:TGID_Y_EN: 1
; COMPUTE_PGM_RSRC2:TGID_Z_EN: 1
; COMPUTE_PGM_RSRC2:TIDIG_COMP_CNT: 0
; COMPUTE_PGM_RSRC3_GFX90A:ACCUM_OFFSET: 5
; COMPUTE_PGM_RSRC3_GFX90A:TG_SPLIT: 0
	.section	.text._ZN7rocprim17ROCPRIM_304000_NS6detail33device_block_merge_oddeven_kernelINS1_37wrapped_merge_sort_block_merge_configINS0_14default_configEhN2at4cuda3cub6detail10OpaqueTypeILi8EEEEEPhSC_PSA_SD_jNS1_19radix_merge_compareILb0ELb1EhNS0_19identity_decomposerEEEEEvT0_T1_T2_T3_T4_SL_T5_,"axG",@progbits,_ZN7rocprim17ROCPRIM_304000_NS6detail33device_block_merge_oddeven_kernelINS1_37wrapped_merge_sort_block_merge_configINS0_14default_configEhN2at4cuda3cub6detail10OpaqueTypeILi8EEEEEPhSC_PSA_SD_jNS1_19radix_merge_compareILb0ELb1EhNS0_19identity_decomposerEEEEEvT0_T1_T2_T3_T4_SL_T5_,comdat
	.protected	_ZN7rocprim17ROCPRIM_304000_NS6detail33device_block_merge_oddeven_kernelINS1_37wrapped_merge_sort_block_merge_configINS0_14default_configEhN2at4cuda3cub6detail10OpaqueTypeILi8EEEEEPhSC_PSA_SD_jNS1_19radix_merge_compareILb0ELb1EhNS0_19identity_decomposerEEEEEvT0_T1_T2_T3_T4_SL_T5_ ; -- Begin function _ZN7rocprim17ROCPRIM_304000_NS6detail33device_block_merge_oddeven_kernelINS1_37wrapped_merge_sort_block_merge_configINS0_14default_configEhN2at4cuda3cub6detail10OpaqueTypeILi8EEEEEPhSC_PSA_SD_jNS1_19radix_merge_compareILb0ELb1EhNS0_19identity_decomposerEEEEEvT0_T1_T2_T3_T4_SL_T5_
	.globl	_ZN7rocprim17ROCPRIM_304000_NS6detail33device_block_merge_oddeven_kernelINS1_37wrapped_merge_sort_block_merge_configINS0_14default_configEhN2at4cuda3cub6detail10OpaqueTypeILi8EEEEEPhSC_PSA_SD_jNS1_19radix_merge_compareILb0ELb1EhNS0_19identity_decomposerEEEEEvT0_T1_T2_T3_T4_SL_T5_
	.p2align	8
	.type	_ZN7rocprim17ROCPRIM_304000_NS6detail33device_block_merge_oddeven_kernelINS1_37wrapped_merge_sort_block_merge_configINS0_14default_configEhN2at4cuda3cub6detail10OpaqueTypeILi8EEEEEPhSC_PSA_SD_jNS1_19radix_merge_compareILb0ELb1EhNS0_19identity_decomposerEEEEEvT0_T1_T2_T3_T4_SL_T5_,@function
_ZN7rocprim17ROCPRIM_304000_NS6detail33device_block_merge_oddeven_kernelINS1_37wrapped_merge_sort_block_merge_configINS0_14default_configEhN2at4cuda3cub6detail10OpaqueTypeILi8EEEEEPhSC_PSA_SD_jNS1_19radix_merge_compareILb0ELb1EhNS0_19identity_decomposerEEEEEvT0_T1_T2_T3_T4_SL_T5_: ; @_ZN7rocprim17ROCPRIM_304000_NS6detail33device_block_merge_oddeven_kernelINS1_37wrapped_merge_sort_block_merge_configINS0_14default_configEhN2at4cuda3cub6detail10OpaqueTypeILi8EEEEEPhSC_PSA_SD_jNS1_19radix_merge_compareILb0ELb1EhNS0_19identity_decomposerEEEEEvT0_T1_T2_T3_T4_SL_T5_
; %bb.0:
	s_load_dwordx4 s[16:19], s[4:5], 0x20
	s_waitcnt lgkmcnt(0)
	s_lshr_b32 s2, s16, 8
	s_cmp_lg_u32 s6, s2
	s_cselect_b64 s[0:1], -1, 0
	s_cmp_eq_u32 s6, s2
	s_cselect_b64 s[20:21], -1, 0
	s_lshl_b32 s22, s6, 8
	s_sub_i32 s2, s16, s22
	v_cmp_gt_u32_e64 s[2:3], s2, v0
	s_or_b64 s[0:1], s[0:1], s[2:3]
	s_and_saveexec_b64 s[8:9], s[0:1]
	s_cbranch_execz .LBB22_26
; %bb.1:
	s_load_dwordx8 s[8:15], s[4:5], 0x0
	s_mov_b32 s23, 0
	v_lshlrev_b32_e32 v1, 3, v0
	v_add_u32_e32 v4, s22, v0
	s_waitcnt lgkmcnt(0)
	s_add_u32 s0, s8, s22
	s_addc_u32 s1, s9, 0
	s_lshl_b64 s[4:5], s[22:23], 3
	s_add_u32 s4, s12, s4
	s_addc_u32 s5, s13, s5
	global_load_dwordx2 v[2:3], v1, s[4:5]
	global_load_ubyte v6, v0, s[0:1]
	s_lshr_b32 s0, s17, 8
	s_sub_i32 s1, 0, s0
	s_and_b32 s1, s6, s1
	s_and_b32 s0, s1, s0
	s_lshl_b32 s23, s1, 8
	s_sub_i32 s6, 0, s17
	s_cmp_eq_u32 s0, 0
	s_cselect_b64 s[0:1], -1, 0
	s_and_b64 s[4:5], s[0:1], exec
	s_cselect_b32 s19, s17, s6
	s_add_i32 s19, s19, s23
	s_cmp_lt_u32 s19, s16
	s_cbranch_scc1 .LBB22_6
; %bb.2:
	s_and_b64 vcc, exec, s[20:21]
	s_cbranch_vccz .LBB22_7
; %bb.3:
	v_cmp_gt_u32_e32 vcc, s16, v4
	s_mov_b64 s[6:7], 0
	s_mov_b64 s[4:5], 0
                                        ; implicit-def: $vgpr0_vgpr1
	s_and_saveexec_b64 s[12:13], vcc
	s_cbranch_execz .LBB22_5
; %bb.4:
	v_mov_b32_e32 v5, 0
	v_lshlrev_b64 v[0:1], 3, v[4:5]
	v_mov_b32_e32 v5, s15
	v_add_co_u32_e32 v0, vcc, s14, v0
	s_mov_b64 s[4:5], exec
	v_addc_co_u32_e32 v1, vcc, v5, v1, vcc
	s_waitcnt vmcnt(0)
	global_store_byte v4, v6, s[10:11]
.LBB22_5:
	s_or_b64 exec, exec, s[12:13]
	s_and_b64 vcc, exec, s[6:7]
	s_cbranch_vccnz .LBB22_8
	s_branch .LBB22_9
.LBB22_6:
	s_mov_b64 s[4:5], 0
                                        ; implicit-def: $vgpr0_vgpr1
	s_cbranch_execnz .LBB22_10
	s_branch .LBB22_24
.LBB22_7:
	s_mov_b64 s[4:5], 0
                                        ; implicit-def: $vgpr0_vgpr1
	s_cbranch_execz .LBB22_9
.LBB22_8:
	v_mov_b32_e32 v5, 0
	v_lshlrev_b64 v[0:1], 3, v[4:5]
	v_mov_b32_e32 v5, s15
	v_add_co_u32_e32 v0, vcc, s14, v0
	v_addc_co_u32_e32 v1, vcc, v5, v1, vcc
	s_or_b64 s[4:5], s[4:5], exec
	s_waitcnt vmcnt(0)
	global_store_byte v4, v6, s[10:11]
.LBB22_9:
	s_branch .LBB22_24
.LBB22_10:
	s_min_u32 s12, s19, s16
	s_add_i32 s6, s12, s17
	s_min_u32 s13, s6, s16
	s_min_u32 s6, s23, s12
	s_add_i32 s23, s23, s12
	v_subrev_u32_e32 v0, s23, v4
	v_add_u32_e32 v4, s6, v0
	s_and_b64 vcc, exec, s[20:21]
	s_cbranch_vccz .LBB22_18
; %bb.11:
                                        ; implicit-def: $vgpr0_vgpr1
	s_and_saveexec_b64 s[6:7], s[2:3]
	s_cbranch_execz .LBB22_17
; %bb.12:
	s_cmp_ge_u32 s19, s13
	v_mov_b32_e32 v0, s12
	s_cbranch_scc1 .LBB22_16
; %bb.13:
	s_waitcnt vmcnt(0)
	v_and_b32_e32 v1, s18, v6
	s_mov_b64 s[2:3], 0
	v_mov_b32_e32 v5, s13
	v_mov_b32_e32 v0, s12
.LBB22_14:                              ; =>This Inner Loop Header: Depth=1
	v_add_u32_e32 v7, v0, v5
	v_lshrrev_b32_e32 v7, 1, v7
	global_load_ubyte v8, v7, s[8:9]
	v_add_u32_e32 v9, 1, v7
	s_waitcnt vmcnt(0)
	v_and_b32_sdwa v8, v8, s18 dst_sel:DWORD dst_unused:UNUSED_PAD src0_sel:DWORD src1_sel:BYTE_0
	v_cmp_gt_u16_sdwa s[16:17], v1, v8 src0_sel:BYTE_0 src1_sel:DWORD
	v_cndmask_b32_e64 v10, 0, 1, s[16:17]
	v_cmp_le_u16_sdwa s[16:17], v8, v1 src0_sel:DWORD src1_sel:BYTE_0
	v_cndmask_b32_e64 v8, 0, 1, s[16:17]
	v_cndmask_b32_e64 v8, v8, v10, s[0:1]
	v_and_b32_e32 v8, 1, v8
	v_cmp_eq_u32_e32 vcc, 1, v8
	v_cndmask_b32_e32 v5, v7, v5, vcc
	v_cndmask_b32_e32 v0, v0, v9, vcc
	v_cmp_ge_u32_e32 vcc, v0, v5
	s_or_b64 s[2:3], vcc, s[2:3]
	s_andn2_b64 exec, exec, s[2:3]
	s_cbranch_execnz .LBB22_14
; %bb.15:
	s_or_b64 exec, exec, s[2:3]
.LBB22_16:
	v_add_u32_e32 v0, v0, v4
	v_mov_b32_e32 v1, 0
	s_waitcnt vmcnt(0)
	global_store_byte v0, v6, s[10:11]
	v_lshlrev_b64 v[0:1], 3, v[0:1]
	v_mov_b32_e32 v5, s15
	v_add_co_u32_e32 v0, vcc, s14, v0
	v_addc_co_u32_e32 v1, vcc, v5, v1, vcc
	s_or_b64 s[4:5], s[4:5], exec
.LBB22_17:
	s_or_b64 exec, exec, s[6:7]
	s_branch .LBB22_24
.LBB22_18:
                                        ; implicit-def: $vgpr0_vgpr1
	s_cbranch_execz .LBB22_24
; %bb.19:
	s_cmp_ge_u32 s19, s13
	v_mov_b32_e32 v0, s12
	s_cbranch_scc1 .LBB22_23
; %bb.20:
	s_waitcnt vmcnt(0)
	v_and_b32_e32 v1, s18, v6
	s_mov_b64 s[2:3], 0
	v_mov_b32_e32 v5, s13
	v_mov_b32_e32 v0, s12
.LBB22_21:                              ; =>This Inner Loop Header: Depth=1
	v_add_u32_e32 v7, v0, v5
	v_lshrrev_b32_e32 v7, 1, v7
	global_load_ubyte v8, v7, s[8:9]
	v_add_u32_e32 v9, 1, v7
	s_waitcnt vmcnt(0)
	v_and_b32_sdwa v8, v8, s18 dst_sel:DWORD dst_unused:UNUSED_PAD src0_sel:DWORD src1_sel:BYTE_0
	v_cmp_gt_u16_sdwa s[4:5], v1, v8 src0_sel:BYTE_0 src1_sel:DWORD
	v_cndmask_b32_e64 v10, 0, 1, s[4:5]
	v_cmp_le_u16_sdwa s[4:5], v8, v1 src0_sel:DWORD src1_sel:BYTE_0
	v_cndmask_b32_e64 v8, 0, 1, s[4:5]
	v_cndmask_b32_e64 v8, v8, v10, s[0:1]
	v_and_b32_e32 v8, 1, v8
	v_cmp_eq_u32_e32 vcc, 1, v8
	v_cndmask_b32_e32 v5, v7, v5, vcc
	v_cndmask_b32_e32 v0, v0, v9, vcc
	v_cmp_ge_u32_e32 vcc, v0, v5
	s_or_b64 s[2:3], vcc, s[2:3]
	s_andn2_b64 exec, exec, s[2:3]
	s_cbranch_execnz .LBB22_21
; %bb.22:
	s_or_b64 exec, exec, s[2:3]
.LBB22_23:
	v_add_u32_e32 v0, v0, v4
	v_mov_b32_e32 v1, 0
	s_waitcnt vmcnt(0)
	global_store_byte v0, v6, s[10:11]
	v_lshlrev_b64 v[0:1], 3, v[0:1]
	v_mov_b32_e32 v4, s15
	v_add_co_u32_e32 v0, vcc, s14, v0
	v_addc_co_u32_e32 v1, vcc, v4, v1, vcc
	s_mov_b64 s[4:5], -1
.LBB22_24:
	s_and_b64 exec, exec, s[4:5]
	s_cbranch_execz .LBB22_26
; %bb.25:
	s_waitcnt vmcnt(1)
	global_store_dwordx2 v[0:1], v[2:3], off
.LBB22_26:
	s_endpgm
	.section	.rodata,"a",@progbits
	.p2align	6, 0x0
	.amdhsa_kernel _ZN7rocprim17ROCPRIM_304000_NS6detail33device_block_merge_oddeven_kernelINS1_37wrapped_merge_sort_block_merge_configINS0_14default_configEhN2at4cuda3cub6detail10OpaqueTypeILi8EEEEEPhSC_PSA_SD_jNS1_19radix_merge_compareILb0ELb1EhNS0_19identity_decomposerEEEEEvT0_T1_T2_T3_T4_SL_T5_
		.amdhsa_group_segment_fixed_size 0
		.amdhsa_private_segment_fixed_size 0
		.amdhsa_kernarg_size 44
		.amdhsa_user_sgpr_count 6
		.amdhsa_user_sgpr_private_segment_buffer 1
		.amdhsa_user_sgpr_dispatch_ptr 0
		.amdhsa_user_sgpr_queue_ptr 0
		.amdhsa_user_sgpr_kernarg_segment_ptr 1
		.amdhsa_user_sgpr_dispatch_id 0
		.amdhsa_user_sgpr_flat_scratch_init 0
		.amdhsa_user_sgpr_kernarg_preload_length 0
		.amdhsa_user_sgpr_kernarg_preload_offset 0
		.amdhsa_user_sgpr_private_segment_size 0
		.amdhsa_uses_dynamic_stack 0
		.amdhsa_system_sgpr_private_segment_wavefront_offset 0
		.amdhsa_system_sgpr_workgroup_id_x 1
		.amdhsa_system_sgpr_workgroup_id_y 0
		.amdhsa_system_sgpr_workgroup_id_z 0
		.amdhsa_system_sgpr_workgroup_info 0
		.amdhsa_system_vgpr_workitem_id 0
		.amdhsa_next_free_vgpr 11
		.amdhsa_next_free_sgpr 24
		.amdhsa_accum_offset 12
		.amdhsa_reserve_vcc 1
		.amdhsa_reserve_flat_scratch 0
		.amdhsa_float_round_mode_32 0
		.amdhsa_float_round_mode_16_64 0
		.amdhsa_float_denorm_mode_32 3
		.amdhsa_float_denorm_mode_16_64 3
		.amdhsa_dx10_clamp 1
		.amdhsa_ieee_mode 1
		.amdhsa_fp16_overflow 0
		.amdhsa_tg_split 0
		.amdhsa_exception_fp_ieee_invalid_op 0
		.amdhsa_exception_fp_denorm_src 0
		.amdhsa_exception_fp_ieee_div_zero 0
		.amdhsa_exception_fp_ieee_overflow 0
		.amdhsa_exception_fp_ieee_underflow 0
		.amdhsa_exception_fp_ieee_inexact 0
		.amdhsa_exception_int_div_zero 0
	.end_amdhsa_kernel
	.section	.text._ZN7rocprim17ROCPRIM_304000_NS6detail33device_block_merge_oddeven_kernelINS1_37wrapped_merge_sort_block_merge_configINS0_14default_configEhN2at4cuda3cub6detail10OpaqueTypeILi8EEEEEPhSC_PSA_SD_jNS1_19radix_merge_compareILb0ELb1EhNS0_19identity_decomposerEEEEEvT0_T1_T2_T3_T4_SL_T5_,"axG",@progbits,_ZN7rocprim17ROCPRIM_304000_NS6detail33device_block_merge_oddeven_kernelINS1_37wrapped_merge_sort_block_merge_configINS0_14default_configEhN2at4cuda3cub6detail10OpaqueTypeILi8EEEEEPhSC_PSA_SD_jNS1_19radix_merge_compareILb0ELb1EhNS0_19identity_decomposerEEEEEvT0_T1_T2_T3_T4_SL_T5_,comdat
.Lfunc_end22:
	.size	_ZN7rocprim17ROCPRIM_304000_NS6detail33device_block_merge_oddeven_kernelINS1_37wrapped_merge_sort_block_merge_configINS0_14default_configEhN2at4cuda3cub6detail10OpaqueTypeILi8EEEEEPhSC_PSA_SD_jNS1_19radix_merge_compareILb0ELb1EhNS0_19identity_decomposerEEEEEvT0_T1_T2_T3_T4_SL_T5_, .Lfunc_end22-_ZN7rocprim17ROCPRIM_304000_NS6detail33device_block_merge_oddeven_kernelINS1_37wrapped_merge_sort_block_merge_configINS0_14default_configEhN2at4cuda3cub6detail10OpaqueTypeILi8EEEEEPhSC_PSA_SD_jNS1_19radix_merge_compareILb0ELb1EhNS0_19identity_decomposerEEEEEvT0_T1_T2_T3_T4_SL_T5_
                                        ; -- End function
	.section	.AMDGPU.csdata,"",@progbits
; Kernel info:
; codeLenInByte = 768
; NumSgprs: 28
; NumVgprs: 11
; NumAgprs: 0
; TotalNumVgprs: 11
; ScratchSize: 0
; MemoryBound: 0
; FloatMode: 240
; IeeeMode: 1
; LDSByteSize: 0 bytes/workgroup (compile time only)
; SGPRBlocks: 3
; VGPRBlocks: 1
; NumSGPRsForWavesPerEU: 28
; NumVGPRsForWavesPerEU: 11
; AccumOffset: 12
; Occupancy: 8
; WaveLimiterHint : 0
; COMPUTE_PGM_RSRC2:SCRATCH_EN: 0
; COMPUTE_PGM_RSRC2:USER_SGPR: 6
; COMPUTE_PGM_RSRC2:TRAP_HANDLER: 0
; COMPUTE_PGM_RSRC2:TGID_X_EN: 1
; COMPUTE_PGM_RSRC2:TGID_Y_EN: 0
; COMPUTE_PGM_RSRC2:TGID_Z_EN: 0
; COMPUTE_PGM_RSRC2:TIDIG_COMP_CNT: 0
; COMPUTE_PGM_RSRC3_GFX90A:ACCUM_OFFSET: 2
; COMPUTE_PGM_RSRC3_GFX90A:TG_SPLIT: 0
	.section	.text._ZN7rocprim17ROCPRIM_304000_NS6detail26onesweep_histograms_kernelINS1_34wrapped_radix_sort_onesweep_configINS0_14default_configEhN2at4cuda3cub6detail10OpaqueTypeILi8EEEEELb0EPKhmNS0_19identity_decomposerEEEvT1_PT2_SG_SG_T3_jj,"axG",@progbits,_ZN7rocprim17ROCPRIM_304000_NS6detail26onesweep_histograms_kernelINS1_34wrapped_radix_sort_onesweep_configINS0_14default_configEhN2at4cuda3cub6detail10OpaqueTypeILi8EEEEELb0EPKhmNS0_19identity_decomposerEEEvT1_PT2_SG_SG_T3_jj,comdat
	.protected	_ZN7rocprim17ROCPRIM_304000_NS6detail26onesweep_histograms_kernelINS1_34wrapped_radix_sort_onesweep_configINS0_14default_configEhN2at4cuda3cub6detail10OpaqueTypeILi8EEEEELb0EPKhmNS0_19identity_decomposerEEEvT1_PT2_SG_SG_T3_jj ; -- Begin function _ZN7rocprim17ROCPRIM_304000_NS6detail26onesweep_histograms_kernelINS1_34wrapped_radix_sort_onesweep_configINS0_14default_configEhN2at4cuda3cub6detail10OpaqueTypeILi8EEEEELb0EPKhmNS0_19identity_decomposerEEEvT1_PT2_SG_SG_T3_jj
	.globl	_ZN7rocprim17ROCPRIM_304000_NS6detail26onesweep_histograms_kernelINS1_34wrapped_radix_sort_onesweep_configINS0_14default_configEhN2at4cuda3cub6detail10OpaqueTypeILi8EEEEELb0EPKhmNS0_19identity_decomposerEEEvT1_PT2_SG_SG_T3_jj
	.p2align	8
	.type	_ZN7rocprim17ROCPRIM_304000_NS6detail26onesweep_histograms_kernelINS1_34wrapped_radix_sort_onesweep_configINS0_14default_configEhN2at4cuda3cub6detail10OpaqueTypeILi8EEEEELb0EPKhmNS0_19identity_decomposerEEEvT1_PT2_SG_SG_T3_jj,@function
_ZN7rocprim17ROCPRIM_304000_NS6detail26onesweep_histograms_kernelINS1_34wrapped_radix_sort_onesweep_configINS0_14default_configEhN2at4cuda3cub6detail10OpaqueTypeILi8EEEEELb0EPKhmNS0_19identity_decomposerEEEvT1_PT2_SG_SG_T3_jj: ; @_ZN7rocprim17ROCPRIM_304000_NS6detail26onesweep_histograms_kernelINS1_34wrapped_radix_sort_onesweep_configINS0_14default_configEhN2at4cuda3cub6detail10OpaqueTypeILi8EEEEELb0EPKhmNS0_19identity_decomposerEEEvT1_PT2_SG_SG_T3_jj
; %bb.0:
	s_load_dwordx8 s[8:15], s[4:5], 0x0
	s_load_dwordx2 s[16:17], s[4:5], 0x24
	s_mov_b32 s7, 0
	s_mul_i32 s1, s6, 0xc00
	s_mul_hi_u32 s0, s6, 0xc00
	s_waitcnt lgkmcnt(0)
	v_pk_mov_b32 v[2:3], s[14:15], s[14:15] op_sel:[0,1]
	v_cmp_ge_u64_e32 vcc, s[6:7], v[2:3]
	s_add_u32 s18, s8, s1
	s_addc_u32 s19, s9, s0
	s_mov_b64 s[0:1], -1
	s_cbranch_vccz .LBB23_50
; %bb.1:
	s_mulk_i32 s14, 0xf400
	s_add_i32 s14, s14, s12
	v_mov_b32_e32 v1, s19
	v_add_co_u32_e32 v2, vcc, s18, v0
	v_mov_b32_e32 v6, 0
	v_addc_co_u32_e32 v3, vcc, 0, v1, vcc
	v_cmp_gt_u32_e64 s[8:9], s14, v0
	v_mov_b32_e32 v8, 0
	s_and_saveexec_b64 s[0:1], s[8:9]
	s_cbranch_execz .LBB23_3
; %bb.2:
	global_load_ubyte v8, v[2:3], off
.LBB23_3:
	s_or_b64 exec, exec, s[0:1]
	v_or_b32_e32 v1, 0x200, v0
	v_cmp_gt_u32_e64 s[6:7], s14, v1
	s_and_saveexec_b64 s[0:1], s[6:7]
	s_cbranch_execz .LBB23_5
; %bb.4:
	global_load_ubyte v6, v[2:3], off offset:512
.LBB23_5:
	s_or_b64 exec, exec, s[0:1]
	v_or_b32_e32 v1, 0x400, v0
	v_cmp_gt_u32_e64 s[4:5], s14, v1
	v_mov_b32_e32 v5, 0
	v_mov_b32_e32 v7, 0
	s_and_saveexec_b64 s[0:1], s[4:5]
	s_cbranch_execz .LBB23_7
; %bb.6:
	global_load_ubyte v7, v[2:3], off offset:1024
.LBB23_7:
	s_or_b64 exec, exec, s[0:1]
	v_or_b32_e32 v1, 0x600, v0
	v_cmp_gt_u32_e64 s[2:3], s14, v1
	s_and_saveexec_b64 s[0:1], s[2:3]
	s_cbranch_execz .LBB23_9
; %bb.8:
	global_load_ubyte v5, v[2:3], off offset:1536
.LBB23_9:
	s_or_b64 exec, exec, s[0:1]
	v_or_b32_e32 v1, 0x800, v0
	v_cmp_gt_u32_e64 s[0:1], s14, v1
	v_mov_b32_e32 v1, 0
	v_mov_b32_e32 v4, 0
	s_and_saveexec_b64 s[12:13], s[0:1]
	s_cbranch_execz .LBB23_11
; %bb.10:
	global_load_ubyte v4, v[2:3], off offset:2048
.LBB23_11:
	s_or_b64 exec, exec, s[12:13]
	v_or_b32_e32 v9, 0xa00, v0
	v_cmp_gt_u32_e32 vcc, s14, v9
	s_and_saveexec_b64 s[12:13], vcc
	s_cbranch_execz .LBB23_13
; %bb.12:
	global_load_ubyte v1, v[2:3], off offset:2560
.LBB23_13:
	s_or_b64 exec, exec, s[12:13]
	v_lshlrev_b32_e32 v2, 2, v0
	s_mov_b32 s22, 0
	s_mov_b64 s[12:13], 0
	v_mov_b32_e32 v3, 0
	s_branch .LBB23_15
.LBB23_14:                              ;   in Loop: Header=BB23_15 Depth=1
	s_or_b64 exec, exec, s[20:21]
	s_add_i32 s22, s22, 2
	v_cmp_eq_u32_e64 s[14:15], 2, s22
	s_or_b64 s[12:13], s[14:15], s[12:13]
	v_add_u32_e32 v2, 0x1000, v2
	s_andn2_b64 exec, exec, s[12:13]
	s_cbranch_execz .LBB23_19
.LBB23_15:                              ; =>This Inner Loop Header: Depth=1
	s_or_b32 s14, s22, 1
	v_cmp_le_u32_e64 s[14:15], s14, 1
	v_cmp_le_u32_e64 s[24:25], s22, 1
	s_and_saveexec_b64 s[20:21], s[24:25]
	s_cbranch_execz .LBB23_17
; %bb.16:                               ;   in Loop: Header=BB23_15 Depth=1
	ds_write_b32 v2, v3
.LBB23_17:                              ;   in Loop: Header=BB23_15 Depth=1
	s_or_b64 exec, exec, s[20:21]
	s_and_saveexec_b64 s[20:21], s[14:15]
	s_cbranch_execz .LBB23_14
; %bb.18:                               ;   in Loop: Header=BB23_15 Depth=1
	ds_write_b32 v2, v3 offset:2048
	s_branch .LBB23_14
.LBB23_19:
	s_or_b64 exec, exec, s[12:13]
	s_cmp_gt_u32 s17, s16
	s_cselect_b64 s[12:13], -1, 0
	s_cmp_le_u32 s17, s16
	s_waitcnt lgkmcnt(0)
	s_barrier
	s_cbranch_scc1 .LBB23_44
; %bb.20:
	v_and_b32_e32 v2, 3, v0
	v_lshlrev_b32_e32 v2, 2, v2
	s_sub_i32 s20, s17, s16
	v_mov_b32_e32 v3, 1
	s_mov_b32 s21, s20
	v_mov_b32_e32 v9, v2
	s_mov_b32 s22, s16
	s_branch .LBB23_22
.LBB23_21:                              ;   in Loop: Header=BB23_22 Depth=1
	s_or_b64 exec, exec, s[14:15]
	s_add_i32 s22, s22, 8
	s_add_i32 s21, s21, -8
	s_cmp_lt_u32 s22, s17
	v_add_u32_e32 v9, 0x1000, v9
	s_cbranch_scc0 .LBB23_24
.LBB23_22:                              ; =>This Inner Loop Header: Depth=1
	s_and_saveexec_b64 s[14:15], s[8:9]
	s_cbranch_execz .LBB23_21
; %bb.23:                               ;   in Loop: Header=BB23_22 Depth=1
	s_min_u32 s23, s21, 8
	s_waitcnt vmcnt(0)
	v_lshrrev_b32_e32 v10, s22, v8
	v_bfe_u32 v10, v10, 0, s23
	v_lshl_add_u32 v10, v10, 4, v9
	ds_add_u32 v10, v3
	s_branch .LBB23_21
.LBB23_24:
	v_mov_b32_e32 v3, 1
	s_mov_b32 s14, s20
	s_waitcnt vmcnt(0)
	v_mov_b32_e32 v8, v2
	s_mov_b32 s15, s16
	s_branch .LBB23_26
.LBB23_25:                              ;   in Loop: Header=BB23_26 Depth=1
	s_or_b64 exec, exec, s[8:9]
	s_add_i32 s15, s15, 8
	s_add_i32 s14, s14, -8
	s_cmp_lt_u32 s15, s17
	v_add_u32_e32 v8, 0x1000, v8
	s_cbranch_scc0 .LBB23_28
.LBB23_26:                              ; =>This Inner Loop Header: Depth=1
	s_and_saveexec_b64 s[8:9], s[6:7]
	s_cbranch_execz .LBB23_25
; %bb.27:                               ;   in Loop: Header=BB23_26 Depth=1
	s_min_u32 s21, s14, 8
	v_lshrrev_b32_e32 v9, s15, v6
	v_bfe_u32 v9, v9, 0, s21
	v_lshl_add_u32 v9, v9, 4, v8
	ds_add_u32 v9, v3
	s_branch .LBB23_25
.LBB23_28:
	v_mov_b32_e32 v3, 1
	s_mov_b32 s8, s20
	v_mov_b32_e32 v6, v2
	s_mov_b32 s9, s16
	s_branch .LBB23_30
.LBB23_29:                              ;   in Loop: Header=BB23_30 Depth=1
	s_or_b64 exec, exec, s[6:7]
	s_add_i32 s9, s9, 8
	s_add_i32 s8, s8, -8
	s_cmp_lt_u32 s9, s17
	v_add_u32_e32 v6, 0x1000, v6
	s_cbranch_scc0 .LBB23_32
.LBB23_30:                              ; =>This Inner Loop Header: Depth=1
	s_and_saveexec_b64 s[6:7], s[4:5]
	s_cbranch_execz .LBB23_29
; %bb.31:                               ;   in Loop: Header=BB23_30 Depth=1
	s_min_u32 s14, s8, 8
	v_lshrrev_b32_e32 v8, s9, v7
	v_bfe_u32 v8, v8, 0, s14
	v_lshl_add_u32 v8, v8, 4, v6
	ds_add_u32 v8, v3
	s_branch .LBB23_29
.LBB23_32:
	v_mov_b32_e32 v3, 1
	s_mov_b32 s6, s20
	;; [unrolled: 23-line block ×4, first 2 shown]
	s_branch .LBB23_42
.LBB23_41:                              ;   in Loop: Header=BB23_42 Depth=1
	s_or_b64 exec, exec, s[0:1]
	s_add_i32 s2, s2, 8
	s_add_i32 s20, s20, -8
	s_cmp_lt_u32 s2, s17
	v_add_u32_e32 v2, 0x1000, v2
	s_cbranch_scc0 .LBB23_44
.LBB23_42:                              ; =>This Inner Loop Header: Depth=1
	s_and_saveexec_b64 s[0:1], vcc
	s_cbranch_execz .LBB23_41
; %bb.43:                               ;   in Loop: Header=BB23_42 Depth=1
	s_min_u32 s3, s20, 8
	v_lshrrev_b32_e32 v4, s2, v1
	v_bfe_u32 v4, v4, 0, s3
	v_lshl_add_u32 v4, v4, 4, v2
	ds_add_u32 v4, v3
	s_branch .LBB23_41
.LBB23_44:
	s_and_b64 vcc, exec, s[12:13]
	s_waitcnt lgkmcnt(0)
	s_barrier
	s_cbranch_vccz .LBB23_49
; %bb.45:
	s_movk_i32 s0, 0x100
	v_cmp_gt_u32_e32 vcc, s0, v0
	s_waitcnt vmcnt(0)
	v_lshlrev_b32_e32 v1, 4, v0
	v_mov_b32_e32 v3, 0
	v_mov_b32_e32 v2, v0
	s_mov_b32 s4, s16
	s_branch .LBB23_47
.LBB23_46:                              ;   in Loop: Header=BB23_47 Depth=1
	s_or_b64 exec, exec, s[2:3]
	s_add_i32 s4, s4, 8
	v_add_u32_e32 v2, 0x100, v2
	s_cmp_lt_u32 s4, s17
	v_add_u32_e32 v1, 0x1000, v1
	s_cbranch_scc0 .LBB23_49
.LBB23_47:                              ; =>This Inner Loop Header: Depth=1
	s_and_saveexec_b64 s[2:3], vcc
	s_cbranch_execz .LBB23_46
; %bb.48:                               ;   in Loop: Header=BB23_47 Depth=1
	ds_read2_b32 v[4:5], v1 offset1:1
	ds_read2_b32 v[6:7], v1 offset0:2 offset1:3
	v_lshlrev_b64 v[8:9], 3, v[2:3]
	v_mov_b32_e32 v10, s11
	s_waitcnt lgkmcnt(1)
	v_add_u32_e32 v4, v5, v4
	s_waitcnt lgkmcnt(0)
	v_add3_u32 v4, v4, v6, v7
	v_add_co_u32_e64 v6, s[0:1], s10, v8
	v_addc_co_u32_e64 v7, s[0:1], v10, v9, s[0:1]
	v_mov_b32_e32 v5, v3
	global_atomic_add_x2 v[6:7], v[4:5], off
	s_branch .LBB23_46
.LBB23_49:
	s_mov_b64 s[0:1], 0
.LBB23_50:
	s_and_b64 vcc, exec, s[0:1]
	s_cbranch_vccz .LBB23_86
; %bb.51:
	global_load_ubyte v4, v0, s[18:19]
	global_load_ubyte v5, v0, s[18:19] offset:512
	global_load_ubyte v6, v0, s[18:19] offset:1024
	;; [unrolled: 1-line block ×5, first 2 shown]
	s_cmp_eq_u32 s16, 0
	s_cselect_b64 s[0:1], -1, 0
	s_cmp_eq_u32 s17, 8
	s_cselect_b64 s[2:3], -1, 0
	s_and_b64 s[2:3], s[0:1], s[2:3]
	s_mov_b32 s6, 0
	v_mov_b32_e32 v2, 0
	s_mov_b64 s[0:1], -1
	s_and_b64 vcc, exec, s[2:3]
	s_waitcnt vmcnt(6)
	v_lshlrev_b32_e32 v1, 2, v0
	s_cbranch_vccnz .LBB23_77
; %bb.52:
	v_lshlrev_b32_e32 v3, 2, v0
	s_mov_b64 s[0:1], 0
	s_branch .LBB23_54
.LBB23_53:                              ;   in Loop: Header=BB23_54 Depth=1
	s_or_b64 exec, exec, s[4:5]
	s_add_i32 s6, s6, 2
	v_cmp_eq_u32_e64 s[2:3], 2, s6
	s_or_b64 s[0:1], s[2:3], s[0:1]
	v_add_u32_e32 v3, 0x1000, v3
	s_andn2_b64 exec, exec, s[0:1]
	s_cbranch_execz .LBB23_58
.LBB23_54:                              ; =>This Inner Loop Header: Depth=1
	s_or_b32 s2, s6, 1
	v_cmp_le_u32_e64 s[2:3], s2, 1
	v_cmp_le_u32_e64 s[8:9], s6, 1
	s_and_saveexec_b64 s[4:5], s[8:9]
	s_cbranch_execz .LBB23_56
; %bb.55:                               ;   in Loop: Header=BB23_54 Depth=1
	ds_write_b32 v3, v2
.LBB23_56:                              ;   in Loop: Header=BB23_54 Depth=1
	s_or_b64 exec, exec, s[4:5]
	s_and_saveexec_b64 s[4:5], s[2:3]
	s_cbranch_execz .LBB23_53
; %bb.57:                               ;   in Loop: Header=BB23_54 Depth=1
	ds_write_b32 v3, v2 offset:2048
	s_branch .LBB23_53
.LBB23_58:
	s_or_b64 exec, exec, s[0:1]
	s_cmp_gt_u32 s17, s16
	s_cselect_b64 s[0:1], -1, 0
	s_cmp_le_u32 s17, s16
	s_waitcnt lgkmcnt(0)
	s_barrier
	s_cbranch_scc1 .LBB23_71
; %bb.59:
	v_and_b32_e32 v2, 3, v0
	v_lshlrev_b32_e32 v2, 2, v2
	s_sub_i32 s2, s17, s16
	v_mov_b32_e32 v3, 1
	s_mov_b32 s3, s2
	v_mov_b32_e32 v10, v2
	s_mov_b32 s4, s16
.LBB23_60:                              ; =>This Inner Loop Header: Depth=1
	s_min_u32 s5, s3, 8
	s_waitcnt vmcnt(5)
	v_lshrrev_b32_sdwa v11, s4, v4 dst_sel:DWORD dst_unused:UNUSED_PAD src0_sel:DWORD src1_sel:BYTE_0
	v_bfe_u32 v11, v11, 0, s5
	v_lshl_add_u32 v11, v11, 4, v10
	ds_add_u32 v11, v3
	s_add_i32 s4, s4, 8
	s_add_i32 s3, s3, -8
	s_cmp_ge_u32 s4, s17
	v_add_u32_e32 v10, 0x1000, v10
	s_cbranch_scc0 .LBB23_60
; %bb.61:
	v_mov_b32_e32 v3, 1
	s_mov_b32 s3, s2
	v_mov_b32_e32 v10, v2
	s_mov_b32 s4, s16
.LBB23_62:                              ; =>This Inner Loop Header: Depth=1
	s_min_u32 s5, s3, 8
	s_waitcnt vmcnt(4)
	v_lshrrev_b32_sdwa v11, s4, v5 dst_sel:DWORD dst_unused:UNUSED_PAD src0_sel:DWORD src1_sel:BYTE_0
	v_bfe_u32 v11, v11, 0, s5
	v_lshl_add_u32 v11, v11, 4, v10
	ds_add_u32 v11, v3
	s_add_i32 s4, s4, 8
	s_add_i32 s3, s3, -8
	s_cmp_lt_u32 s4, s17
	v_add_u32_e32 v10, 0x1000, v10
	s_cbranch_scc1 .LBB23_62
; %bb.63:
	v_mov_b32_e32 v3, 1
	s_mov_b32 s3, s2
	v_mov_b32_e32 v10, v2
	s_mov_b32 s4, s16
.LBB23_64:                              ; =>This Inner Loop Header: Depth=1
	s_min_u32 s5, s3, 8
	s_waitcnt vmcnt(3)
	v_lshrrev_b32_sdwa v11, s4, v6 dst_sel:DWORD dst_unused:UNUSED_PAD src0_sel:DWORD src1_sel:BYTE_0
	v_bfe_u32 v11, v11, 0, s5
	v_lshl_add_u32 v11, v11, 4, v10
	ds_add_u32 v11, v3
	s_add_i32 s4, s4, 8
	s_add_i32 s3, s3, -8
	s_cmp_lt_u32 s4, s17
	v_add_u32_e32 v10, 0x1000, v10
	s_cbranch_scc1 .LBB23_64
	;; [unrolled: 17-line block ×4, first 2 shown]
; %bb.69:
	v_mov_b32_e32 v3, 1
	s_mov_b32 s3, s16
.LBB23_70:                              ; =>This Inner Loop Header: Depth=1
	s_min_u32 s4, s2, 8
	s_waitcnt vmcnt(0)
	v_lshrrev_b32_sdwa v10, s3, v9 dst_sel:DWORD dst_unused:UNUSED_PAD src0_sel:DWORD src1_sel:BYTE_0
	v_bfe_u32 v10, v10, 0, s4
	v_lshl_add_u32 v10, v10, 4, v2
	ds_add_u32 v10, v3
	s_add_i32 s3, s3, 8
	s_add_i32 s2, s2, -8
	s_cmp_lt_u32 s3, s17
	v_add_u32_e32 v2, 0x1000, v2
	s_cbranch_scc1 .LBB23_70
.LBB23_71:
	s_and_b64 vcc, exec, s[0:1]
	s_waitcnt lgkmcnt(0)
	s_barrier
	s_cbranch_vccz .LBB23_76
; %bb.72:
	s_movk_i32 s0, 0x100
	v_cmp_gt_u32_e32 vcc, s0, v0
	v_lshlrev_b32_e32 v10, 4, v0
	v_mov_b32_e32 v3, 0
	v_mov_b32_e32 v2, v0
	s_branch .LBB23_74
.LBB23_73:                              ;   in Loop: Header=BB23_74 Depth=1
	s_or_b64 exec, exec, s[2:3]
	s_add_i32 s16, s16, 8
	v_add_u32_e32 v2, 0x100, v2
	s_cmp_ge_u32 s16, s17
	v_add_u32_e32 v10, 0x1000, v10
	s_cbranch_scc1 .LBB23_76
.LBB23_74:                              ; =>This Inner Loop Header: Depth=1
	s_and_saveexec_b64 s[2:3], vcc
	s_cbranch_execz .LBB23_73
; %bb.75:                               ;   in Loop: Header=BB23_74 Depth=1
	ds_read2_b32 v[12:13], v10 offset1:1
	ds_read2_b32 v[14:15], v10 offset0:2 offset1:3
	v_lshlrev_b64 v[16:17], 3, v[2:3]
	v_mov_b32_e32 v11, s11
	s_waitcnt lgkmcnt(1)
	v_add_u32_e32 v12, v13, v12
	s_waitcnt lgkmcnt(0)
	v_add3_u32 v12, v12, v14, v15
	v_add_co_u32_e64 v14, s[0:1], s10, v16
	v_addc_co_u32_e64 v15, s[0:1], v11, v17, s[0:1]
	v_mov_b32_e32 v13, v3
	global_atomic_add_x2 v[14:15], v[12:13], off
	s_branch .LBB23_73
.LBB23_76:
	s_mov_b64 s[0:1], 0
.LBB23_77:
	s_and_b64 vcc, exec, s[0:1]
	s_cbranch_vccz .LBB23_86
; %bb.78:
	s_mov_b32 s6, 0
	s_mov_b64 s[0:1], 0
	v_mov_b32_e32 v2, 0
	v_mov_b32_e32 v3, v1
	s_branch .LBB23_80
.LBB23_79:                              ;   in Loop: Header=BB23_80 Depth=1
	s_or_b64 exec, exec, s[4:5]
	s_add_i32 s6, s6, 2
	v_cmp_eq_u32_e64 s[2:3], 2, s6
	s_or_b64 s[0:1], s[2:3], s[0:1]
	v_add_u32_e32 v3, 0x1000, v3
	s_andn2_b64 exec, exec, s[0:1]
	s_cbranch_execz .LBB23_84
.LBB23_80:                              ; =>This Inner Loop Header: Depth=1
	s_or_b32 s2, s6, 1
	v_cmp_le_u32_e64 s[2:3], s2, 1
	v_cmp_le_u32_e64 s[8:9], s6, 1
	s_and_saveexec_b64 s[4:5], s[8:9]
	s_cbranch_execz .LBB23_82
; %bb.81:                               ;   in Loop: Header=BB23_80 Depth=1
	ds_write_b32 v3, v2
.LBB23_82:                              ;   in Loop: Header=BB23_80 Depth=1
	s_or_b64 exec, exec, s[4:5]
	s_and_saveexec_b64 s[4:5], s[2:3]
	s_cbranch_execz .LBB23_79
; %bb.83:                               ;   in Loop: Header=BB23_80 Depth=1
	ds_write_b32 v3, v2 offset:2048
	s_branch .LBB23_79
.LBB23_84:
	s_or_b64 exec, exec, s[0:1]
	s_waitcnt vmcnt(5)
	v_and_b32_e32 v2, 0xff, v4
	s_waitcnt vmcnt(3)
	v_and_b32_e32 v4, 0xff, v6
	s_waitcnt vmcnt(1)
	v_and_b32_e32 v6, 0xff, v8
	v_and_b32_e32 v8, 3, v0
	v_lshlrev_b32_e32 v8, 2, v8
	v_and_b32_e32 v3, 0xff, v5
	v_and_b32_e32 v5, 0xff, v7
	s_waitcnt vmcnt(0)
	v_and_b32_e32 v7, 0xff, v9
	v_lshl_or_b32 v2, v2, 4, v8
	v_mov_b32_e32 v9, 1
	s_waitcnt lgkmcnt(0)
	s_barrier
	ds_add_u32 v2, v9
	v_lshl_or_b32 v2, v3, 4, v8
	ds_add_u32 v2, v9
	v_lshl_or_b32 v2, v4, 4, v8
	ds_add_u32 v2, v9
	v_lshl_or_b32 v2, v5, 4, v8
	ds_add_u32 v2, v9
	v_lshl_or_b32 v2, v6, 4, v8
	ds_add_u32 v2, v9
	v_lshl_or_b32 v2, v7, 4, v8
	ds_add_u32 v2, v9
	s_movk_i32 s0, 0x100
	v_cmp_gt_u32_e32 vcc, s0, v0
	s_waitcnt lgkmcnt(0)
	s_barrier
	s_and_saveexec_b64 s[0:1], vcc
	s_cbranch_execz .LBB23_86
; %bb.85:
	v_lshlrev_b32_e32 v1, 2, v1
	ds_read2_b32 v[2:3], v1 offset1:1
	ds_read2_b32 v[4:5], v1 offset0:2 offset1:3
	v_lshlrev_b32_e32 v6, 3, v0
	v_mov_b32_e32 v1, 0
	s_waitcnt lgkmcnt(1)
	v_add_u32_e32 v0, v3, v2
	s_waitcnt lgkmcnt(0)
	v_add3_u32 v0, v0, v4, v5
	global_atomic_add_x2 v6, v[0:1], s[10:11]
.LBB23_86:
	s_endpgm
	.section	.rodata,"a",@progbits
	.p2align	6, 0x0
	.amdhsa_kernel _ZN7rocprim17ROCPRIM_304000_NS6detail26onesweep_histograms_kernelINS1_34wrapped_radix_sort_onesweep_configINS0_14default_configEhN2at4cuda3cub6detail10OpaqueTypeILi8EEEEELb0EPKhmNS0_19identity_decomposerEEEvT1_PT2_SG_SG_T3_jj
		.amdhsa_group_segment_fixed_size 4096
		.amdhsa_private_segment_fixed_size 0
		.amdhsa_kernarg_size 44
		.amdhsa_user_sgpr_count 6
		.amdhsa_user_sgpr_private_segment_buffer 1
		.amdhsa_user_sgpr_dispatch_ptr 0
		.amdhsa_user_sgpr_queue_ptr 0
		.amdhsa_user_sgpr_kernarg_segment_ptr 1
		.amdhsa_user_sgpr_dispatch_id 0
		.amdhsa_user_sgpr_flat_scratch_init 0
		.amdhsa_user_sgpr_kernarg_preload_length 0
		.amdhsa_user_sgpr_kernarg_preload_offset 0
		.amdhsa_user_sgpr_private_segment_size 0
		.amdhsa_uses_dynamic_stack 0
		.amdhsa_system_sgpr_private_segment_wavefront_offset 0
		.amdhsa_system_sgpr_workgroup_id_x 1
		.amdhsa_system_sgpr_workgroup_id_y 0
		.amdhsa_system_sgpr_workgroup_id_z 0
		.amdhsa_system_sgpr_workgroup_info 0
		.amdhsa_system_vgpr_workitem_id 0
		.amdhsa_next_free_vgpr 18
		.amdhsa_next_free_sgpr 26
		.amdhsa_accum_offset 20
		.amdhsa_reserve_vcc 1
		.amdhsa_reserve_flat_scratch 0
		.amdhsa_float_round_mode_32 0
		.amdhsa_float_round_mode_16_64 0
		.amdhsa_float_denorm_mode_32 3
		.amdhsa_float_denorm_mode_16_64 3
		.amdhsa_dx10_clamp 1
		.amdhsa_ieee_mode 1
		.amdhsa_fp16_overflow 0
		.amdhsa_tg_split 0
		.amdhsa_exception_fp_ieee_invalid_op 0
		.amdhsa_exception_fp_denorm_src 0
		.amdhsa_exception_fp_ieee_div_zero 0
		.amdhsa_exception_fp_ieee_overflow 0
		.amdhsa_exception_fp_ieee_underflow 0
		.amdhsa_exception_fp_ieee_inexact 0
		.amdhsa_exception_int_div_zero 0
	.end_amdhsa_kernel
	.section	.text._ZN7rocprim17ROCPRIM_304000_NS6detail26onesweep_histograms_kernelINS1_34wrapped_radix_sort_onesweep_configINS0_14default_configEhN2at4cuda3cub6detail10OpaqueTypeILi8EEEEELb0EPKhmNS0_19identity_decomposerEEEvT1_PT2_SG_SG_T3_jj,"axG",@progbits,_ZN7rocprim17ROCPRIM_304000_NS6detail26onesweep_histograms_kernelINS1_34wrapped_radix_sort_onesweep_configINS0_14default_configEhN2at4cuda3cub6detail10OpaqueTypeILi8EEEEELb0EPKhmNS0_19identity_decomposerEEEvT1_PT2_SG_SG_T3_jj,comdat
.Lfunc_end23:
	.size	_ZN7rocprim17ROCPRIM_304000_NS6detail26onesweep_histograms_kernelINS1_34wrapped_radix_sort_onesweep_configINS0_14default_configEhN2at4cuda3cub6detail10OpaqueTypeILi8EEEEELb0EPKhmNS0_19identity_decomposerEEEvT1_PT2_SG_SG_T3_jj, .Lfunc_end23-_ZN7rocprim17ROCPRIM_304000_NS6detail26onesweep_histograms_kernelINS1_34wrapped_radix_sort_onesweep_configINS0_14default_configEhN2at4cuda3cub6detail10OpaqueTypeILi8EEEEELb0EPKhmNS0_19identity_decomposerEEEvT1_PT2_SG_SG_T3_jj
                                        ; -- End function
	.section	.AMDGPU.csdata,"",@progbits
; Kernel info:
; codeLenInByte = 2476
; NumSgprs: 30
; NumVgprs: 18
; NumAgprs: 0
; TotalNumVgprs: 18
; ScratchSize: 0
; MemoryBound: 0
; FloatMode: 240
; IeeeMode: 1
; LDSByteSize: 4096 bytes/workgroup (compile time only)
; SGPRBlocks: 3
; VGPRBlocks: 2
; NumSGPRsForWavesPerEU: 30
; NumVGPRsForWavesPerEU: 18
; AccumOffset: 20
; Occupancy: 8
; WaveLimiterHint : 1
; COMPUTE_PGM_RSRC2:SCRATCH_EN: 0
; COMPUTE_PGM_RSRC2:USER_SGPR: 6
; COMPUTE_PGM_RSRC2:TRAP_HANDLER: 0
; COMPUTE_PGM_RSRC2:TGID_X_EN: 1
; COMPUTE_PGM_RSRC2:TGID_Y_EN: 0
; COMPUTE_PGM_RSRC2:TGID_Z_EN: 0
; COMPUTE_PGM_RSRC2:TIDIG_COMP_CNT: 0
; COMPUTE_PGM_RSRC3_GFX90A:ACCUM_OFFSET: 4
; COMPUTE_PGM_RSRC3_GFX90A:TG_SPLIT: 0
	.section	.text._ZN7rocprim17ROCPRIM_304000_NS6detail25onesweep_iteration_kernelINS1_34wrapped_radix_sort_onesweep_configINS0_14default_configEhN2at4cuda3cub6detail10OpaqueTypeILi8EEEEELb0EPKhPhPKSA_PSA_mNS0_19identity_decomposerEEEvT1_T2_T3_T4_jPT5_SO_PNS1_23onesweep_lookback_stateET6_jjj,"axG",@progbits,_ZN7rocprim17ROCPRIM_304000_NS6detail25onesweep_iteration_kernelINS1_34wrapped_radix_sort_onesweep_configINS0_14default_configEhN2at4cuda3cub6detail10OpaqueTypeILi8EEEEELb0EPKhPhPKSA_PSA_mNS0_19identity_decomposerEEEvT1_T2_T3_T4_jPT5_SO_PNS1_23onesweep_lookback_stateET6_jjj,comdat
	.protected	_ZN7rocprim17ROCPRIM_304000_NS6detail25onesweep_iteration_kernelINS1_34wrapped_radix_sort_onesweep_configINS0_14default_configEhN2at4cuda3cub6detail10OpaqueTypeILi8EEEEELb0EPKhPhPKSA_PSA_mNS0_19identity_decomposerEEEvT1_T2_T3_T4_jPT5_SO_PNS1_23onesweep_lookback_stateET6_jjj ; -- Begin function _ZN7rocprim17ROCPRIM_304000_NS6detail25onesweep_iteration_kernelINS1_34wrapped_radix_sort_onesweep_configINS0_14default_configEhN2at4cuda3cub6detail10OpaqueTypeILi8EEEEELb0EPKhPhPKSA_PSA_mNS0_19identity_decomposerEEEvT1_T2_T3_T4_jPT5_SO_PNS1_23onesweep_lookback_stateET6_jjj
	.globl	_ZN7rocprim17ROCPRIM_304000_NS6detail25onesweep_iteration_kernelINS1_34wrapped_radix_sort_onesweep_configINS0_14default_configEhN2at4cuda3cub6detail10OpaqueTypeILi8EEEEELb0EPKhPhPKSA_PSA_mNS0_19identity_decomposerEEEvT1_T2_T3_T4_jPT5_SO_PNS1_23onesweep_lookback_stateET6_jjj
	.p2align	8
	.type	_ZN7rocprim17ROCPRIM_304000_NS6detail25onesweep_iteration_kernelINS1_34wrapped_radix_sort_onesweep_configINS0_14default_configEhN2at4cuda3cub6detail10OpaqueTypeILi8EEEEELb0EPKhPhPKSA_PSA_mNS0_19identity_decomposerEEEvT1_T2_T3_T4_jPT5_SO_PNS1_23onesweep_lookback_stateET6_jjj,@function
_ZN7rocprim17ROCPRIM_304000_NS6detail25onesweep_iteration_kernelINS1_34wrapped_radix_sort_onesweep_configINS0_14default_configEhN2at4cuda3cub6detail10OpaqueTypeILi8EEEEELb0EPKhPhPKSA_PSA_mNS0_19identity_decomposerEEEvT1_T2_T3_T4_jPT5_SO_PNS1_23onesweep_lookback_stateET6_jjj: ; @_ZN7rocprim17ROCPRIM_304000_NS6detail25onesweep_iteration_kernelINS1_34wrapped_radix_sort_onesweep_configINS0_14default_configEhN2at4cuda3cub6detail10OpaqueTypeILi8EEEEELb0EPKhPhPKSA_PSA_mNS0_19identity_decomposerEEEvT1_T2_T3_T4_jPT5_SO_PNS1_23onesweep_lookback_stateET6_jjj
; %bb.0:
	s_load_dwordx4 s[48:51], s[4:5], 0x44
	s_load_dwordx8 s[36:43], s[4:5], 0x0
	s_load_dwordx4 s[44:47], s[4:5], 0x28
	s_load_dwordx2 s[34:35], s[4:5], 0x38
	s_mul_i32 s30, s6, 0xc00
	s_waitcnt lgkmcnt(0)
	s_cmp_ge_u32 s6, s50
	v_mbcnt_lo_u32_b32 v1, -1, 0
	s_cbranch_scc0 .LBB24_86
; %bb.1:
	s_load_dword s0, s[4:5], 0x20
	s_mulk_i32 s50, 0xf400
	v_and_b32_e32 v2, 0x3ff, v0
	v_mbcnt_hi_u32_b32 v6, -1, v1
	v_and_b32_e32 v15, 0x1c0, v2
	s_waitcnt lgkmcnt(0)
	s_add_i32 s50, s50, s0
	s_add_u32 s0, s36, s30
	s_addc_u32 s1, s37, 0
	v_mov_b32_e32 v3, s1
	v_add_co_u32_e32 v5, vcc, s0, v6
	v_mul_u32_u24_e32 v4, 6, v15
	v_addc_co_u32_e32 v3, vcc, 0, v3, vcc
	v_add_co_u32_e32 v8, vcc, v5, v4
	v_addc_co_u32_e32 v9, vcc, 0, v3, vcc
	v_or_b32_e32 v10, v6, v4
	s_mov_b32 s31, 0
	v_cmp_gt_u32_e32 vcc, s50, v10
	v_mov_b32_e32 v3, 0xff
	v_mov_b32_e32 v5, 0xff
	s_and_saveexec_b64 s[0:1], vcc
	s_cbranch_execz .LBB24_3
; %bb.2:
	global_load_ubyte v5, v[8:9], off
.LBB24_3:
	s_or_b64 exec, exec, s[0:1]
	v_add_u32_e32 v7, 64, v10
	v_cmp_gt_u32_e64 s[0:1], s50, v7
	s_and_saveexec_b64 s[2:3], s[0:1]
	s_cbranch_execz .LBB24_5
; %bb.4:
	global_load_ubyte v3, v[8:9], off offset:64
.LBB24_5:
	s_or_b64 exec, exec, s[2:3]
	v_add_u32_e32 v7, 0x80, v10
	v_cmp_gt_u32_e64 s[2:3], s50, v7
	v_mov_b32_e32 v7, 0xff
	v_mov_b32_e32 v12, 0xff
	s_and_saveexec_b64 s[8:9], s[2:3]
	s_cbranch_execz .LBB24_7
; %bb.6:
	global_load_ubyte v12, v[8:9], off offset:128
.LBB24_7:
	s_or_b64 exec, exec, s[8:9]
	v_add_u32_e32 v11, 0xc0, v10
	v_cmp_gt_u32_e64 s[26:27], s50, v11
	s_and_saveexec_b64 s[8:9], s[26:27]
	s_cbranch_execz .LBB24_9
; %bb.8:
	global_load_ubyte v7, v[8:9], off offset:192
.LBB24_9:
	s_or_b64 exec, exec, s[8:9]
	v_add_u32_e32 v11, 0x100, v10
	v_cmp_gt_u32_e64 s[8:9], s50, v11
	v_mov_b32_e32 v13, 0xff
	v_mov_b32_e32 v14, 0xff
	s_and_saveexec_b64 s[10:11], s[8:9]
	s_cbranch_execz .LBB24_11
; %bb.10:
	global_load_ubyte v14, v[8:9], off offset:256
.LBB24_11:
	s_or_b64 exec, exec, s[10:11]
	v_add_u32_e32 v10, 0x140, v10
	v_cmp_gt_u32_e64 s[10:11], s50, v10
	s_and_saveexec_b64 s[12:13], s[10:11]
	s_cbranch_execz .LBB24_13
; %bb.12:
	global_load_ubyte v13, v[8:9], off offset:320
.LBB24_13:
	s_or_b64 exec, exec, s[12:13]
	s_load_dword s12, s[4:5], 0x5c
	s_load_dword s7, s[4:5], 0x50
	s_add_u32 s13, s4, 0x50
	s_addc_u32 s14, s5, 0
	v_mov_b32_e32 v8, 0
	s_waitcnt lgkmcnt(0)
	s_lshr_b32 s15, s12, 16
	s_cmp_lt_u32 s6, s7
	s_cselect_b32 s12, 12, 18
	s_add_u32 s12, s13, s12
	s_addc_u32 s13, s14, 0
	global_load_ushort v10, v8, s[12:13]
	s_lshl_b32 s12, -1, s49
	s_waitcnt vmcnt(1)
	v_lshrrev_b32_sdwa v17, s48, v5 dst_sel:DWORD dst_unused:UNUSED_PAD src0_sel:DWORD src1_sel:BYTE_0
	s_not_b32 s33, s12
	v_and_b32_e32 v17, s33, v17
	v_and_b32_e32 v19, 1, v17
	v_bfe_u32 v9, v0, 10, 10
	v_bfe_u32 v11, v0, 20, 10
	v_add_co_u32_e64 v20, s[12:13], -1, v19
	v_mad_u32_u24 v11, v11, s15, v9
	v_lshlrev_b32_e32 v9, 30, v17
	v_addc_co_u32_e64 v21, s[12:13], 0, -1, s[12:13]
	v_cmp_ne_u32_e64 s[12:13], 0, v19
	v_cmp_gt_i64_e64 s[14:15], 0, v[8:9]
	v_not_b32_e32 v19, v9
	v_lshlrev_b32_e32 v9, 29, v17
	v_xor_b32_e32 v21, s13, v21
	v_xor_b32_e32 v20, s12, v20
	v_ashrrev_i32_e32 v19, 31, v19
	v_cmp_gt_i64_e64 s[12:13], 0, v[8:9]
	v_not_b32_e32 v22, v9
	v_lshlrev_b32_e32 v9, 28, v17
	v_and_b32_e32 v21, exec_hi, v21
	v_and_b32_e32 v20, exec_lo, v20
	v_xor_b32_e32 v23, s15, v19
	v_xor_b32_e32 v19, s14, v19
	v_ashrrev_i32_e32 v22, 31, v22
	v_cmp_gt_i64_e64 s[14:15], 0, v[8:9]
	v_not_b32_e32 v24, v9
	v_lshlrev_b32_e32 v9, 27, v17
	v_and_b32_e32 v21, v21, v23
	v_and_b32_e32 v19, v20, v19
	v_xor_b32_e32 v20, s13, v22
	v_xor_b32_e32 v22, s12, v22
	v_ashrrev_i32_e32 v23, 31, v24
	v_cmp_gt_i64_e64 s[12:13], 0, v[8:9]
	v_not_b32_e32 v24, v9
	v_lshlrev_b32_e32 v9, 26, v17
	v_and_b32_e32 v20, v21, v20
	v_and_b32_e32 v19, v19, v22
	;; [unrolled: 8-line block ×3, first 2 shown]
	v_xor_b32_e32 v21, s13, v23
	v_xor_b32_e32 v22, s12, v23
	v_ashrrev_i32_e32 v23, 31, v24
	v_cmp_gt_i64_e64 s[12:13], 0, v[8:9]
	v_not_b32_e32 v24, v9
	v_lshlrev_b32_e32 v9, 24, v17
	v_mul_u32_u24_e32 v18, 9, v17
	v_and_b32_e32 v17, v20, v21
	v_and_b32_e32 v19, v19, v22
	v_xor_b32_e32 v20, s15, v23
	v_xor_b32_e32 v21, s14, v23
	v_ashrrev_i32_e32 v22, 31, v24
	v_cmp_gt_i64_e64 s[14:15], 0, v[8:9]
	v_not_b32_e32 v9, v9
	v_and_b32_e32 v17, v17, v20
	v_and_b32_e32 v19, v19, v21
	v_xor_b32_e32 v20, s13, v22
	v_xor_b32_e32 v21, s12, v22
	v_ashrrev_i32_e32 v9, 31, v9
	v_and_b32_e32 v17, v17, v20
	v_and_b32_e32 v20, v19, v21
	v_mul_u32_u24_e32 v16, 5, v2
	v_lshlrev_b32_e32 v16, 2, v16
	ds_write2_b32 v16, v8, v8 offset0:8 offset1:9
	ds_write2_b32 v16, v8, v8 offset0:10 offset1:11
	ds_write_b32 v16, v8 offset:48
	s_waitcnt lgkmcnt(0)
	s_barrier
	s_waitcnt lgkmcnt(0)
	; wave barrier
	s_waitcnt vmcnt(0)
	v_mad_u64_u32 v[10:11], s[12:13], v11, v10, v[2:3]
	v_lshrrev_b32_e32 v26, 6, v10
	v_xor_b32_e32 v10, s15, v9
	v_xor_b32_e32 v9, s14, v9
	v_and_b32_e32 v11, v17, v10
	v_and_b32_e32 v10, v20, v9
	v_mbcnt_lo_u32_b32 v9, v10, 0
	v_mbcnt_hi_u32_b32 v17, v11, v9
	v_cmp_eq_u32_e64 s[12:13], 0, v17
	v_cmp_ne_u64_e64 s[14:15], 0, v[10:11]
	v_add_lshl_u32 v19, v26, v18, 2
	s_and_b64 s[14:15], s[14:15], s[12:13]
	s_and_saveexec_b64 s[12:13], s[14:15]
	s_cbranch_execz .LBB24_15
; %bb.14:
	v_bcnt_u32_b32 v9, v10, 0
	v_bcnt_u32_b32 v9, v11, v9
	ds_write_b32 v19, v9 offset:32
.LBB24_15:
	s_or_b64 exec, exec, s[12:13]
	v_lshrrev_b32_sdwa v9, s48, v3 dst_sel:DWORD dst_unused:UNUSED_PAD src0_sel:DWORD src1_sel:BYTE_0
	v_and_b32_e32 v10, s33, v9
	v_mul_u32_u24_e32 v9, 9, v10
	v_add_lshl_u32 v20, v26, v9, 2
	v_and_b32_e32 v9, 1, v10
	v_add_co_u32_e64 v11, s[12:13], -1, v9
	v_addc_co_u32_e64 v21, s[12:13], 0, -1, s[12:13]
	v_cmp_ne_u32_e64 s[12:13], 0, v9
	v_xor_b32_e32 v9, s13, v21
	v_and_b32_e32 v21, exec_hi, v9
	v_lshlrev_b32_e32 v9, 30, v10
	v_xor_b32_e32 v11, s12, v11
	v_cmp_gt_i64_e64 s[12:13], 0, v[8:9]
	v_not_b32_e32 v9, v9
	v_ashrrev_i32_e32 v9, 31, v9
	v_and_b32_e32 v11, exec_lo, v11
	v_xor_b32_e32 v22, s13, v9
	v_xor_b32_e32 v9, s12, v9
	v_and_b32_e32 v11, v11, v9
	v_lshlrev_b32_e32 v9, 29, v10
	v_cmp_gt_i64_e64 s[12:13], 0, v[8:9]
	v_not_b32_e32 v9, v9
	v_ashrrev_i32_e32 v9, 31, v9
	v_and_b32_e32 v21, v21, v22
	v_xor_b32_e32 v22, s13, v9
	v_xor_b32_e32 v9, s12, v9
	v_and_b32_e32 v11, v11, v9
	v_lshlrev_b32_e32 v9, 28, v10
	v_cmp_gt_i64_e64 s[12:13], 0, v[8:9]
	v_not_b32_e32 v9, v9
	v_ashrrev_i32_e32 v9, 31, v9
	v_and_b32_e32 v21, v21, v22
	;; [unrolled: 8-line block ×5, first 2 shown]
	v_xor_b32_e32 v22, s13, v9
	v_xor_b32_e32 v9, s12, v9
	v_and_b32_e32 v11, v11, v9
	v_lshlrev_b32_e32 v9, 24, v10
	v_cmp_gt_i64_e64 s[12:13], 0, v[8:9]
	v_not_b32_e32 v8, v9
	v_ashrrev_i32_e32 v8, 31, v8
	v_xor_b32_e32 v9, s13, v8
	v_xor_b32_e32 v8, s12, v8
	; wave barrier
	ds_read_b32 v18, v20 offset:32
	v_and_b32_e32 v21, v21, v22
	v_and_b32_e32 v8, v11, v8
	;; [unrolled: 1-line block ×3, first 2 shown]
	v_mbcnt_lo_u32_b32 v10, v8, 0
	v_mbcnt_hi_u32_b32 v21, v9, v10
	v_cmp_eq_u32_e64 s[12:13], 0, v21
	v_cmp_ne_u64_e64 s[14:15], 0, v[8:9]
	s_and_b64 s[14:15], s[14:15], s[12:13]
	; wave barrier
	s_and_saveexec_b64 s[12:13], s[14:15]
	s_cbranch_execz .LBB24_17
; %bb.16:
	v_bcnt_u32_b32 v8, v8, 0
	v_bcnt_u32_b32 v8, v9, v8
	s_waitcnt lgkmcnt(0)
	v_add_u32_e32 v8, v18, v8
	ds_write_b32 v20, v8 offset:32
.LBB24_17:
	s_or_b64 exec, exec, s[12:13]
	v_lshrrev_b32_sdwa v8, s48, v12 dst_sel:DWORD dst_unused:UNUSED_PAD src0_sel:DWORD src1_sel:BYTE_0
	v_and_b32_e32 v10, s33, v8
	v_and_b32_e32 v9, 1, v10
	v_add_co_u32_e64 v11, s[12:13], -1, v9
	v_addc_co_u32_e64 v24, s[12:13], 0, -1, s[12:13]
	v_cmp_ne_u32_e64 s[12:13], 0, v9
	v_mul_u32_u24_e32 v8, 9, v10
	v_xor_b32_e32 v9, s13, v24
	v_add_lshl_u32 v23, v26, v8, 2
	v_mov_b32_e32 v8, 0
	v_and_b32_e32 v24, exec_hi, v9
	v_lshlrev_b32_e32 v9, 30, v10
	v_xor_b32_e32 v11, s12, v11
	v_cmp_gt_i64_e64 s[12:13], 0, v[8:9]
	v_not_b32_e32 v9, v9
	v_ashrrev_i32_e32 v9, 31, v9
	v_and_b32_e32 v11, exec_lo, v11
	v_xor_b32_e32 v25, s13, v9
	v_xor_b32_e32 v9, s12, v9
	v_and_b32_e32 v11, v11, v9
	v_lshlrev_b32_e32 v9, 29, v10
	v_cmp_gt_i64_e64 s[12:13], 0, v[8:9]
	v_not_b32_e32 v9, v9
	v_ashrrev_i32_e32 v9, 31, v9
	v_and_b32_e32 v24, v24, v25
	v_xor_b32_e32 v25, s13, v9
	v_xor_b32_e32 v9, s12, v9
	v_and_b32_e32 v11, v11, v9
	v_lshlrev_b32_e32 v9, 28, v10
	v_cmp_gt_i64_e64 s[12:13], 0, v[8:9]
	v_not_b32_e32 v9, v9
	v_ashrrev_i32_e32 v9, 31, v9
	v_and_b32_e32 v24, v24, v25
	;; [unrolled: 8-line block ×5, first 2 shown]
	v_xor_b32_e32 v25, s13, v9
	v_xor_b32_e32 v9, s12, v9
	v_and_b32_e32 v24, v24, v25
	v_and_b32_e32 v25, v11, v9
	v_lshlrev_b32_e32 v9, 24, v10
	v_cmp_gt_i64_e64 s[12:13], 0, v[8:9]
	v_not_b32_e32 v9, v9
	v_ashrrev_i32_e32 v9, 31, v9
	v_xor_b32_e32 v10, s13, v9
	v_xor_b32_e32 v9, s12, v9
	; wave barrier
	ds_read_b32 v22, v23 offset:32
	v_and_b32_e32 v11, v24, v10
	v_and_b32_e32 v10, v25, v9
	v_mbcnt_lo_u32_b32 v9, v10, 0
	v_mbcnt_hi_u32_b32 v24, v11, v9
	v_cmp_eq_u32_e64 s[12:13], 0, v24
	v_cmp_ne_u64_e64 s[14:15], 0, v[10:11]
	s_and_b64 s[14:15], s[14:15], s[12:13]
	; wave barrier
	s_and_saveexec_b64 s[12:13], s[14:15]
	s_cbranch_execz .LBB24_19
; %bb.18:
	v_bcnt_u32_b32 v9, v10, 0
	v_bcnt_u32_b32 v9, v11, v9
	s_waitcnt lgkmcnt(0)
	v_add_u32_e32 v9, v22, v9
	ds_write_b32 v23, v9 offset:32
.LBB24_19:
	s_or_b64 exec, exec, s[12:13]
	v_lshrrev_b32_sdwa v9, s48, v7 dst_sel:DWORD dst_unused:UNUSED_PAD src0_sel:DWORD src1_sel:BYTE_0
	v_and_b32_e32 v10, s33, v9
	v_mul_u32_u24_e32 v9, 9, v10
	v_add_lshl_u32 v27, v26, v9, 2
	v_and_b32_e32 v9, 1, v10
	v_add_co_u32_e64 v11, s[12:13], -1, v9
	v_addc_co_u32_e64 v28, s[12:13], 0, -1, s[12:13]
	v_cmp_ne_u32_e64 s[12:13], 0, v9
	v_xor_b32_e32 v9, s13, v28
	v_and_b32_e32 v28, exec_hi, v9
	v_lshlrev_b32_e32 v9, 30, v10
	v_xor_b32_e32 v11, s12, v11
	v_cmp_gt_i64_e64 s[12:13], 0, v[8:9]
	v_not_b32_e32 v9, v9
	v_ashrrev_i32_e32 v9, 31, v9
	v_and_b32_e32 v11, exec_lo, v11
	v_xor_b32_e32 v29, s13, v9
	v_xor_b32_e32 v9, s12, v9
	v_and_b32_e32 v11, v11, v9
	v_lshlrev_b32_e32 v9, 29, v10
	v_cmp_gt_i64_e64 s[12:13], 0, v[8:9]
	v_not_b32_e32 v9, v9
	v_ashrrev_i32_e32 v9, 31, v9
	v_and_b32_e32 v28, v28, v29
	v_xor_b32_e32 v29, s13, v9
	v_xor_b32_e32 v9, s12, v9
	v_and_b32_e32 v11, v11, v9
	v_lshlrev_b32_e32 v9, 28, v10
	v_cmp_gt_i64_e64 s[12:13], 0, v[8:9]
	v_not_b32_e32 v9, v9
	v_ashrrev_i32_e32 v9, 31, v9
	v_and_b32_e32 v28, v28, v29
	v_xor_b32_e32 v29, s13, v9
	v_xor_b32_e32 v9, s12, v9
	v_and_b32_e32 v11, v11, v9
	v_lshlrev_b32_e32 v9, 27, v10
	v_cmp_gt_i64_e64 s[12:13], 0, v[8:9]
	v_not_b32_e32 v9, v9
	v_ashrrev_i32_e32 v9, 31, v9
	v_and_b32_e32 v28, v28, v29
	v_xor_b32_e32 v29, s13, v9
	v_xor_b32_e32 v9, s12, v9
	v_and_b32_e32 v11, v11, v9
	v_lshlrev_b32_e32 v9, 26, v10
	v_cmp_gt_i64_e64 s[12:13], 0, v[8:9]
	v_not_b32_e32 v9, v9
	v_ashrrev_i32_e32 v9, 31, v9
	v_and_b32_e32 v28, v28, v29
	v_xor_b32_e32 v29, s13, v9
	v_xor_b32_e32 v9, s12, v9
	v_and_b32_e32 v11, v11, v9
	v_lshlrev_b32_e32 v9, 25, v10
	v_cmp_gt_i64_e64 s[12:13], 0, v[8:9]
	v_not_b32_e32 v9, v9
	v_ashrrev_i32_e32 v9, 31, v9
	v_and_b32_e32 v28, v28, v29
	v_xor_b32_e32 v29, s13, v9
	v_xor_b32_e32 v9, s12, v9
	v_and_b32_e32 v11, v11, v9
	v_lshlrev_b32_e32 v9, 24, v10
	v_cmp_gt_i64_e64 s[12:13], 0, v[8:9]
	v_not_b32_e32 v8, v9
	v_ashrrev_i32_e32 v8, 31, v8
	v_xor_b32_e32 v9, s13, v8
	v_xor_b32_e32 v8, s12, v8
	; wave barrier
	ds_read_b32 v25, v27 offset:32
	v_and_b32_e32 v28, v28, v29
	v_and_b32_e32 v8, v11, v8
	;; [unrolled: 1-line block ×3, first 2 shown]
	v_mbcnt_lo_u32_b32 v10, v8, 0
	v_mbcnt_hi_u32_b32 v28, v9, v10
	v_cmp_eq_u32_e64 s[12:13], 0, v28
	v_cmp_ne_u64_e64 s[14:15], 0, v[8:9]
	s_and_b64 s[14:15], s[14:15], s[12:13]
	; wave barrier
	s_and_saveexec_b64 s[12:13], s[14:15]
	s_cbranch_execz .LBB24_21
; %bb.20:
	v_bcnt_u32_b32 v8, v8, 0
	v_bcnt_u32_b32 v8, v9, v8
	s_waitcnt lgkmcnt(0)
	v_add_u32_e32 v8, v25, v8
	ds_write_b32 v27, v8 offset:32
.LBB24_21:
	s_or_b64 exec, exec, s[12:13]
	v_lshrrev_b32_sdwa v8, s48, v14 dst_sel:DWORD dst_unused:UNUSED_PAD src0_sel:DWORD src1_sel:BYTE_0
	v_and_b32_e32 v10, s33, v8
	v_and_b32_e32 v9, 1, v10
	v_add_co_u32_e64 v11, s[12:13], -1, v9
	v_addc_co_u32_e64 v31, s[12:13], 0, -1, s[12:13]
	v_cmp_ne_u32_e64 s[12:13], 0, v9
	v_mul_u32_u24_e32 v8, 9, v10
	v_xor_b32_e32 v9, s13, v31
	v_add_lshl_u32 v30, v26, v8, 2
	v_mov_b32_e32 v8, 0
	v_and_b32_e32 v31, exec_hi, v9
	v_lshlrev_b32_e32 v9, 30, v10
	v_xor_b32_e32 v11, s12, v11
	v_cmp_gt_i64_e64 s[12:13], 0, v[8:9]
	v_not_b32_e32 v9, v9
	v_ashrrev_i32_e32 v9, 31, v9
	v_and_b32_e32 v11, exec_lo, v11
	v_xor_b32_e32 v32, s13, v9
	v_xor_b32_e32 v9, s12, v9
	v_and_b32_e32 v11, v11, v9
	v_lshlrev_b32_e32 v9, 29, v10
	v_cmp_gt_i64_e64 s[12:13], 0, v[8:9]
	v_not_b32_e32 v9, v9
	v_ashrrev_i32_e32 v9, 31, v9
	v_and_b32_e32 v31, v31, v32
	v_xor_b32_e32 v32, s13, v9
	v_xor_b32_e32 v9, s12, v9
	v_and_b32_e32 v11, v11, v9
	v_lshlrev_b32_e32 v9, 28, v10
	v_cmp_gt_i64_e64 s[12:13], 0, v[8:9]
	v_not_b32_e32 v9, v9
	v_ashrrev_i32_e32 v9, 31, v9
	v_and_b32_e32 v31, v31, v32
	;; [unrolled: 8-line block ×5, first 2 shown]
	v_xor_b32_e32 v32, s13, v9
	v_xor_b32_e32 v9, s12, v9
	v_and_b32_e32 v31, v31, v32
	v_and_b32_e32 v32, v11, v9
	v_lshlrev_b32_e32 v9, 24, v10
	v_cmp_gt_i64_e64 s[12:13], 0, v[8:9]
	v_not_b32_e32 v9, v9
	v_ashrrev_i32_e32 v9, 31, v9
	v_xor_b32_e32 v10, s13, v9
	v_xor_b32_e32 v9, s12, v9
	; wave barrier
	ds_read_b32 v29, v30 offset:32
	v_and_b32_e32 v11, v31, v10
	v_and_b32_e32 v10, v32, v9
	v_mbcnt_lo_u32_b32 v9, v10, 0
	v_mbcnt_hi_u32_b32 v31, v11, v9
	v_cmp_eq_u32_e64 s[12:13], 0, v31
	v_cmp_ne_u64_e64 s[14:15], 0, v[10:11]
	s_and_b64 s[14:15], s[14:15], s[12:13]
	; wave barrier
	s_and_saveexec_b64 s[12:13], s[14:15]
	s_cbranch_execz .LBB24_23
; %bb.22:
	v_bcnt_u32_b32 v9, v10, 0
	v_bcnt_u32_b32 v9, v11, v9
	s_waitcnt lgkmcnt(0)
	v_add_u32_e32 v9, v29, v9
	ds_write_b32 v30, v9 offset:32
.LBB24_23:
	s_or_b64 exec, exec, s[12:13]
	v_lshrrev_b32_sdwa v9, s48, v13 dst_sel:DWORD dst_unused:UNUSED_PAD src0_sel:DWORD src1_sel:BYTE_0
	v_and_b32_e32 v10, s33, v9
	v_mul_u32_u24_e32 v9, 9, v10
	v_add_lshl_u32 v26, v26, v9, 2
	v_and_b32_e32 v9, 1, v10
	v_add_co_u32_e64 v11, s[12:13], -1, v9
	v_addc_co_u32_e64 v34, s[12:13], 0, -1, s[12:13]
	v_cmp_ne_u32_e64 s[12:13], 0, v9
	v_xor_b32_e32 v9, s13, v34
	v_and_b32_e32 v34, exec_hi, v9
	v_lshlrev_b32_e32 v9, 30, v10
	v_xor_b32_e32 v11, s12, v11
	v_cmp_gt_i64_e64 s[12:13], 0, v[8:9]
	v_not_b32_e32 v9, v9
	v_ashrrev_i32_e32 v9, 31, v9
	v_and_b32_e32 v11, exec_lo, v11
	v_xor_b32_e32 v35, s13, v9
	v_xor_b32_e32 v9, s12, v9
	v_and_b32_e32 v11, v11, v9
	v_lshlrev_b32_e32 v9, 29, v10
	v_cmp_gt_i64_e64 s[12:13], 0, v[8:9]
	v_not_b32_e32 v9, v9
	v_ashrrev_i32_e32 v9, 31, v9
	v_and_b32_e32 v34, v34, v35
	v_xor_b32_e32 v35, s13, v9
	v_xor_b32_e32 v9, s12, v9
	v_and_b32_e32 v11, v11, v9
	v_lshlrev_b32_e32 v9, 28, v10
	v_cmp_gt_i64_e64 s[12:13], 0, v[8:9]
	v_not_b32_e32 v9, v9
	v_ashrrev_i32_e32 v9, 31, v9
	v_and_b32_e32 v34, v34, v35
	;; [unrolled: 8-line block ×5, first 2 shown]
	v_xor_b32_e32 v35, s13, v9
	v_xor_b32_e32 v9, s12, v9
	v_and_b32_e32 v11, v11, v9
	v_lshlrev_b32_e32 v9, 24, v10
	v_cmp_gt_i64_e64 s[12:13], 0, v[8:9]
	v_not_b32_e32 v8, v9
	v_ashrrev_i32_e32 v8, 31, v8
	v_xor_b32_e32 v9, s13, v8
	v_xor_b32_e32 v8, s12, v8
	; wave barrier
	ds_read_b32 v32, v26 offset:32
	v_and_b32_e32 v34, v34, v35
	v_and_b32_e32 v8, v11, v8
	;; [unrolled: 1-line block ×3, first 2 shown]
	v_mbcnt_lo_u32_b32 v10, v8, 0
	v_mbcnt_hi_u32_b32 v34, v9, v10
	v_cmp_eq_u32_e64 s[12:13], 0, v34
	v_cmp_ne_u64_e64 s[14:15], 0, v[8:9]
	v_add_u32_e32 v33, 32, v16
	s_and_b64 s[14:15], s[14:15], s[12:13]
	; wave barrier
	s_and_saveexec_b64 s[12:13], s[14:15]
	s_cbranch_execz .LBB24_25
; %bb.24:
	v_bcnt_u32_b32 v8, v8, 0
	v_bcnt_u32_b32 v8, v9, v8
	s_waitcnt lgkmcnt(0)
	v_add_u32_e32 v8, v32, v8
	ds_write_b32 v26, v8 offset:32
.LBB24_25:
	s_or_b64 exec, exec, s[12:13]
	; wave barrier
	s_waitcnt lgkmcnt(0)
	s_barrier
	ds_read2_b32 v[10:11], v16 offset0:8 offset1:9
	ds_read2_b32 v[8:9], v33 offset0:2 offset1:3
	ds_read_b32 v35, v33 offset:16
	v_min_u32_e32 v15, 0x1c0, v15
	v_or_b32_e32 v15, 63, v15
	s_waitcnt lgkmcnt(1)
	v_add3_u32 v36, v11, v10, v8
	s_waitcnt lgkmcnt(0)
	v_add3_u32 v35, v36, v9, v35
	v_and_b32_e32 v36, 15, v6
	v_cmp_ne_u32_e64 s[12:13], 0, v36
	v_mov_b32_dpp v37, v35 row_shr:1 row_mask:0xf bank_mask:0xf
	v_cndmask_b32_e64 v37, 0, v37, s[12:13]
	v_add_u32_e32 v35, v37, v35
	v_cmp_lt_u32_e64 s[12:13], 1, v36
	s_nop 0
	v_mov_b32_dpp v37, v35 row_shr:2 row_mask:0xf bank_mask:0xf
	v_cndmask_b32_e64 v37, 0, v37, s[12:13]
	v_add_u32_e32 v35, v35, v37
	v_cmp_lt_u32_e64 s[12:13], 3, v36
	s_nop 0
	;; [unrolled: 5-line block ×3, first 2 shown]
	v_mov_b32_dpp v37, v35 row_shr:8 row_mask:0xf bank_mask:0xf
	v_cndmask_b32_e64 v36, 0, v37, s[12:13]
	v_add_u32_e32 v35, v35, v36
	v_bfe_i32 v37, v6, 4, 1
	v_cmp_lt_u32_e64 s[12:13], 31, v6
	v_mov_b32_dpp v36, v35 row_bcast:15 row_mask:0xf bank_mask:0xf
	v_and_b32_e32 v36, v37, v36
	v_add_u32_e32 v35, v35, v36
	s_nop 1
	v_mov_b32_dpp v36, v35 row_bcast:31 row_mask:0xf bank_mask:0xf
	v_cndmask_b32_e64 v36, 0, v36, s[12:13]
	v_add_u32_e32 v35, v35, v36
	v_lshrrev_b32_e32 v36, 6, v2
	v_cmp_eq_u32_e64 s[12:13], v15, v2
	s_and_saveexec_b64 s[14:15], s[12:13]
	s_cbranch_execz .LBB24_27
; %bb.26:
	v_lshlrev_b32_e32 v15, 2, v36
	ds_write_b32 v15, v35
.LBB24_27:
	s_or_b64 exec, exec, s[14:15]
	v_cmp_gt_u32_e64 s[12:13], 8, v2
	s_waitcnt lgkmcnt(0)
	s_barrier
	s_and_saveexec_b64 s[14:15], s[12:13]
	s_cbranch_execz .LBB24_29
; %bb.28:
	v_lshlrev_b32_e32 v15, 2, v2
	ds_read_b32 v37, v15
	v_and_b32_e32 v38, 7, v6
	v_cmp_ne_u32_e64 s[12:13], 0, v38
	s_waitcnt lgkmcnt(0)
	v_mov_b32_dpp v39, v37 row_shr:1 row_mask:0xf bank_mask:0xf
	v_cndmask_b32_e64 v39, 0, v39, s[12:13]
	v_add_u32_e32 v37, v39, v37
	v_cmp_lt_u32_e64 s[12:13], 1, v38
	s_nop 0
	v_mov_b32_dpp v39, v37 row_shr:2 row_mask:0xf bank_mask:0xf
	v_cndmask_b32_e64 v39, 0, v39, s[12:13]
	v_add_u32_e32 v37, v37, v39
	v_cmp_lt_u32_e64 s[12:13], 3, v38
	s_nop 0
	v_mov_b32_dpp v39, v37 row_shr:4 row_mask:0xf bank_mask:0xf
	v_cndmask_b32_e64 v38, 0, v39, s[12:13]
	v_add_u32_e32 v37, v37, v38
	ds_write_b32 v15, v37
.LBB24_29:
	s_or_b64 exec, exec, s[14:15]
	v_cmp_lt_u32_e64 s[12:13], 63, v2
	v_mov_b32_e32 v15, 0
	s_waitcnt lgkmcnt(0)
	s_barrier
	s_and_saveexec_b64 s[14:15], s[12:13]
	s_cbranch_execz .LBB24_31
; %bb.30:
	v_lshl_add_u32 v15, v36, 2, -4
	ds_read_b32 v15, v15
.LBB24_31:
	s_or_b64 exec, exec, s[14:15]
	v_add_u32_e32 v36, -1, v6
	v_and_b32_e32 v37, 64, v6
	v_cmp_lt_i32_e64 s[12:13], v36, v37
	v_cndmask_b32_e64 v36, v36, v6, s[12:13]
	s_waitcnt lgkmcnt(0)
	v_add_u32_e32 v35, v15, v35
	v_lshlrev_b32_e32 v36, 2, v36
	ds_bpermute_b32 v35, v36, v35
	v_cmp_eq_u32_e64 s[12:13], 0, v6
	s_waitcnt lgkmcnt(0)
	v_cndmask_b32_e64 v15, v35, v15, s[12:13]
	v_cmp_ne_u32_e64 s[12:13], 0, v2
	v_cndmask_b32_e64 v15, 0, v15, s[12:13]
	v_add_u32_e32 v10, v15, v10
	v_add_u32_e32 v11, v10, v11
	;; [unrolled: 1-line block ×4, first 2 shown]
	ds_write2_b32 v16, v15, v10 offset0:8 offset1:9
	ds_write2_b32 v33, v11, v8 offset0:2 offset1:3
	ds_write_b32 v33, v9 offset:16
	s_waitcnt lgkmcnt(0)
	s_barrier
	ds_read_b32 v10, v19 offset:32
	ds_read_b32 v11, v20 offset:32
	;; [unrolled: 1-line block ×6, first 2 shown]
	s_movk_i32 s12, 0x100
	v_cmp_gt_u32_e64 s[12:13], s12, v2
	v_pk_mov_b32 v[8:9], 0, 0
                                        ; implicit-def: $vgpr20
	s_and_saveexec_b64 s[16:17], s[12:13]
	s_cbranch_execz .LBB24_35
; %bb.32:
	v_mul_u32_u24_e32 v8, 9, v2
	v_lshlrev_b32_e32 v20, 2, v8
	ds_read_b32 v8, v20 offset:32
	s_movk_i32 s14, 0xff
	v_cmp_ne_u32_e64 s[14:15], s14, v2
	v_mov_b32_e32 v9, 0xc00
	s_and_saveexec_b64 s[18:19], s[14:15]
	s_cbranch_execz .LBB24_34
; %bb.33:
	ds_read_b32 v9, v20 offset:68
.LBB24_34:
	s_or_b64 exec, exec, s[18:19]
	s_waitcnt lgkmcnt(0)
	v_sub_u32_e32 v20, v9, v8
	v_mov_b32_e32 v9, 0
.LBB24_35:
	s_or_b64 exec, exec, s[16:17]
	s_waitcnt lgkmcnt(5)
	v_add_u32_e32 v27, v10, v17
	s_waitcnt lgkmcnt(4)
	v_add3_u32 v26, v21, v18, v11
	s_waitcnt lgkmcnt(3)
	v_add3_u32 v24, v24, v22, v15
	;; [unrolled: 2-line block ×5, first 2 shown]
	s_barrier
	ds_write_b8 v27, v5 offset:2048
	ds_write_b8 v26, v3 offset:2048
	;; [unrolled: 1-line block ×6, first 2 shown]
	s_waitcnt lgkmcnt(0)
	s_barrier
	s_and_saveexec_b64 s[16:17], s[12:13]
	s_cbranch_execz .LBB24_45
; %bb.36:
	v_lshl_or_b32 v10, s6, 8, v2
	v_mov_b32_e32 v11, 0
	v_lshlrev_b64 v[12:13], 2, v[10:11]
	v_mov_b32_e32 v3, s35
	v_add_co_u32_e64 v12, s[14:15], s34, v12
	v_addc_co_u32_e64 v13, s[14:15], v3, v13, s[14:15]
	v_or_b32_e32 v5, 2.0, v20
	global_store_dword v[12:13], v5, off
	s_mov_b64 s[18:19], 0
	s_brev_b32 s24, 1
	s_mov_b32 s25, s6
	v_mov_b32_e32 v5, 0
                                        ; implicit-def: $sgpr14_sgpr15
	s_branch .LBB24_38
.LBB24_37:                              ;   in Loop: Header=BB24_38 Depth=1
	s_or_b64 exec, exec, s[20:21]
	v_and_b32_e32 v10, 0x3fffffff, v10
	v_add_u32_e32 v5, v10, v5
	v_cmp_eq_u32_e64 s[14:15], s24, v7
	s_and_b64 s[20:21], exec, s[14:15]
	s_or_b64 s[18:19], s[20:21], s[18:19]
	s_andn2_b64 exec, exec, s[18:19]
	s_cbranch_execz .LBB24_44
.LBB24_38:                              ; =>This Loop Header: Depth=1
                                        ;     Child Loop BB24_41 Depth 2
	s_or_b64 s[14:15], s[14:15], exec
	s_cmp_eq_u32 s25, 0
	s_cbranch_scc1 .LBB24_43
; %bb.39:                               ;   in Loop: Header=BB24_38 Depth=1
	s_add_i32 s25, s25, -1
	v_lshl_or_b32 v10, s25, 8, v2
	v_lshlrev_b64 v[14:15], 2, v[10:11]
	v_add_co_u32_e64 v14, s[14:15], s34, v14
	v_addc_co_u32_e64 v15, s[14:15], v3, v15, s[14:15]
	global_load_dword v10, v[14:15], off glc
	s_waitcnt vmcnt(0)
	v_and_b32_e32 v7, -2.0, v10
	v_cmp_eq_u32_e64 s[14:15], 0, v7
	s_and_saveexec_b64 s[20:21], s[14:15]
	s_cbranch_execz .LBB24_37
; %bb.40:                               ;   in Loop: Header=BB24_38 Depth=1
	s_mov_b64 s[22:23], 0
.LBB24_41:                              ;   Parent Loop BB24_38 Depth=1
                                        ; =>  This Inner Loop Header: Depth=2
	global_load_dword v10, v[14:15], off glc
	s_waitcnt vmcnt(0)
	v_and_b32_e32 v7, -2.0, v10
	v_cmp_ne_u32_e64 s[14:15], 0, v7
	s_or_b64 s[22:23], s[14:15], s[22:23]
	s_andn2_b64 exec, exec, s[22:23]
	s_cbranch_execnz .LBB24_41
; %bb.42:                               ;   in Loop: Header=BB24_38 Depth=1
	s_or_b64 exec, exec, s[22:23]
	s_branch .LBB24_37
.LBB24_43:                              ;   in Loop: Header=BB24_38 Depth=1
                                        ; implicit-def: $sgpr25
	s_and_b64 s[20:21], exec, s[14:15]
	s_or_b64 s[18:19], s[20:21], s[18:19]
	s_andn2_b64 exec, exec, s[18:19]
	s_cbranch_execnz .LBB24_38
.LBB24_44:
	s_or_b64 exec, exec, s[18:19]
	v_add_u32_e32 v3, v5, v20
	v_or_b32_e32 v3, 0x80000000, v3
	global_store_dword v[12:13], v3, off
	v_lshlrev_b32_e32 v3, 3, v2
	global_load_dwordx2 v[10:11], v3, s[44:45]
	v_sub_co_u32_e64 v5, s[14:15], v5, v8
	v_subb_co_u32_e64 v7, s[14:15], 0, v9, s[14:15]
	s_waitcnt vmcnt(0)
	v_add_co_u32_e64 v10, s[14:15], v5, v10
	v_addc_co_u32_e64 v11, s[14:15], v7, v11, s[14:15]
	ds_write_b64 v3, v[10:11]
.LBB24_45:
	s_or_b64 exec, exec, s[16:17]
	v_cmp_gt_u32_e64 s[14:15], s50, v2
	s_waitcnt lgkmcnt(0)
	s_barrier
	s_and_saveexec_b64 s[18:19], s[14:15]
	s_cbranch_execz .LBB24_47
; %bb.46:
	ds_read_u8 v3, v2 offset:2048
	s_waitcnt lgkmcnt(0)
	v_lshrrev_b32_sdwa v5, s48, v3 dst_sel:DWORD dst_unused:UNUSED_PAD src0_sel:DWORD src1_sel:BYTE_0
	v_and_b32_e32 v5, s33, v5
	v_lshlrev_b32_e32 v5, 3, v5
	ds_read_b64 v[10:11], v5
	v_mov_b32_e32 v5, s39
	s_waitcnt lgkmcnt(0)
	v_add_co_u32_e64 v7, s[16:17], s38, v10
	v_addc_co_u32_e64 v5, s[16:17], v5, v11, s[16:17]
	v_add_co_u32_e64 v10, s[16:17], v7, v2
	v_addc_co_u32_e64 v11, s[16:17], 0, v5, s[16:17]
	global_store_byte v[10:11], v3, off
.LBB24_47:
	s_or_b64 exec, exec, s[18:19]
	v_add_u32_e32 v3, 0x200, v2
	v_cmp_gt_u32_e64 s[16:17], s50, v3
	s_and_saveexec_b64 s[20:21], s[16:17]
	s_cbranch_execz .LBB24_49
; %bb.48:
	ds_read_u8 v5, v2 offset:2560
	s_waitcnt lgkmcnt(0)
	v_lshrrev_b32_sdwa v7, s48, v5 dst_sel:DWORD dst_unused:UNUSED_PAD src0_sel:DWORD src1_sel:BYTE_0
	v_and_b32_e32 v7, s33, v7
	v_lshlrev_b32_e32 v7, 3, v7
	ds_read_b64 v[10:11], v7
	v_mov_b32_e32 v7, s39
	s_waitcnt lgkmcnt(0)
	v_add_co_u32_e64 v10, s[18:19], s38, v10
	v_addc_co_u32_e64 v7, s[18:19], v7, v11, s[18:19]
	v_add_co_u32_e64 v10, s[18:19], v10, v2
	v_addc_co_u32_e64 v11, s[18:19], 0, v7, s[18:19]
	global_store_byte v[10:11], v5, off offset:512
.LBB24_49:
	s_or_b64 exec, exec, s[20:21]
	v_or_b32_e32 v25, 0x400, v2
	v_cmp_gt_u32_e64 s[18:19], s50, v25
	s_and_saveexec_b64 s[22:23], s[18:19]
	s_cbranch_execz .LBB24_51
; %bb.50:
	ds_read_u8 v5, v2 offset:3072
	s_waitcnt lgkmcnt(0)
	v_lshrrev_b32_sdwa v7, s48, v5 dst_sel:DWORD dst_unused:UNUSED_PAD src0_sel:DWORD src1_sel:BYTE_0
	v_and_b32_e32 v7, s33, v7
	v_lshlrev_b32_e32 v7, 3, v7
	ds_read_b64 v[10:11], v7
	v_mov_b32_e32 v7, s39
	s_waitcnt lgkmcnt(0)
	v_add_co_u32_e64 v10, s[20:21], s38, v10
	v_addc_co_u32_e64 v7, s[20:21], v7, v11, s[20:21]
	v_add_co_u32_e64 v10, s[20:21], v10, v2
	v_addc_co_u32_e64 v11, s[20:21], 0, v7, s[20:21]
	global_store_byte v[10:11], v5, off offset:1024
.LBB24_51:
	s_or_b64 exec, exec, s[22:23]
	v_add_u32_e32 v28, 0x600, v2
	v_cmp_gt_u32_e64 s[20:21], s50, v28
	s_and_saveexec_b64 s[24:25], s[20:21]
	s_cbranch_execz .LBB24_53
; %bb.52:
	ds_read_u8 v5, v2 offset:3584
	s_waitcnt lgkmcnt(0)
	v_lshrrev_b32_sdwa v7, s48, v5 dst_sel:DWORD dst_unused:UNUSED_PAD src0_sel:DWORD src1_sel:BYTE_0
	v_and_b32_e32 v7, s33, v7
	v_lshlrev_b32_e32 v7, 3, v7
	ds_read_b64 v[10:11], v7
	v_mov_b32_e32 v7, s39
	s_waitcnt lgkmcnt(0)
	v_add_co_u32_e64 v10, s[22:23], s38, v10
	v_addc_co_u32_e64 v7, s[22:23], v7, v11, s[22:23]
	v_add_co_u32_e64 v10, s[22:23], v10, v2
	v_addc_co_u32_e64 v11, s[22:23], 0, v7, s[22:23]
	global_store_byte v[10:11], v5, off offset:1536
.LBB24_53:
	s_or_b64 exec, exec, s[24:25]
	v_or_b32_e32 v29, 0x800, v2
	v_cmp_gt_u32_e64 s[22:23], s50, v29
	s_and_saveexec_b64 s[28:29], s[22:23]
	s_cbranch_execz .LBB24_55
; %bb.54:
	ds_read_u8 v5, v2 offset:4096
	s_waitcnt lgkmcnt(0)
	v_lshrrev_b32_sdwa v7, s48, v5 dst_sel:DWORD dst_unused:UNUSED_PAD src0_sel:DWORD src1_sel:BYTE_0
	v_and_b32_e32 v7, s33, v7
	v_lshlrev_b32_e32 v7, 3, v7
	ds_read_b64 v[10:11], v7
	v_mov_b32_e32 v7, s39
	s_waitcnt lgkmcnt(0)
	v_add_co_u32_e64 v10, s[24:25], s38, v10
	v_addc_co_u32_e64 v7, s[24:25], v7, v11, s[24:25]
	v_add_co_u32_e64 v10, s[24:25], v10, v2
	v_addc_co_u32_e64 v11, s[24:25], 0, v7, s[24:25]
	global_store_byte v[10:11], v5, off offset:2048
.LBB24_55:
	s_or_b64 exec, exec, s[28:29]
	v_add_u32_e32 v30, 0xa00, v2
	v_cmp_gt_u32_e64 s[24:25], s50, v30
	s_and_saveexec_b64 s[50:51], s[24:25]
	s_cbranch_execz .LBB24_57
; %bb.56:
	ds_read_u8 v5, v2 offset:4608
	s_waitcnt lgkmcnt(0)
	v_lshrrev_b32_sdwa v7, s48, v5 dst_sel:DWORD dst_unused:UNUSED_PAD src0_sel:DWORD src1_sel:BYTE_0
	v_and_b32_e32 v7, s33, v7
	v_lshlrev_b32_e32 v7, 3, v7
	ds_read_b64 v[10:11], v7
	v_mov_b32_e32 v7, s39
	s_waitcnt lgkmcnt(0)
	v_add_co_u32_e64 v10, s[28:29], s38, v10
	v_addc_co_u32_e64 v7, s[28:29], v7, v11, s[28:29]
	v_add_co_u32_e64 v10, s[28:29], v10, v2
	v_addc_co_u32_e64 v11, s[28:29], 0, v7, s[28:29]
	global_store_byte v[10:11], v5, off offset:2560
.LBB24_57:
	s_or_b64 exec, exec, s[50:51]
	s_lshl_b64 s[28:29], s[30:31], 3
	s_add_u32 s28, s40, s28
	s_addc_u32 s29, s41, s29
	v_lshlrev_b32_e32 v5, 3, v6
	v_mov_b32_e32 v6, s29
	v_add_co_u32_e64 v5, s[28:29], s28, v5
	v_addc_co_u32_e64 v6, s[28:29], 0, v6, s[28:29]
	v_lshlrev_b32_e32 v4, 3, v4
	v_add_co_u32_e64 v18, s[28:29], v5, v4
	v_addc_co_u32_e64 v19, s[28:29], 0, v6, s[28:29]
                                        ; implicit-def: $vgpr4_vgpr5
	s_and_saveexec_b64 s[28:29], vcc
	s_xor_b64 s[28:29], exec, s[28:29]
	s_cbranch_execnz .LBB24_127
; %bb.58:
	s_or_b64 exec, exec, s[28:29]
                                        ; implicit-def: $vgpr6_vgpr7
	s_and_saveexec_b64 s[28:29], s[0:1]
	s_cbranch_execnz .LBB24_128
.LBB24_59:
	s_or_b64 exec, exec, s[28:29]
                                        ; implicit-def: $vgpr10_vgpr11
	s_and_saveexec_b64 s[0:1], s[2:3]
	s_cbranch_execnz .LBB24_129
.LBB24_60:
	s_or_b64 exec, exec, s[0:1]
                                        ; implicit-def: $vgpr12_vgpr13
	s_and_saveexec_b64 s[0:1], s[26:27]
	s_cbranch_execnz .LBB24_130
.LBB24_61:
	s_or_b64 exec, exec, s[0:1]
                                        ; implicit-def: $vgpr14_vgpr15
	s_and_saveexec_b64 s[0:1], s[8:9]
	s_cbranch_execnz .LBB24_131
.LBB24_62:
	s_or_b64 exec, exec, s[0:1]
                                        ; implicit-def: $vgpr16_vgpr17
	s_and_saveexec_b64 s[0:1], s[10:11]
	s_cbranch_execz .LBB24_64
.LBB24_63:
	global_load_dwordx2 v[16:17], v[18:19], off offset:2560
.LBB24_64:
	s_or_b64 exec, exec, s[0:1]
	v_mov_b32_e32 v32, 0
	v_mov_b32_e32 v34, 0
	s_and_saveexec_b64 s[0:1], s[14:15]
	s_cbranch_execz .LBB24_66
; %bb.65:
	ds_read_u8 v18, v2 offset:2048
	s_waitcnt lgkmcnt(0)
	v_lshrrev_b32_e32 v18, s48, v18
	v_and_b32_e32 v34, s33, v18
.LBB24_66:
	s_or_b64 exec, exec, s[0:1]
	s_and_saveexec_b64 s[0:1], s[16:17]
	s_cbranch_execz .LBB24_68
; %bb.67:
	ds_read_u8 v18, v2 offset:2560
	s_waitcnt lgkmcnt(0)
	v_lshrrev_b32_e32 v18, s48, v18
	v_and_b32_e32 v32, s33, v18
.LBB24_68:
	s_or_b64 exec, exec, s[0:1]
	v_mov_b32_e32 v19, 0
	v_mov_b32_e32 v33, 0
	s_and_saveexec_b64 s[0:1], s[18:19]
	s_cbranch_execz .LBB24_70
; %bb.69:
	ds_read_u8 v18, v2 offset:3072
	s_waitcnt lgkmcnt(0)
	v_lshrrev_b32_e32 v18, s48, v18
	v_and_b32_e32 v33, s33, v18
.LBB24_70:
	s_or_b64 exec, exec, s[0:1]
	s_and_saveexec_b64 s[0:1], s[20:21]
	s_cbranch_execz .LBB24_72
; %bb.71:
	ds_read_u8 v18, v2 offset:3584
	s_waitcnt lgkmcnt(0)
	v_lshrrev_b32_e32 v18, s48, v18
	v_and_b32_e32 v19, s33, v18
.LBB24_72:
	;; [unrolled: 20-line block ×3, first 2 shown]
	s_or_b64 exec, exec, s[0:1]
	v_lshlrev_b32_e32 v27, 3, v27
	s_barrier
	s_waitcnt vmcnt(0)
	ds_write_b64 v27, v[4:5] offset:2048
	v_lshlrev_b32_e32 v4, 3, v26
	ds_write_b64 v4, v[6:7] offset:2048
	v_lshlrev_b32_e32 v4, 3, v24
	;; [unrolled: 2-line block ×6, first 2 shown]
	s_waitcnt lgkmcnt(0)
	s_barrier
	s_and_saveexec_b64 s[0:1], s[14:15]
	s_cbranch_execnz .LBB24_132
; %bb.77:
	s_or_b64 exec, exec, s[0:1]
	s_and_saveexec_b64 s[0:1], s[16:17]
	s_cbranch_execnz .LBB24_133
.LBB24_78:
	s_or_b64 exec, exec, s[0:1]
	s_and_saveexec_b64 s[0:1], s[18:19]
	s_cbranch_execnz .LBB24_134
.LBB24_79:
	s_or_b64 exec, exec, s[0:1]
	s_and_saveexec_b64 s[0:1], s[20:21]
	s_cbranch_execnz .LBB24_135
.LBB24_80:
	s_or_b64 exec, exec, s[0:1]
	s_and_saveexec_b64 s[0:1], s[22:23]
	s_cbranch_execnz .LBB24_136
.LBB24_81:
	s_or_b64 exec, exec, s[0:1]
	s_and_saveexec_b64 s[0:1], s[24:25]
	s_cbranch_execz .LBB24_83
.LBB24_82:
	v_lshlrev_b32_e32 v3, 3, v18
	ds_read_b64 v[6:7], v3
	ds_read_b64 v[4:5], v4 offset:22528
	v_mov_b32_e32 v3, s43
	s_waitcnt lgkmcnt(1)
	v_lshlrev_b64 v[6:7], 3, v[6:7]
	v_add_co_u32_e32 v6, vcc, s42, v6
	v_addc_co_u32_e32 v3, vcc, v3, v7, vcc
	v_lshlrev_b32_e32 v7, 3, v30
	v_add_co_u32_e32 v6, vcc, v6, v7
	v_addc_co_u32_e32 v7, vcc, 0, v3, vcc
	s_waitcnt lgkmcnt(0)
	global_store_dwordx2 v[6:7], v[4:5], off
.LBB24_83:
	s_or_b64 exec, exec, s[0:1]
	s_add_i32 s7, s7, -1
	s_cmp_eq_u32 s6, s7
	s_cselect_b64 s[0:1], -1, 0
	s_and_b64 s[2:3], s[12:13], s[0:1]
	s_mov_b64 s[0:1], 0
	s_mov_b64 s[8:9], 0
                                        ; implicit-def: $vgpr4_vgpr5
	s_and_saveexec_b64 s[10:11], s[2:3]
	s_xor_b64 s[2:3], exec, s[10:11]
; %bb.84:
	v_add_co_u32_e32 v4, vcc, v8, v20
	s_mov_b64 s[8:9], exec
	v_mov_b32_e32 v3, 0
	v_addc_co_u32_e32 v5, vcc, 0, v9, vcc
; %bb.85:
	s_or_b64 exec, exec, s[2:3]
	s_and_b64 vcc, exec, s[0:1]
	s_cbranch_vccnz .LBB24_87
	s_branch .LBB24_124
.LBB24_86:
	s_mov_b64 s[8:9], 0
                                        ; implicit-def: $vgpr4_vgpr5
                                        ; implicit-def: $vgpr2_vgpr3
	s_cbranch_execz .LBB24_124
.LBB24_87:
	s_add_u32 s0, s36, s30
	v_and_b32_e32 v2, 0x3ff, v0
	s_addc_u32 s1, s37, 0
	v_mbcnt_hi_u32_b32 v6, -1, v1
	v_and_b32_e32 v14, 0x1c0, v2
	v_mov_b32_e32 v1, s1
	v_add_co_u32_e32 v3, vcc, s0, v6
	v_mul_u32_u24_e32 v4, 6, v14
	v_addc_co_u32_e32 v1, vcc, 0, v1, vcc
	v_add_co_u32_e32 v16, vcc, v3, v4
	v_addc_co_u32_e32 v17, vcc, 0, v1, vcc
	global_load_ubyte v3, v[16:17], off
	s_load_dword s0, s[4:5], 0x5c
	s_load_dword s7, s[4:5], 0x50
	s_add_u32 s1, s4, 0x50
	s_addc_u32 s2, s5, 0
	v_mov_b32_e32 v8, 0
	s_waitcnt lgkmcnt(0)
	s_lshr_b32 s3, s0, 16
	s_cmp_lt_u32 s6, s7
	s_cselect_b32 s0, 12, 18
	s_add_u32 s0, s1, s0
	s_addc_u32 s1, s2, 0
	global_load_ushort v1, v8, s[0:1]
	v_mul_u32_u24_e32 v5, 5, v2
	v_lshlrev_b32_e32 v13, 2, v5
	ds_write2_b32 v13, v8, v8 offset0:8 offset1:9
	ds_write2_b32 v13, v8, v8 offset0:10 offset1:11
	ds_write_b32 v13, v8 offset:48
	global_load_ubyte v5, v[16:17], off offset:64
	global_load_ubyte v7, v[16:17], off offset:128
	;; [unrolled: 1-line block ×5, first 2 shown]
	v_bfe_u32 v9, v0, 10, 10
	v_bfe_u32 v0, v0, 20, 10
	s_lshl_b32 s0, -1, s49
	v_mad_u32_u24 v0, v0, s3, v9
	s_not_b32 s14, s0
	s_mov_b32 s31, 0
	s_waitcnt lgkmcnt(0)
	s_barrier
	s_waitcnt lgkmcnt(0)
	; wave barrier
	s_waitcnt vmcnt(6)
	v_lshrrev_b32_sdwa v9, s48, v3 dst_sel:DWORD dst_unused:UNUSED_PAD src0_sel:DWORD src1_sel:BYTE_0
	v_and_b32_e32 v15, s14, v9
	v_and_b32_e32 v17, 1, v15
	v_add_co_u32_e32 v18, vcc, -1, v17
	v_lshlrev_b32_e32 v9, 30, v15
	v_addc_co_u32_e64 v19, s[0:1], 0, -1, vcc
	v_cmp_ne_u32_e32 vcc, 0, v17
	v_cmp_gt_i64_e64 s[0:1], 0, v[8:9]
	v_not_b32_e32 v17, v9
	v_lshlrev_b32_e32 v9, 29, v15
	v_xor_b32_e32 v19, vcc_hi, v19
	v_xor_b32_e32 v18, vcc_lo, v18
	v_ashrrev_i32_e32 v17, 31, v17
	v_cmp_gt_i64_e32 vcc, 0, v[8:9]
	v_not_b32_e32 v20, v9
	v_lshlrev_b32_e32 v9, 28, v15
	s_waitcnt vmcnt(5)
	v_mad_u64_u32 v[0:1], s[2:3], v0, v1, v[2:3]
	v_and_b32_e32 v1, exec_hi, v19
	v_and_b32_e32 v18, exec_lo, v18
	v_xor_b32_e32 v19, s1, v17
	v_xor_b32_e32 v17, s0, v17
	v_ashrrev_i32_e32 v20, 31, v20
	v_cmp_gt_i64_e64 s[0:1], 0, v[8:9]
	v_not_b32_e32 v21, v9
	v_lshlrev_b32_e32 v9, 27, v15
	v_lshrrev_b32_e32 v22, 6, v0
	v_and_b32_e32 v0, v1, v19
	v_and_b32_e32 v1, v18, v17
	v_xor_b32_e32 v17, vcc_hi, v20
	v_xor_b32_e32 v18, vcc_lo, v20
	v_ashrrev_i32_e32 v19, 31, v21
	v_cmp_gt_i64_e32 vcc, 0, v[8:9]
	v_not_b32_e32 v9, v9
	v_and_b32_e32 v0, v0, v17
	v_and_b32_e32 v1, v1, v18
	v_xor_b32_e32 v17, s1, v19
	v_xor_b32_e32 v18, s0, v19
	v_ashrrev_i32_e32 v9, 31, v9
	v_and_b32_e32 v0, v0, v17
	v_and_b32_e32 v1, v1, v18
	v_xor_b32_e32 v17, vcc_hi, v9
	v_xor_b32_e32 v9, vcc_lo, v9
	v_and_b32_e32 v1, v1, v9
	v_lshlrev_b32_e32 v9, 26, v15
	v_cmp_gt_i64_e32 vcc, 0, v[8:9]
	v_not_b32_e32 v9, v9
	v_ashrrev_i32_e32 v9, 31, v9
	v_and_b32_e32 v0, v0, v17
	v_xor_b32_e32 v17, vcc_hi, v9
	v_xor_b32_e32 v9, vcc_lo, v9
	v_and_b32_e32 v1, v1, v9
	v_lshlrev_b32_e32 v9, 25, v15
	v_cmp_gt_i64_e32 vcc, 0, v[8:9]
	v_not_b32_e32 v9, v9
	v_ashrrev_i32_e32 v9, 31, v9
	v_and_b32_e32 v0, v0, v17
	v_xor_b32_e32 v17, vcc_hi, v9
	v_xor_b32_e32 v9, vcc_lo, v9
	v_and_b32_e32 v0, v0, v17
	v_and_b32_e32 v17, v1, v9
	v_lshlrev_b32_e32 v9, 24, v15
	v_not_b32_e32 v1, v9
	v_cmp_gt_i64_e32 vcc, 0, v[8:9]
	v_ashrrev_i32_e32 v1, 31, v1
	v_mul_u32_u24_e32 v16, 9, v15
	v_xor_b32_e32 v9, vcc_hi, v1
	v_xor_b32_e32 v15, vcc_lo, v1
	v_and_b32_e32 v1, v0, v9
	v_and_b32_e32 v0, v17, v15
	v_mbcnt_lo_u32_b32 v9, v0, 0
	v_mbcnt_hi_u32_b32 v15, v1, v9
	v_cmp_eq_u32_e32 vcc, 0, v15
	v_cmp_ne_u64_e64 s[0:1], 0, v[0:1]
	v_add_lshl_u32 v16, v22, v16, 2
	s_and_b64 s[2:3], s[0:1], vcc
	s_and_saveexec_b64 s[0:1], s[2:3]
	s_cbranch_execz .LBB24_89
; %bb.88:
	v_bcnt_u32_b32 v0, v0, 0
	v_bcnt_u32_b32 v0, v1, v0
	ds_write_b32 v16, v0 offset:32
.LBB24_89:
	s_or_b64 exec, exec, s[0:1]
	s_waitcnt vmcnt(4)
	v_lshrrev_b32_sdwa v0, s48, v5 dst_sel:DWORD dst_unused:UNUSED_PAD src0_sel:DWORD src1_sel:BYTE_0
	v_and_b32_e32 v0, s14, v0
	v_mul_u32_u24_e32 v1, 9, v0
	v_add_lshl_u32 v18, v22, v1, 2
	v_and_b32_e32 v1, 1, v0
	v_add_co_u32_e32 v9, vcc, -1, v1
	v_addc_co_u32_e64 v19, s[0:1], 0, -1, vcc
	v_cmp_ne_u32_e32 vcc, 0, v1
	v_xor_b32_e32 v9, vcc_lo, v9
	v_xor_b32_e32 v1, vcc_hi, v19
	v_and_b32_e32 v19, exec_lo, v9
	v_lshlrev_b32_e32 v9, 30, v0
	v_cmp_gt_i64_e32 vcc, 0, v[8:9]
	v_not_b32_e32 v9, v9
	v_ashrrev_i32_e32 v9, 31, v9
	v_xor_b32_e32 v20, vcc_hi, v9
	v_xor_b32_e32 v9, vcc_lo, v9
	v_and_b32_e32 v19, v19, v9
	v_lshlrev_b32_e32 v9, 29, v0
	v_cmp_gt_i64_e32 vcc, 0, v[8:9]
	v_not_b32_e32 v9, v9
	v_and_b32_e32 v1, exec_hi, v1
	v_ashrrev_i32_e32 v9, 31, v9
	v_and_b32_e32 v1, v1, v20
	v_xor_b32_e32 v20, vcc_hi, v9
	v_xor_b32_e32 v9, vcc_lo, v9
	v_and_b32_e32 v19, v19, v9
	v_lshlrev_b32_e32 v9, 28, v0
	v_cmp_gt_i64_e32 vcc, 0, v[8:9]
	v_not_b32_e32 v9, v9
	v_ashrrev_i32_e32 v9, 31, v9
	v_and_b32_e32 v1, v1, v20
	v_xor_b32_e32 v20, vcc_hi, v9
	v_xor_b32_e32 v9, vcc_lo, v9
	v_and_b32_e32 v19, v19, v9
	v_lshlrev_b32_e32 v9, 27, v0
	v_cmp_gt_i64_e32 vcc, 0, v[8:9]
	v_not_b32_e32 v9, v9
	;; [unrolled: 8-line block ×4, first 2 shown]
	v_ashrrev_i32_e32 v9, 31, v9
	v_and_b32_e32 v1, v1, v20
	v_xor_b32_e32 v20, vcc_hi, v9
	v_xor_b32_e32 v9, vcc_lo, v9
	v_and_b32_e32 v19, v19, v9
	v_lshlrev_b32_e32 v9, 24, v0
	v_not_b32_e32 v0, v9
	v_cmp_gt_i64_e32 vcc, 0, v[8:9]
	v_ashrrev_i32_e32 v0, 31, v0
	v_xor_b32_e32 v8, vcc_hi, v0
	v_xor_b32_e32 v0, vcc_lo, v0
	; wave barrier
	ds_read_b32 v17, v18 offset:32
	v_and_b32_e32 v1, v1, v20
	v_and_b32_e32 v0, v19, v0
	;; [unrolled: 1-line block ×3, first 2 shown]
	v_mbcnt_lo_u32_b32 v8, v0, 0
	v_mbcnt_hi_u32_b32 v19, v1, v8
	v_cmp_eq_u32_e32 vcc, 0, v19
	v_cmp_ne_u64_e64 s[0:1], 0, v[0:1]
	s_and_b64 s[2:3], s[0:1], vcc
	; wave barrier
	s_and_saveexec_b64 s[0:1], s[2:3]
	s_cbranch_execz .LBB24_91
; %bb.90:
	v_bcnt_u32_b32 v0, v0, 0
	v_bcnt_u32_b32 v0, v1, v0
	s_waitcnt lgkmcnt(0)
	v_add_u32_e32 v0, v17, v0
	ds_write_b32 v18, v0 offset:32
.LBB24_91:
	s_or_b64 exec, exec, s[0:1]
	s_waitcnt vmcnt(3)
	v_lshrrev_b32_sdwa v0, s48, v7 dst_sel:DWORD dst_unused:UNUSED_PAD src0_sel:DWORD src1_sel:BYTE_0
	v_and_b32_e32 v8, s14, v0
	v_and_b32_e32 v1, 1, v8
	v_add_co_u32_e32 v9, vcc, -1, v1
	v_addc_co_u32_e64 v23, s[0:1], 0, -1, vcc
	v_cmp_ne_u32_e32 vcc, 0, v1
	v_mul_u32_u24_e32 v0, 9, v8
	v_xor_b32_e32 v1, vcc_hi, v23
	v_add_lshl_u32 v21, v22, v0, 2
	v_mov_b32_e32 v0, 0
	v_and_b32_e32 v23, exec_hi, v1
	v_lshlrev_b32_e32 v1, 30, v8
	v_xor_b32_e32 v9, vcc_lo, v9
	v_cmp_gt_i64_e32 vcc, 0, v[0:1]
	v_not_b32_e32 v1, v1
	v_ashrrev_i32_e32 v1, 31, v1
	v_and_b32_e32 v9, exec_lo, v9
	v_xor_b32_e32 v24, vcc_hi, v1
	v_xor_b32_e32 v1, vcc_lo, v1
	v_and_b32_e32 v9, v9, v1
	v_lshlrev_b32_e32 v1, 29, v8
	v_cmp_gt_i64_e32 vcc, 0, v[0:1]
	v_not_b32_e32 v1, v1
	v_ashrrev_i32_e32 v1, 31, v1
	v_and_b32_e32 v23, v23, v24
	v_xor_b32_e32 v24, vcc_hi, v1
	v_xor_b32_e32 v1, vcc_lo, v1
	v_and_b32_e32 v9, v9, v1
	v_lshlrev_b32_e32 v1, 28, v8
	v_cmp_gt_i64_e32 vcc, 0, v[0:1]
	v_not_b32_e32 v1, v1
	v_ashrrev_i32_e32 v1, 31, v1
	v_and_b32_e32 v23, v23, v24
	;; [unrolled: 8-line block ×5, first 2 shown]
	v_xor_b32_e32 v24, vcc_hi, v1
	v_xor_b32_e32 v1, vcc_lo, v1
	v_and_b32_e32 v23, v23, v24
	v_and_b32_e32 v24, v9, v1
	v_lshlrev_b32_e32 v1, 24, v8
	v_cmp_gt_i64_e32 vcc, 0, v[0:1]
	v_not_b32_e32 v1, v1
	v_ashrrev_i32_e32 v1, 31, v1
	v_xor_b32_e32 v8, vcc_hi, v1
	v_xor_b32_e32 v1, vcc_lo, v1
	; wave barrier
	ds_read_b32 v20, v21 offset:32
	v_and_b32_e32 v9, v23, v8
	v_and_b32_e32 v8, v24, v1
	v_mbcnt_lo_u32_b32 v1, v8, 0
	v_mbcnt_hi_u32_b32 v23, v9, v1
	v_cmp_eq_u32_e32 vcc, 0, v23
	v_cmp_ne_u64_e64 s[0:1], 0, v[8:9]
	s_and_b64 s[2:3], s[0:1], vcc
	; wave barrier
	s_and_saveexec_b64 s[0:1], s[2:3]
	s_cbranch_execz .LBB24_93
; %bb.92:
	v_bcnt_u32_b32 v1, v8, 0
	v_bcnt_u32_b32 v1, v9, v1
	s_waitcnt lgkmcnt(0)
	v_add_u32_e32 v1, v20, v1
	ds_write_b32 v21, v1 offset:32
.LBB24_93:
	s_or_b64 exec, exec, s[0:1]
	s_waitcnt vmcnt(2)
	v_lshrrev_b32_sdwa v1, s48, v10 dst_sel:DWORD dst_unused:UNUSED_PAD src0_sel:DWORD src1_sel:BYTE_0
	v_and_b32_e32 v8, s14, v1
	v_mul_u32_u24_e32 v1, 9, v8
	v_add_lshl_u32 v25, v22, v1, 2
	v_and_b32_e32 v1, 1, v8
	v_add_co_u32_e32 v9, vcc, -1, v1
	v_addc_co_u32_e64 v26, s[0:1], 0, -1, vcc
	v_cmp_ne_u32_e32 vcc, 0, v1
	v_xor_b32_e32 v1, vcc_hi, v26
	v_and_b32_e32 v26, exec_hi, v1
	v_lshlrev_b32_e32 v1, 30, v8
	v_xor_b32_e32 v9, vcc_lo, v9
	v_cmp_gt_i64_e32 vcc, 0, v[0:1]
	v_not_b32_e32 v1, v1
	v_ashrrev_i32_e32 v1, 31, v1
	v_and_b32_e32 v9, exec_lo, v9
	v_xor_b32_e32 v27, vcc_hi, v1
	v_xor_b32_e32 v1, vcc_lo, v1
	v_and_b32_e32 v9, v9, v1
	v_lshlrev_b32_e32 v1, 29, v8
	v_cmp_gt_i64_e32 vcc, 0, v[0:1]
	v_not_b32_e32 v1, v1
	v_ashrrev_i32_e32 v1, 31, v1
	v_and_b32_e32 v26, v26, v27
	v_xor_b32_e32 v27, vcc_hi, v1
	v_xor_b32_e32 v1, vcc_lo, v1
	v_and_b32_e32 v9, v9, v1
	v_lshlrev_b32_e32 v1, 28, v8
	v_cmp_gt_i64_e32 vcc, 0, v[0:1]
	v_not_b32_e32 v1, v1
	v_ashrrev_i32_e32 v1, 31, v1
	v_and_b32_e32 v26, v26, v27
	;; [unrolled: 8-line block ×5, first 2 shown]
	v_xor_b32_e32 v27, vcc_hi, v1
	v_xor_b32_e32 v1, vcc_lo, v1
	v_and_b32_e32 v9, v9, v1
	v_lshlrev_b32_e32 v1, 24, v8
	v_cmp_gt_i64_e32 vcc, 0, v[0:1]
	v_not_b32_e32 v0, v1
	v_ashrrev_i32_e32 v0, 31, v0
	v_xor_b32_e32 v1, vcc_hi, v0
	v_xor_b32_e32 v0, vcc_lo, v0
	; wave barrier
	ds_read_b32 v24, v25 offset:32
	v_and_b32_e32 v26, v26, v27
	v_and_b32_e32 v0, v9, v0
	v_and_b32_e32 v1, v26, v1
	v_mbcnt_lo_u32_b32 v8, v0, 0
	v_mbcnt_hi_u32_b32 v26, v1, v8
	v_cmp_eq_u32_e32 vcc, 0, v26
	v_cmp_ne_u64_e64 s[0:1], 0, v[0:1]
	s_and_b64 s[2:3], s[0:1], vcc
	; wave barrier
	s_and_saveexec_b64 s[0:1], s[2:3]
	s_cbranch_execz .LBB24_95
; %bb.94:
	v_bcnt_u32_b32 v0, v0, 0
	v_bcnt_u32_b32 v0, v1, v0
	s_waitcnt lgkmcnt(0)
	v_add_u32_e32 v0, v24, v0
	ds_write_b32 v25, v0 offset:32
.LBB24_95:
	s_or_b64 exec, exec, s[0:1]
	s_waitcnt vmcnt(1)
	v_lshrrev_b32_sdwa v0, s48, v11 dst_sel:DWORD dst_unused:UNUSED_PAD src0_sel:DWORD src1_sel:BYTE_0
	v_and_b32_e32 v8, s14, v0
	v_and_b32_e32 v1, 1, v8
	v_add_co_u32_e32 v9, vcc, -1, v1
	v_addc_co_u32_e64 v29, s[0:1], 0, -1, vcc
	v_cmp_ne_u32_e32 vcc, 0, v1
	v_mul_u32_u24_e32 v0, 9, v8
	v_xor_b32_e32 v1, vcc_hi, v29
	v_add_lshl_u32 v28, v22, v0, 2
	v_mov_b32_e32 v0, 0
	v_and_b32_e32 v29, exec_hi, v1
	v_lshlrev_b32_e32 v1, 30, v8
	v_xor_b32_e32 v9, vcc_lo, v9
	v_cmp_gt_i64_e32 vcc, 0, v[0:1]
	v_not_b32_e32 v1, v1
	v_ashrrev_i32_e32 v1, 31, v1
	v_and_b32_e32 v9, exec_lo, v9
	v_xor_b32_e32 v30, vcc_hi, v1
	v_xor_b32_e32 v1, vcc_lo, v1
	v_and_b32_e32 v9, v9, v1
	v_lshlrev_b32_e32 v1, 29, v8
	v_cmp_gt_i64_e32 vcc, 0, v[0:1]
	v_not_b32_e32 v1, v1
	v_ashrrev_i32_e32 v1, 31, v1
	v_and_b32_e32 v29, v29, v30
	v_xor_b32_e32 v30, vcc_hi, v1
	v_xor_b32_e32 v1, vcc_lo, v1
	v_and_b32_e32 v9, v9, v1
	v_lshlrev_b32_e32 v1, 28, v8
	v_cmp_gt_i64_e32 vcc, 0, v[0:1]
	v_not_b32_e32 v1, v1
	v_ashrrev_i32_e32 v1, 31, v1
	v_and_b32_e32 v29, v29, v30
	;; [unrolled: 8-line block ×5, first 2 shown]
	v_xor_b32_e32 v30, vcc_hi, v1
	v_xor_b32_e32 v1, vcc_lo, v1
	v_and_b32_e32 v29, v29, v30
	v_and_b32_e32 v30, v9, v1
	v_lshlrev_b32_e32 v1, 24, v8
	v_cmp_gt_i64_e32 vcc, 0, v[0:1]
	v_not_b32_e32 v1, v1
	v_ashrrev_i32_e32 v1, 31, v1
	v_xor_b32_e32 v8, vcc_hi, v1
	v_xor_b32_e32 v1, vcc_lo, v1
	; wave barrier
	ds_read_b32 v27, v28 offset:32
	v_and_b32_e32 v9, v29, v8
	v_and_b32_e32 v8, v30, v1
	v_mbcnt_lo_u32_b32 v1, v8, 0
	v_mbcnt_hi_u32_b32 v29, v9, v1
	v_cmp_eq_u32_e32 vcc, 0, v29
	v_cmp_ne_u64_e64 s[0:1], 0, v[8:9]
	s_and_b64 s[2:3], s[0:1], vcc
	; wave barrier
	s_and_saveexec_b64 s[0:1], s[2:3]
	s_cbranch_execz .LBB24_97
; %bb.96:
	v_bcnt_u32_b32 v1, v8, 0
	v_bcnt_u32_b32 v1, v9, v1
	s_waitcnt lgkmcnt(0)
	v_add_u32_e32 v1, v27, v1
	ds_write_b32 v28, v1 offset:32
.LBB24_97:
	s_or_b64 exec, exec, s[0:1]
	s_waitcnt vmcnt(0)
	v_lshrrev_b32_sdwa v1, s48, v12 dst_sel:DWORD dst_unused:UNUSED_PAD src0_sel:DWORD src1_sel:BYTE_0
	v_and_b32_e32 v8, s14, v1
	v_mul_u32_u24_e32 v1, 9, v8
	v_add_lshl_u32 v30, v22, v1, 2
	v_and_b32_e32 v1, 1, v8
	v_add_co_u32_e32 v9, vcc, -1, v1
	v_addc_co_u32_e64 v32, s[0:1], 0, -1, vcc
	v_cmp_ne_u32_e32 vcc, 0, v1
	v_xor_b32_e32 v1, vcc_hi, v32
	v_and_b32_e32 v32, exec_hi, v1
	v_lshlrev_b32_e32 v1, 30, v8
	v_xor_b32_e32 v9, vcc_lo, v9
	v_cmp_gt_i64_e32 vcc, 0, v[0:1]
	v_not_b32_e32 v1, v1
	v_ashrrev_i32_e32 v1, 31, v1
	v_and_b32_e32 v9, exec_lo, v9
	v_xor_b32_e32 v33, vcc_hi, v1
	v_xor_b32_e32 v1, vcc_lo, v1
	v_and_b32_e32 v9, v9, v1
	v_lshlrev_b32_e32 v1, 29, v8
	v_cmp_gt_i64_e32 vcc, 0, v[0:1]
	v_not_b32_e32 v1, v1
	v_ashrrev_i32_e32 v1, 31, v1
	v_and_b32_e32 v32, v32, v33
	v_xor_b32_e32 v33, vcc_hi, v1
	v_xor_b32_e32 v1, vcc_lo, v1
	v_and_b32_e32 v9, v9, v1
	v_lshlrev_b32_e32 v1, 28, v8
	v_cmp_gt_i64_e32 vcc, 0, v[0:1]
	v_not_b32_e32 v1, v1
	v_ashrrev_i32_e32 v1, 31, v1
	v_and_b32_e32 v32, v32, v33
	;; [unrolled: 8-line block ×5, first 2 shown]
	v_xor_b32_e32 v33, vcc_hi, v1
	v_xor_b32_e32 v1, vcc_lo, v1
	v_and_b32_e32 v9, v9, v1
	v_lshlrev_b32_e32 v1, 24, v8
	v_cmp_gt_i64_e32 vcc, 0, v[0:1]
	v_not_b32_e32 v0, v1
	v_ashrrev_i32_e32 v0, 31, v0
	v_xor_b32_e32 v1, vcc_hi, v0
	v_xor_b32_e32 v0, vcc_lo, v0
	; wave barrier
	ds_read_b32 v22, v30 offset:32
	v_and_b32_e32 v32, v32, v33
	v_and_b32_e32 v0, v9, v0
	;; [unrolled: 1-line block ×3, first 2 shown]
	v_mbcnt_lo_u32_b32 v8, v0, 0
	v_mbcnt_hi_u32_b32 v32, v1, v8
	v_cmp_eq_u32_e32 vcc, 0, v32
	v_cmp_ne_u64_e64 s[0:1], 0, v[0:1]
	v_add_u32_e32 v31, 32, v13
	s_and_b64 s[2:3], s[0:1], vcc
	; wave barrier
	s_and_saveexec_b64 s[0:1], s[2:3]
	s_cbranch_execz .LBB24_99
; %bb.98:
	v_bcnt_u32_b32 v0, v0, 0
	v_bcnt_u32_b32 v0, v1, v0
	s_waitcnt lgkmcnt(0)
	v_add_u32_e32 v0, v22, v0
	ds_write_b32 v30, v0 offset:32
.LBB24_99:
	s_or_b64 exec, exec, s[0:1]
	; wave barrier
	s_waitcnt lgkmcnt(0)
	s_barrier
	ds_read2_b32 v[8:9], v13 offset0:8 offset1:9
	ds_read2_b32 v[0:1], v31 offset0:2 offset1:3
	ds_read_b32 v33, v31 offset:16
	v_min_u32_e32 v14, 0x1c0, v14
	v_or_b32_e32 v14, 63, v14
	s_waitcnt lgkmcnt(1)
	v_add3_u32 v34, v9, v8, v0
	s_waitcnt lgkmcnt(0)
	v_add3_u32 v33, v34, v1, v33
	v_and_b32_e32 v34, 15, v6
	v_cmp_ne_u32_e32 vcc, 0, v34
	v_mov_b32_dpp v35, v33 row_shr:1 row_mask:0xf bank_mask:0xf
	v_cndmask_b32_e32 v35, 0, v35, vcc
	v_add_u32_e32 v33, v35, v33
	v_cmp_lt_u32_e32 vcc, 1, v34
	s_nop 0
	v_mov_b32_dpp v35, v33 row_shr:2 row_mask:0xf bank_mask:0xf
	v_cndmask_b32_e32 v35, 0, v35, vcc
	v_add_u32_e32 v33, v33, v35
	v_cmp_lt_u32_e32 vcc, 3, v34
	s_nop 0
	;; [unrolled: 5-line block ×3, first 2 shown]
	v_mov_b32_dpp v35, v33 row_shr:8 row_mask:0xf bank_mask:0xf
	v_cndmask_b32_e32 v34, 0, v35, vcc
	v_add_u32_e32 v33, v33, v34
	v_bfe_i32 v35, v6, 4, 1
	v_cmp_lt_u32_e32 vcc, 31, v6
	v_mov_b32_dpp v34, v33 row_bcast:15 row_mask:0xf bank_mask:0xf
	v_and_b32_e32 v34, v35, v34
	v_add_u32_e32 v33, v33, v34
	s_nop 1
	v_mov_b32_dpp v34, v33 row_bcast:31 row_mask:0xf bank_mask:0xf
	v_cndmask_b32_e32 v34, 0, v34, vcc
	v_add_u32_e32 v33, v33, v34
	v_lshrrev_b32_e32 v34, 6, v2
	v_cmp_eq_u32_e32 vcc, v14, v2
	s_and_saveexec_b64 s[0:1], vcc
	s_cbranch_execz .LBB24_101
; %bb.100:
	v_lshlrev_b32_e32 v14, 2, v34
	ds_write_b32 v14, v33
.LBB24_101:
	s_or_b64 exec, exec, s[0:1]
	v_cmp_gt_u32_e32 vcc, 8, v2
	s_waitcnt lgkmcnt(0)
	s_barrier
	s_and_saveexec_b64 s[0:1], vcc
	s_cbranch_execz .LBB24_103
; %bb.102:
	v_lshlrev_b32_e32 v14, 2, v2
	ds_read_b32 v35, v14
	v_and_b32_e32 v36, 7, v6
	v_cmp_ne_u32_e32 vcc, 0, v36
	s_waitcnt lgkmcnt(0)
	v_mov_b32_dpp v37, v35 row_shr:1 row_mask:0xf bank_mask:0xf
	v_cndmask_b32_e32 v37, 0, v37, vcc
	v_add_u32_e32 v35, v37, v35
	v_cmp_lt_u32_e32 vcc, 1, v36
	s_nop 0
	v_mov_b32_dpp v37, v35 row_shr:2 row_mask:0xf bank_mask:0xf
	v_cndmask_b32_e32 v37, 0, v37, vcc
	v_add_u32_e32 v35, v35, v37
	v_cmp_lt_u32_e32 vcc, 3, v36
	s_nop 0
	v_mov_b32_dpp v37, v35 row_shr:4 row_mask:0xf bank_mask:0xf
	v_cndmask_b32_e32 v36, 0, v37, vcc
	v_add_u32_e32 v35, v35, v36
	ds_write_b32 v14, v35
.LBB24_103:
	s_or_b64 exec, exec, s[0:1]
	v_cmp_lt_u32_e32 vcc, 63, v2
	v_mov_b32_e32 v14, 0
	s_waitcnt lgkmcnt(0)
	s_barrier
	s_and_saveexec_b64 s[0:1], vcc
	s_cbranch_execz .LBB24_105
; %bb.104:
	v_lshl_add_u32 v14, v34, 2, -4
	ds_read_b32 v14, v14
.LBB24_105:
	s_or_b64 exec, exec, s[0:1]
	v_add_u32_e32 v34, -1, v6
	v_and_b32_e32 v35, 64, v6
	v_cmp_lt_i32_e32 vcc, v34, v35
	v_cndmask_b32_e32 v34, v34, v6, vcc
	s_waitcnt lgkmcnt(0)
	v_add_u32_e32 v33, v14, v33
	v_lshlrev_b32_e32 v34, 2, v34
	ds_bpermute_b32 v33, v34, v33
	v_cmp_eq_u32_e32 vcc, 0, v6
	s_movk_i32 s2, 0xff
	s_movk_i32 s3, 0x100
	v_cmp_lt_u32_e64 s[0:1], s2, v2
	s_waitcnt lgkmcnt(0)
	v_cndmask_b32_e32 v14, v33, v14, vcc
	v_cmp_ne_u32_e32 vcc, 0, v2
	v_cndmask_b32_e32 v14, 0, v14, vcc
	v_add_u32_e32 v8, v14, v8
	v_add_u32_e32 v9, v8, v9
	;; [unrolled: 1-line block ×4, first 2 shown]
	ds_write2_b32 v13, v14, v8 offset0:8 offset1:9
	ds_write2_b32 v31, v9, v0 offset0:2 offset1:3
	ds_write_b32 v31, v1 offset:16
	s_waitcnt lgkmcnt(0)
	s_barrier
	ds_read_b32 v8, v16 offset:32
	ds_read_b32 v9, v18 offset:32
	;; [unrolled: 1-line block ×6, first 2 shown]
	v_cmp_gt_u32_e32 vcc, s3, v2
	v_pk_mov_b32 v[0:1], 0, 0
                                        ; implicit-def: $vgpr14
	s_and_saveexec_b64 s[4:5], vcc
	s_cbranch_execz .LBB24_109
; %bb.106:
	v_mul_u32_u24_e32 v0, 9, v2
	v_lshlrev_b32_e32 v14, 2, v0
	ds_read_b32 v0, v14 offset:32
	v_cmp_ne_u32_e64 s[2:3], s2, v2
	v_mov_b32_e32 v1, 0xc00
	s_and_saveexec_b64 s[10:11], s[2:3]
	s_cbranch_execz .LBB24_108
; %bb.107:
	ds_read_b32 v1, v14 offset:68
.LBB24_108:
	s_or_b64 exec, exec, s[10:11]
	s_waitcnt lgkmcnt(0)
	v_sub_u32_e32 v14, v1, v0
	v_mov_b32_e32 v1, 0
.LBB24_109:
	s_or_b64 exec, exec, s[4:5]
	s_waitcnt lgkmcnt(5)
	v_add_u32_e32 v21, v8, v15
	s_waitcnt lgkmcnt(4)
	v_add3_u32 v19, v19, v17, v9
	s_waitcnt lgkmcnt(3)
	v_add3_u32 v18, v23, v20, v13
	;; [unrolled: 2-line block ×5, first 2 shown]
	s_barrier
	ds_write_b8 v21, v3 offset:2048
	ds_write_b8 v19, v5 offset:2048
	;; [unrolled: 1-line block ×6, first 2 shown]
	s_waitcnt lgkmcnt(0)
	s_barrier
	s_and_saveexec_b64 s[2:3], s[0:1]
	s_xor_b64 s[0:1], exec, s[2:3]
; %bb.110:
	v_mov_b32_e32 v3, 0
; %bb.111:
	s_andn2_saveexec_b64 s[2:3], s[0:1]
	s_cbranch_execz .LBB24_121
; %bb.112:
	v_lshl_or_b32 v8, s6, 8, v2
	v_mov_b32_e32 v9, 0
	v_lshlrev_b64 v[10:11], 2, v[8:9]
	v_mov_b32_e32 v3, s35
	v_add_co_u32_e64 v10, s[0:1], s34, v10
	v_addc_co_u32_e64 v11, s[0:1], v3, v11, s[0:1]
	v_or_b32_e32 v5, 2.0, v14
	global_store_dword v[10:11], v5, off
	s_mov_b64 s[4:5], 0
	s_brev_b32 s15, 1
	s_mov_b32 s16, s6
	v_mov_b32_e32 v5, 0
                                        ; implicit-def: $sgpr0_sgpr1
	s_branch .LBB24_115
.LBB24_113:                             ;   in Loop: Header=BB24_115 Depth=1
	s_or_b64 exec, exec, s[12:13]
.LBB24_114:                             ;   in Loop: Header=BB24_115 Depth=1
	s_or_b64 exec, exec, s[10:11]
	v_and_b32_e32 v8, 0x3fffffff, v8
	v_add_u32_e32 v5, v8, v5
	v_cmp_eq_u32_e64 s[0:1], s15, v7
	s_and_b64 s[10:11], exec, s[0:1]
	s_or_b64 s[4:5], s[10:11], s[4:5]
	s_andn2_b64 exec, exec, s[4:5]
	s_cbranch_execz .LBB24_120
.LBB24_115:                             ; =>This Loop Header: Depth=1
                                        ;     Child Loop BB24_118 Depth 2
	s_or_b64 s[0:1], s[0:1], exec
	s_cmp_eq_u32 s16, 0
	s_cbranch_scc1 .LBB24_119
; %bb.116:                              ;   in Loop: Header=BB24_115 Depth=1
	s_add_i32 s16, s16, -1
	v_lshl_or_b32 v8, s16, 8, v2
	v_lshlrev_b64 v[12:13], 2, v[8:9]
	v_add_co_u32_e64 v12, s[0:1], s34, v12
	v_addc_co_u32_e64 v13, s[0:1], v3, v13, s[0:1]
	global_load_dword v8, v[12:13], off glc
	s_waitcnt vmcnt(0)
	v_and_b32_e32 v7, -2.0, v8
	v_cmp_eq_u32_e64 s[0:1], 0, v7
	s_and_saveexec_b64 s[10:11], s[0:1]
	s_cbranch_execz .LBB24_114
; %bb.117:                              ;   in Loop: Header=BB24_115 Depth=1
	s_mov_b64 s[12:13], 0
.LBB24_118:                             ;   Parent Loop BB24_115 Depth=1
                                        ; =>  This Inner Loop Header: Depth=2
	global_load_dword v8, v[12:13], off glc
	s_waitcnt vmcnt(0)
	v_and_b32_e32 v7, -2.0, v8
	v_cmp_ne_u32_e64 s[0:1], 0, v7
	s_or_b64 s[12:13], s[0:1], s[12:13]
	s_andn2_b64 exec, exec, s[12:13]
	s_cbranch_execnz .LBB24_118
	s_branch .LBB24_113
.LBB24_119:                             ;   in Loop: Header=BB24_115 Depth=1
                                        ; implicit-def: $sgpr16
	s_and_b64 s[10:11], exec, s[0:1]
	s_or_b64 s[4:5], s[10:11], s[4:5]
	s_andn2_b64 exec, exec, s[4:5]
	s_cbranch_execnz .LBB24_115
.LBB24_120:
	s_or_b64 exec, exec, s[4:5]
	v_add_u32_e32 v3, v5, v14
	v_or_b32_e32 v3, 0x80000000, v3
	global_store_dword v[10:11], v3, off
	v_lshlrev_b32_e32 v7, 3, v2
	global_load_dwordx2 v[8:9], v7, s[44:45]
	v_sub_co_u32_e64 v5, s[0:1], v5, v0
	v_subb_co_u32_e64 v10, s[0:1], 0, v1, s[0:1]
	v_mov_b32_e32 v3, 0
	s_waitcnt vmcnt(0)
	v_add_co_u32_e64 v8, s[0:1], v5, v8
	v_addc_co_u32_e64 v9, s[0:1], v10, v9, s[0:1]
	ds_write_b64 v7, v[8:9]
.LBB24_121:
	s_or_b64 exec, exec, s[2:3]
	s_waitcnt lgkmcnt(0)
	s_barrier
	ds_read_u8 v5, v2 offset:4096
	ds_read_u8 v7, v2 offset:3072
	;; [unrolled: 1-line block ×5, first 2 shown]
	s_waitcnt lgkmcnt(4)
	v_lshrrev_b32_sdwa v8, s48, v5 dst_sel:DWORD dst_unused:UNUSED_PAD src0_sel:DWORD src1_sel:BYTE_0
	v_and_b32_e32 v8, s14, v8
	v_lshlrev_b32_e32 v30, 3, v8
	ds_read_b64 v[8:9], v30
	ds_read_u8 v31, v2 offset:2048
	s_waitcnt lgkmcnt(2)
	v_lshrrev_b32_sdwa v10, s48, v29 dst_sel:DWORD dst_unused:UNUSED_PAD src0_sel:DWORD src1_sel:BYTE_0
	v_and_b32_e32 v10, s14, v10
	v_lshlrev_b32_e32 v32, 3, v10
	ds_read_b64 v[10:11], v32
	s_waitcnt lgkmcnt(1)
	v_lshrrev_b32_sdwa v12, s48, v31 dst_sel:DWORD dst_unused:UNUSED_PAD src0_sel:DWORD src1_sel:BYTE_0
	v_and_b32_e32 v12, s14, v12
	v_lshlrev_b32_e32 v33, 3, v12
	v_lshrrev_b32_sdwa v12, s48, v28 dst_sel:DWORD dst_unused:UNUSED_PAD src0_sel:DWORD src1_sel:BYTE_0
	v_and_b32_e32 v12, s14, v12
	v_lshlrev_b32_e32 v35, 3, v12
	;; [unrolled: 3-line block ×4, first 2 shown]
	ds_read_b64 v[12:13], v33
	ds_read_b64 v[22:23], v35
	ds_read_b64 v[24:25], v36
	ds_read_b64 v[26:27], v37
	v_mov_b32_e32 v34, s39
	s_waitcnt lgkmcnt(3)
	v_add_co_u32_e64 v12, s[0:1], s38, v12
	v_addc_co_u32_e64 v13, s[0:1], v34, v13, s[0:1]
	v_add_co_u32_e64 v12, s[0:1], v12, v2
	v_addc_co_u32_e64 v13, s[0:1], v13, v3, s[0:1]
	global_store_byte v[12:13], v31, off
	v_mov_b32_e32 v12, s39
	s_waitcnt lgkmcnt(2)
	v_add_co_u32_e64 v13, s[0:1], s38, v22
	v_addc_co_u32_e64 v22, s[0:1], v12, v23, s[0:1]
	v_add_co_u32_e64 v12, s[0:1], v13, v2
	v_addc_co_u32_e64 v13, s[0:1], v22, v3, s[0:1]
	global_store_byte v[12:13], v28, off offset:512
	v_mov_b32_e32 v12, s39
	s_waitcnt lgkmcnt(1)
	v_add_co_u32_e64 v13, s[0:1], s38, v24
	v_addc_co_u32_e64 v22, s[0:1], v12, v25, s[0:1]
	v_add_co_u32_e64 v12, s[0:1], v13, v2
	v_addc_co_u32_e64 v13, s[0:1], v22, v3, s[0:1]
	global_store_byte v[12:13], v7, off offset:1024
	v_mov_b32_e32 v7, s39
	s_waitcnt lgkmcnt(0)
	v_add_co_u32_e64 v12, s[0:1], s38, v26
	v_addc_co_u32_e64 v7, s[0:1], v7, v27, s[0:1]
	v_add_co_u32_e64 v12, s[0:1], v12, v2
	v_addc_co_u32_e64 v13, s[0:1], v7, v3, s[0:1]
	v_mov_b32_e32 v7, s39
	v_add_co_u32_e64 v8, s[0:1], s38, v8
	v_addc_co_u32_e64 v7, s[0:1], v7, v9, s[0:1]
	v_add_co_u32_e64 v8, s[0:1], v8, v2
	v_addc_co_u32_e64 v9, s[0:1], v7, v3, s[0:1]
	global_store_byte v[12:13], v20, off offset:1536
	global_store_byte v[8:9], v5, off offset:2048
	v_mov_b32_e32 v5, s39
	v_add_co_u32_e64 v7, s[0:1], s38, v10
	v_addc_co_u32_e64 v5, s[0:1], v5, v11, s[0:1]
	v_add_co_u32_e64 v8, s[0:1], v7, v2
	v_addc_co_u32_e64 v9, s[0:1], v5, v3, s[0:1]
	s_lshl_b64 s[0:1], s[30:31], 3
	s_add_u32 s0, s40, s0
	s_addc_u32 s1, s41, s1
	v_lshlrev_b32_e32 v5, 3, v6
	v_mov_b32_e32 v6, s1
	v_add_co_u32_e64 v5, s[0:1], s0, v5
	v_addc_co_u32_e64 v6, s[0:1], 0, v6, s[0:1]
	v_lshlrev_b32_e32 v4, 3, v4
	v_add_co_u32_e64 v4, s[0:1], v5, v4
	global_store_byte v[8:9], v29, off offset:2560
	v_addc_co_u32_e64 v5, s[0:1], 0, v6, s[0:1]
	global_load_dwordx2 v[6:7], v[4:5], off
	global_load_dwordx2 v[8:9], v[4:5], off offset:512
	global_load_dwordx2 v[10:11], v[4:5], off offset:1024
	;; [unrolled: 1-line block ×5, first 2 shown]
	v_lshlrev_b32_e32 v4, 3, v21
	s_barrier
	v_or_b32_e32 v20, 0x800, v2
	v_lshlrev_b32_e32 v26, 3, v2
	s_add_i32 s7, s7, -1
	s_cmp_eq_u32 s6, s7
	s_waitcnt vmcnt(5)
	ds_write_b64 v4, v[6:7] offset:2048
	v_lshlrev_b32_e32 v4, 3, v19
	s_waitcnt vmcnt(4)
	ds_write_b64 v4, v[8:9] offset:2048
	v_lshlrev_b32_e32 v4, 3, v18
	;; [unrolled: 3-line block ×5, first 2 shown]
	s_waitcnt vmcnt(0)
	ds_write_b64 v4, v[24:25] offset:2048
	s_waitcnt lgkmcnt(0)
	s_barrier
	ds_read_b64 v[4:5], v33
	v_mov_b32_e32 v7, s43
	v_lshlrev_b32_e32 v6, 3, v2
	ds_read_b64 v[8:9], v35
	ds_read_b64 v[10:11], v36
	;; [unrolled: 1-line block ×3, first 2 shown]
	v_mov_b32_e32 v22, s43
	s_waitcnt lgkmcnt(3)
	v_lshlrev_b64 v[4:5], 3, v[4:5]
	v_add_co_u32_e64 v15, s[0:1], s42, v4
	v_addc_co_u32_e64 v7, s[0:1], v7, v5, s[0:1]
	v_lshlrev_b64 v[4:5], 3, v[2:3]
	v_add_co_u32_e64 v4, s[0:1], v15, v4
	v_addc_co_u32_e64 v5, s[0:1], v7, v5, s[0:1]
	ds_read_b64 v[6:7], v6 offset:2048
	v_mad_u32_u24 v15, v2, 7, v20
	ds_read_b64 v[16:17], v30
	ds_read_b64 v[18:19], v15 offset:20480
	ds_read_b64 v[20:21], v32
	s_waitcnt lgkmcnt(6)
	v_lshlrev_b64 v[8:9], 3, v[8:9]
	v_add_co_u32_e64 v8, s[0:1], s42, v8
	s_waitcnt lgkmcnt(3)
	global_store_dwordx2 v[4:5], v[6:7], off
	ds_read2st64_b64 v[4:7], v15 offset0:8 offset1:16
	v_addc_co_u32_e64 v9, s[0:1], v22, v9, s[0:1]
	v_add_u32_e32 v22, 0x1000, v26
	v_add_co_u32_e64 v8, s[0:1], v8, v22
	v_addc_co_u32_e64 v9, s[0:1], 0, v9, s[0:1]
	s_waitcnt lgkmcnt(0)
	global_store_dwordx2 v[8:9], v[4:5], off
	v_lshlrev_b64 v[4:5], 3, v[10:11]
	v_mov_b32_e32 v8, s43
	v_add_co_u32_e64 v4, s[0:1], s42, v4
	v_addc_co_u32_e64 v5, s[0:1], v8, v5, s[0:1]
	v_or_b32_e32 v8, 0x2000, v26
	v_add_co_u32_e64 v4, s[0:1], v4, v8
	v_addc_co_u32_e64 v5, s[0:1], 0, v5, s[0:1]
	global_store_dwordx2 v[4:5], v[6:7], off
	ds_read2st64_b64 v[4:7], v15 offset0:24 offset1:32
	v_lshlrev_b64 v[8:9], 3, v[12:13]
	v_mov_b32_e32 v10, s43
	v_add_co_u32_e64 v8, s[0:1], s42, v8
	v_addc_co_u32_e64 v9, s[0:1], v10, v9, s[0:1]
	v_add_u32_e32 v10, 0x3000, v26
	v_add_co_u32_e64 v8, s[0:1], v8, v10
	v_addc_co_u32_e64 v9, s[0:1], 0, v9, s[0:1]
	s_waitcnt lgkmcnt(0)
	global_store_dwordx2 v[8:9], v[4:5], off
	v_lshlrev_b64 v[4:5], 3, v[16:17]
	v_mov_b32_e32 v8, s43
	v_add_co_u32_e64 v4, s[0:1], s42, v4
	v_addc_co_u32_e64 v5, s[0:1], v8, v5, s[0:1]
	v_or_b32_e32 v8, 0x4000, v26
	v_add_co_u32_e64 v4, s[0:1], v4, v8
	v_addc_co_u32_e64 v5, s[0:1], 0, v5, s[0:1]
	global_store_dwordx2 v[4:5], v[6:7], off
	v_lshlrev_b64 v[4:5], 3, v[20:21]
	v_mov_b32_e32 v6, s43
	v_add_co_u32_e64 v4, s[0:1], s42, v4
	v_addc_co_u32_e64 v5, s[0:1], v6, v5, s[0:1]
	v_add_u32_e32 v6, 0x5000, v26
	v_add_co_u32_e64 v4, s[0:1], v4, v6
	v_addc_co_u32_e64 v5, s[0:1], 0, v5, s[0:1]
	s_cselect_b64 s[0:1], -1, 0
	s_and_b64 s[2:3], vcc, s[0:1]
	global_store_dwordx2 v[4:5], v[18:19], off
                                        ; implicit-def: $vgpr4_vgpr5
	s_and_saveexec_b64 s[0:1], s[2:3]
; %bb.122:
	v_add_co_u32_e32 v4, vcc, v0, v14
	v_addc_co_u32_e32 v5, vcc, 0, v1, vcc
	s_or_b64 s[8:9], s[8:9], exec
; %bb.123:
	s_or_b64 exec, exec, s[0:1]
.LBB24_124:
	s_and_saveexec_b64 s[0:1], s[8:9]
	s_cbranch_execnz .LBB24_126
; %bb.125:
	s_endpgm
.LBB24_126:
	v_lshlrev_b32_e32 v6, 3, v2
	v_lshlrev_b64 v[0:1], 3, v[2:3]
	ds_read_b64 v[2:3], v6
	v_mov_b32_e32 v7, s47
	v_add_co_u32_e32 v0, vcc, s46, v0
	v_addc_co_u32_e32 v1, vcc, v7, v1, vcc
	s_waitcnt lgkmcnt(0)
	v_add_co_u32_e32 v2, vcc, v2, v4
	v_addc_co_u32_e32 v3, vcc, v3, v5, vcc
	global_store_dwordx2 v[0:1], v[2:3], off
	s_endpgm
.LBB24_127:
	global_load_dwordx2 v[4:5], v[18:19], off
	s_or_b64 exec, exec, s[28:29]
                                        ; implicit-def: $vgpr6_vgpr7
	s_and_saveexec_b64 s[28:29], s[0:1]
	s_cbranch_execz .LBB24_59
.LBB24_128:
	global_load_dwordx2 v[6:7], v[18:19], off offset:512
	s_or_b64 exec, exec, s[28:29]
                                        ; implicit-def: $vgpr10_vgpr11
	s_and_saveexec_b64 s[0:1], s[2:3]
	s_cbranch_execz .LBB24_60
.LBB24_129:
	global_load_dwordx2 v[10:11], v[18:19], off offset:1024
	s_or_b64 exec, exec, s[0:1]
                                        ; implicit-def: $vgpr12_vgpr13
	s_and_saveexec_b64 s[0:1], s[26:27]
	s_cbranch_execz .LBB24_61
.LBB24_130:
	global_load_dwordx2 v[12:13], v[18:19], off offset:1536
	s_or_b64 exec, exec, s[0:1]
                                        ; implicit-def: $vgpr14_vgpr15
	s_and_saveexec_b64 s[0:1], s[8:9]
	s_cbranch_execz .LBB24_62
.LBB24_131:
	global_load_dwordx2 v[14:15], v[18:19], off offset:2048
	s_or_b64 exec, exec, s[0:1]
                                        ; implicit-def: $vgpr16_vgpr17
	s_and_saveexec_b64 s[0:1], s[10:11]
	s_cbranch_execnz .LBB24_63
	s_branch .LBB24_64
.LBB24_132:
	v_lshlrev_b32_e32 v5, 3, v34
	ds_read_b64 v[6:7], v5
	ds_read_b64 v[10:11], v4 offset:2048
	v_mov_b32_e32 v5, s43
	s_waitcnt lgkmcnt(1)
	v_lshlrev_b64 v[6:7], 3, v[6:7]
	v_add_co_u32_e32 v6, vcc, s42, v6
	v_addc_co_u32_e32 v5, vcc, v5, v7, vcc
	v_add_co_u32_e32 v6, vcc, v6, v4
	v_addc_co_u32_e32 v7, vcc, 0, v5, vcc
	s_waitcnt lgkmcnt(0)
	global_store_dwordx2 v[6:7], v[10:11], off
	s_or_b64 exec, exec, s[0:1]
	s_and_saveexec_b64 s[0:1], s[16:17]
	s_cbranch_execz .LBB24_78
.LBB24_133:
	v_lshlrev_b32_e32 v5, 3, v32
	ds_read_b64 v[6:7], v5
	ds_read_b64 v[10:11], v4 offset:6144
	v_mov_b32_e32 v5, s43
	v_lshlrev_b32_e32 v3, 3, v3
	s_waitcnt lgkmcnt(1)
	v_lshlrev_b64 v[6:7], 3, v[6:7]
	v_add_co_u32_e32 v6, vcc, s42, v6
	v_addc_co_u32_e32 v5, vcc, v5, v7, vcc
	v_add_co_u32_e32 v6, vcc, v6, v3
	v_addc_co_u32_e32 v7, vcc, 0, v5, vcc
	s_waitcnt lgkmcnt(0)
	global_store_dwordx2 v[6:7], v[10:11], off
	s_or_b64 exec, exec, s[0:1]
	s_and_saveexec_b64 s[0:1], s[18:19]
	s_cbranch_execz .LBB24_79
.LBB24_134:
	v_lshlrev_b32_e32 v3, 3, v33
	ds_read_b64 v[6:7], v3
	ds_read_b64 v[10:11], v4 offset:10240
	v_mov_b32_e32 v3, s43
	s_waitcnt lgkmcnt(1)
	v_lshlrev_b64 v[6:7], 3, v[6:7]
	v_add_co_u32_e32 v5, vcc, s42, v6
	v_addc_co_u32_e32 v3, vcc, v3, v7, vcc
	v_lshlrev_b32_e32 v6, 3, v25
	v_add_co_u32_e32 v6, vcc, v5, v6
	v_addc_co_u32_e32 v7, vcc, 0, v3, vcc
	s_waitcnt lgkmcnt(0)
	global_store_dwordx2 v[6:7], v[10:11], off
	s_or_b64 exec, exec, s[0:1]
	s_and_saveexec_b64 s[0:1], s[20:21]
	s_cbranch_execz .LBB24_80
.LBB24_135:
	v_lshlrev_b32_e32 v3, 3, v19
	ds_read_b64 v[6:7], v3
	ds_read_b64 v[10:11], v4 offset:14336
	v_mov_b32_e32 v3, s43
	s_waitcnt lgkmcnt(1)
	v_lshlrev_b64 v[6:7], 3, v[6:7]
	v_add_co_u32_e32 v5, vcc, s42, v6
	v_addc_co_u32_e32 v3, vcc, v3, v7, vcc
	v_lshlrev_b32_e32 v6, 3, v28
	v_add_co_u32_e32 v6, vcc, v5, v6
	v_addc_co_u32_e32 v7, vcc, 0, v3, vcc
	s_waitcnt lgkmcnt(0)
	global_store_dwordx2 v[6:7], v[10:11], off
	s_or_b64 exec, exec, s[0:1]
	s_and_saveexec_b64 s[0:1], s[22:23]
	s_cbranch_execz .LBB24_81
.LBB24_136:
	v_lshlrev_b32_e32 v3, 3, v31
	ds_read_b64 v[6:7], v3
	ds_read_b64 v[10:11], v4 offset:18432
	v_mov_b32_e32 v3, s43
	s_waitcnt lgkmcnt(1)
	v_lshlrev_b64 v[6:7], 3, v[6:7]
	v_add_co_u32_e32 v5, vcc, s42, v6
	v_addc_co_u32_e32 v3, vcc, v3, v7, vcc
	v_lshlrev_b32_e32 v6, 3, v29
	v_add_co_u32_e32 v6, vcc, v5, v6
	v_addc_co_u32_e32 v7, vcc, 0, v3, vcc
	s_waitcnt lgkmcnt(0)
	global_store_dwordx2 v[6:7], v[10:11], off
	s_or_b64 exec, exec, s[0:1]
	s_and_saveexec_b64 s[0:1], s[24:25]
	s_cbranch_execnz .LBB24_82
	s_branch .LBB24_83
	.section	.rodata,"a",@progbits
	.p2align	6, 0x0
	.amdhsa_kernel _ZN7rocprim17ROCPRIM_304000_NS6detail25onesweep_iteration_kernelINS1_34wrapped_radix_sort_onesweep_configINS0_14default_configEhN2at4cuda3cub6detail10OpaqueTypeILi8EEEEELb0EPKhPhPKSA_PSA_mNS0_19identity_decomposerEEEvT1_T2_T3_T4_jPT5_SO_PNS1_23onesweep_lookback_stateET6_jjj
		.amdhsa_group_segment_fixed_size 26624
		.amdhsa_private_segment_fixed_size 0
		.amdhsa_kernarg_size 336
		.amdhsa_user_sgpr_count 6
		.amdhsa_user_sgpr_private_segment_buffer 1
		.amdhsa_user_sgpr_dispatch_ptr 0
		.amdhsa_user_sgpr_queue_ptr 0
		.amdhsa_user_sgpr_kernarg_segment_ptr 1
		.amdhsa_user_sgpr_dispatch_id 0
		.amdhsa_user_sgpr_flat_scratch_init 0
		.amdhsa_user_sgpr_kernarg_preload_length 0
		.amdhsa_user_sgpr_kernarg_preload_offset 0
		.amdhsa_user_sgpr_private_segment_size 0
		.amdhsa_uses_dynamic_stack 0
		.amdhsa_system_sgpr_private_segment_wavefront_offset 0
		.amdhsa_system_sgpr_workgroup_id_x 1
		.amdhsa_system_sgpr_workgroup_id_y 0
		.amdhsa_system_sgpr_workgroup_id_z 0
		.amdhsa_system_sgpr_workgroup_info 0
		.amdhsa_system_vgpr_workitem_id 2
		.amdhsa_next_free_vgpr 40
		.amdhsa_next_free_sgpr 52
		.amdhsa_accum_offset 40
		.amdhsa_reserve_vcc 1
		.amdhsa_reserve_flat_scratch 0
		.amdhsa_float_round_mode_32 0
		.amdhsa_float_round_mode_16_64 0
		.amdhsa_float_denorm_mode_32 3
		.amdhsa_float_denorm_mode_16_64 3
		.amdhsa_dx10_clamp 1
		.amdhsa_ieee_mode 1
		.amdhsa_fp16_overflow 0
		.amdhsa_tg_split 0
		.amdhsa_exception_fp_ieee_invalid_op 0
		.amdhsa_exception_fp_denorm_src 0
		.amdhsa_exception_fp_ieee_div_zero 0
		.amdhsa_exception_fp_ieee_overflow 0
		.amdhsa_exception_fp_ieee_underflow 0
		.amdhsa_exception_fp_ieee_inexact 0
		.amdhsa_exception_int_div_zero 0
	.end_amdhsa_kernel
	.section	.text._ZN7rocprim17ROCPRIM_304000_NS6detail25onesweep_iteration_kernelINS1_34wrapped_radix_sort_onesweep_configINS0_14default_configEhN2at4cuda3cub6detail10OpaqueTypeILi8EEEEELb0EPKhPhPKSA_PSA_mNS0_19identity_decomposerEEEvT1_T2_T3_T4_jPT5_SO_PNS1_23onesweep_lookback_stateET6_jjj,"axG",@progbits,_ZN7rocprim17ROCPRIM_304000_NS6detail25onesweep_iteration_kernelINS1_34wrapped_radix_sort_onesweep_configINS0_14default_configEhN2at4cuda3cub6detail10OpaqueTypeILi8EEEEELb0EPKhPhPKSA_PSA_mNS0_19identity_decomposerEEEvT1_T2_T3_T4_jPT5_SO_PNS1_23onesweep_lookback_stateET6_jjj,comdat
.Lfunc_end24:
	.size	_ZN7rocprim17ROCPRIM_304000_NS6detail25onesweep_iteration_kernelINS1_34wrapped_radix_sort_onesweep_configINS0_14default_configEhN2at4cuda3cub6detail10OpaqueTypeILi8EEEEELb0EPKhPhPKSA_PSA_mNS0_19identity_decomposerEEEvT1_T2_T3_T4_jPT5_SO_PNS1_23onesweep_lookback_stateET6_jjj, .Lfunc_end24-_ZN7rocprim17ROCPRIM_304000_NS6detail25onesweep_iteration_kernelINS1_34wrapped_radix_sort_onesweep_configINS0_14default_configEhN2at4cuda3cub6detail10OpaqueTypeILi8EEEEELb0EPKhPhPKSA_PSA_mNS0_19identity_decomposerEEEvT1_T2_T3_T4_jPT5_SO_PNS1_23onesweep_lookback_stateET6_jjj
                                        ; -- End function
	.section	.AMDGPU.csdata,"",@progbits
; Kernel info:
; codeLenInByte = 11016
; NumSgprs: 56
; NumVgprs: 40
; NumAgprs: 0
; TotalNumVgprs: 40
; ScratchSize: 0
; MemoryBound: 0
; FloatMode: 240
; IeeeMode: 1
; LDSByteSize: 26624 bytes/workgroup (compile time only)
; SGPRBlocks: 6
; VGPRBlocks: 4
; NumSGPRsForWavesPerEU: 56
; NumVGPRsForWavesPerEU: 40
; AccumOffset: 40
; Occupancy: 4
; WaveLimiterHint : 1
; COMPUTE_PGM_RSRC2:SCRATCH_EN: 0
; COMPUTE_PGM_RSRC2:USER_SGPR: 6
; COMPUTE_PGM_RSRC2:TRAP_HANDLER: 0
; COMPUTE_PGM_RSRC2:TGID_X_EN: 1
; COMPUTE_PGM_RSRC2:TGID_Y_EN: 0
; COMPUTE_PGM_RSRC2:TGID_Z_EN: 0
; COMPUTE_PGM_RSRC2:TIDIG_COMP_CNT: 2
; COMPUTE_PGM_RSRC3_GFX90A:ACCUM_OFFSET: 9
; COMPUTE_PGM_RSRC3_GFX90A:TG_SPLIT: 0
	.section	.text._ZN7rocprim17ROCPRIM_304000_NS6detail25onesweep_iteration_kernelINS1_34wrapped_radix_sort_onesweep_configINS0_14default_configEhN2at4cuda3cub6detail10OpaqueTypeILi8EEEEELb0EPhSC_PSA_SD_mNS0_19identity_decomposerEEEvT1_T2_T3_T4_jPT5_SK_PNS1_23onesweep_lookback_stateET6_jjj,"axG",@progbits,_ZN7rocprim17ROCPRIM_304000_NS6detail25onesweep_iteration_kernelINS1_34wrapped_radix_sort_onesweep_configINS0_14default_configEhN2at4cuda3cub6detail10OpaqueTypeILi8EEEEELb0EPhSC_PSA_SD_mNS0_19identity_decomposerEEEvT1_T2_T3_T4_jPT5_SK_PNS1_23onesweep_lookback_stateET6_jjj,comdat
	.protected	_ZN7rocprim17ROCPRIM_304000_NS6detail25onesweep_iteration_kernelINS1_34wrapped_radix_sort_onesweep_configINS0_14default_configEhN2at4cuda3cub6detail10OpaqueTypeILi8EEEEELb0EPhSC_PSA_SD_mNS0_19identity_decomposerEEEvT1_T2_T3_T4_jPT5_SK_PNS1_23onesweep_lookback_stateET6_jjj ; -- Begin function _ZN7rocprim17ROCPRIM_304000_NS6detail25onesweep_iteration_kernelINS1_34wrapped_radix_sort_onesweep_configINS0_14default_configEhN2at4cuda3cub6detail10OpaqueTypeILi8EEEEELb0EPhSC_PSA_SD_mNS0_19identity_decomposerEEEvT1_T2_T3_T4_jPT5_SK_PNS1_23onesweep_lookback_stateET6_jjj
	.globl	_ZN7rocprim17ROCPRIM_304000_NS6detail25onesweep_iteration_kernelINS1_34wrapped_radix_sort_onesweep_configINS0_14default_configEhN2at4cuda3cub6detail10OpaqueTypeILi8EEEEELb0EPhSC_PSA_SD_mNS0_19identity_decomposerEEEvT1_T2_T3_T4_jPT5_SK_PNS1_23onesweep_lookback_stateET6_jjj
	.p2align	8
	.type	_ZN7rocprim17ROCPRIM_304000_NS6detail25onesweep_iteration_kernelINS1_34wrapped_radix_sort_onesweep_configINS0_14default_configEhN2at4cuda3cub6detail10OpaqueTypeILi8EEEEELb0EPhSC_PSA_SD_mNS0_19identity_decomposerEEEvT1_T2_T3_T4_jPT5_SK_PNS1_23onesweep_lookback_stateET6_jjj,@function
_ZN7rocprim17ROCPRIM_304000_NS6detail25onesweep_iteration_kernelINS1_34wrapped_radix_sort_onesweep_configINS0_14default_configEhN2at4cuda3cub6detail10OpaqueTypeILi8EEEEELb0EPhSC_PSA_SD_mNS0_19identity_decomposerEEEvT1_T2_T3_T4_jPT5_SK_PNS1_23onesweep_lookback_stateET6_jjj: ; @_ZN7rocprim17ROCPRIM_304000_NS6detail25onesweep_iteration_kernelINS1_34wrapped_radix_sort_onesweep_configINS0_14default_configEhN2at4cuda3cub6detail10OpaqueTypeILi8EEEEELb0EPhSC_PSA_SD_mNS0_19identity_decomposerEEEvT1_T2_T3_T4_jPT5_SK_PNS1_23onesweep_lookback_stateET6_jjj
; %bb.0:
	s_load_dwordx4 s[48:51], s[4:5], 0x44
	s_load_dwordx8 s[36:43], s[4:5], 0x0
	s_load_dwordx4 s[44:47], s[4:5], 0x28
	s_load_dwordx2 s[34:35], s[4:5], 0x38
	s_mul_i32 s30, s6, 0xc00
	s_waitcnt lgkmcnt(0)
	s_cmp_ge_u32 s6, s50
	v_mbcnt_lo_u32_b32 v1, -1, 0
	s_cbranch_scc0 .LBB25_86
; %bb.1:
	s_load_dword s0, s[4:5], 0x20
	s_mulk_i32 s50, 0xf400
	v_and_b32_e32 v2, 0x3ff, v0
	v_mbcnt_hi_u32_b32 v6, -1, v1
	v_and_b32_e32 v15, 0x1c0, v2
	s_waitcnt lgkmcnt(0)
	s_add_i32 s50, s50, s0
	s_add_u32 s0, s36, s30
	s_addc_u32 s1, s37, 0
	v_mov_b32_e32 v3, s1
	v_add_co_u32_e32 v5, vcc, s0, v6
	v_mul_u32_u24_e32 v4, 6, v15
	v_addc_co_u32_e32 v3, vcc, 0, v3, vcc
	v_add_co_u32_e32 v8, vcc, v5, v4
	v_addc_co_u32_e32 v9, vcc, 0, v3, vcc
	v_or_b32_e32 v10, v6, v4
	s_mov_b32 s31, 0
	v_cmp_gt_u32_e32 vcc, s50, v10
	v_mov_b32_e32 v3, 0xff
	v_mov_b32_e32 v5, 0xff
	s_and_saveexec_b64 s[0:1], vcc
	s_cbranch_execz .LBB25_3
; %bb.2:
	global_load_ubyte v5, v[8:9], off
.LBB25_3:
	s_or_b64 exec, exec, s[0:1]
	v_add_u32_e32 v7, 64, v10
	v_cmp_gt_u32_e64 s[0:1], s50, v7
	s_and_saveexec_b64 s[2:3], s[0:1]
	s_cbranch_execz .LBB25_5
; %bb.4:
	global_load_ubyte v3, v[8:9], off offset:64
.LBB25_5:
	s_or_b64 exec, exec, s[2:3]
	v_add_u32_e32 v7, 0x80, v10
	v_cmp_gt_u32_e64 s[2:3], s50, v7
	v_mov_b32_e32 v7, 0xff
	v_mov_b32_e32 v12, 0xff
	s_and_saveexec_b64 s[8:9], s[2:3]
	s_cbranch_execz .LBB25_7
; %bb.6:
	global_load_ubyte v12, v[8:9], off offset:128
.LBB25_7:
	s_or_b64 exec, exec, s[8:9]
	v_add_u32_e32 v11, 0xc0, v10
	v_cmp_gt_u32_e64 s[26:27], s50, v11
	s_and_saveexec_b64 s[8:9], s[26:27]
	s_cbranch_execz .LBB25_9
; %bb.8:
	global_load_ubyte v7, v[8:9], off offset:192
.LBB25_9:
	s_or_b64 exec, exec, s[8:9]
	v_add_u32_e32 v11, 0x100, v10
	v_cmp_gt_u32_e64 s[8:9], s50, v11
	v_mov_b32_e32 v13, 0xff
	v_mov_b32_e32 v14, 0xff
	s_and_saveexec_b64 s[10:11], s[8:9]
	s_cbranch_execz .LBB25_11
; %bb.10:
	global_load_ubyte v14, v[8:9], off offset:256
.LBB25_11:
	s_or_b64 exec, exec, s[10:11]
	v_add_u32_e32 v10, 0x140, v10
	v_cmp_gt_u32_e64 s[10:11], s50, v10
	s_and_saveexec_b64 s[12:13], s[10:11]
	s_cbranch_execz .LBB25_13
; %bb.12:
	global_load_ubyte v13, v[8:9], off offset:320
.LBB25_13:
	s_or_b64 exec, exec, s[12:13]
	s_load_dword s12, s[4:5], 0x5c
	s_load_dword s7, s[4:5], 0x50
	s_add_u32 s13, s4, 0x50
	s_addc_u32 s14, s5, 0
	v_mov_b32_e32 v8, 0
	s_waitcnt lgkmcnt(0)
	s_lshr_b32 s15, s12, 16
	s_cmp_lt_u32 s6, s7
	s_cselect_b32 s12, 12, 18
	s_add_u32 s12, s13, s12
	s_addc_u32 s13, s14, 0
	global_load_ushort v10, v8, s[12:13]
	s_lshl_b32 s12, -1, s49
	s_waitcnt vmcnt(1)
	v_lshrrev_b32_sdwa v17, s48, v5 dst_sel:DWORD dst_unused:UNUSED_PAD src0_sel:DWORD src1_sel:BYTE_0
	s_not_b32 s33, s12
	v_and_b32_e32 v17, s33, v17
	v_and_b32_e32 v19, 1, v17
	v_bfe_u32 v9, v0, 10, 10
	v_bfe_u32 v11, v0, 20, 10
	v_add_co_u32_e64 v20, s[12:13], -1, v19
	v_mad_u32_u24 v11, v11, s15, v9
	v_lshlrev_b32_e32 v9, 30, v17
	v_addc_co_u32_e64 v21, s[12:13], 0, -1, s[12:13]
	v_cmp_ne_u32_e64 s[12:13], 0, v19
	v_cmp_gt_i64_e64 s[14:15], 0, v[8:9]
	v_not_b32_e32 v19, v9
	v_lshlrev_b32_e32 v9, 29, v17
	v_xor_b32_e32 v21, s13, v21
	v_xor_b32_e32 v20, s12, v20
	v_ashrrev_i32_e32 v19, 31, v19
	v_cmp_gt_i64_e64 s[12:13], 0, v[8:9]
	v_not_b32_e32 v22, v9
	v_lshlrev_b32_e32 v9, 28, v17
	v_and_b32_e32 v21, exec_hi, v21
	v_and_b32_e32 v20, exec_lo, v20
	v_xor_b32_e32 v23, s15, v19
	v_xor_b32_e32 v19, s14, v19
	v_ashrrev_i32_e32 v22, 31, v22
	v_cmp_gt_i64_e64 s[14:15], 0, v[8:9]
	v_not_b32_e32 v24, v9
	v_lshlrev_b32_e32 v9, 27, v17
	v_and_b32_e32 v21, v21, v23
	v_and_b32_e32 v19, v20, v19
	v_xor_b32_e32 v20, s13, v22
	v_xor_b32_e32 v22, s12, v22
	v_ashrrev_i32_e32 v23, 31, v24
	v_cmp_gt_i64_e64 s[12:13], 0, v[8:9]
	v_not_b32_e32 v24, v9
	v_lshlrev_b32_e32 v9, 26, v17
	v_and_b32_e32 v20, v21, v20
	v_and_b32_e32 v19, v19, v22
	;; [unrolled: 8-line block ×3, first 2 shown]
	v_xor_b32_e32 v21, s13, v23
	v_xor_b32_e32 v22, s12, v23
	v_ashrrev_i32_e32 v23, 31, v24
	v_cmp_gt_i64_e64 s[12:13], 0, v[8:9]
	v_not_b32_e32 v24, v9
	v_lshlrev_b32_e32 v9, 24, v17
	v_mul_u32_u24_e32 v18, 9, v17
	v_and_b32_e32 v17, v20, v21
	v_and_b32_e32 v19, v19, v22
	v_xor_b32_e32 v20, s15, v23
	v_xor_b32_e32 v21, s14, v23
	v_ashrrev_i32_e32 v22, 31, v24
	v_cmp_gt_i64_e64 s[14:15], 0, v[8:9]
	v_not_b32_e32 v9, v9
	v_and_b32_e32 v17, v17, v20
	v_and_b32_e32 v19, v19, v21
	v_xor_b32_e32 v20, s13, v22
	v_xor_b32_e32 v21, s12, v22
	v_ashrrev_i32_e32 v9, 31, v9
	v_and_b32_e32 v17, v17, v20
	v_and_b32_e32 v20, v19, v21
	v_mul_u32_u24_e32 v16, 5, v2
	v_lshlrev_b32_e32 v16, 2, v16
	ds_write2_b32 v16, v8, v8 offset0:8 offset1:9
	ds_write2_b32 v16, v8, v8 offset0:10 offset1:11
	ds_write_b32 v16, v8 offset:48
	s_waitcnt lgkmcnt(0)
	s_barrier
	s_waitcnt lgkmcnt(0)
	; wave barrier
	s_waitcnt vmcnt(0)
	v_mad_u64_u32 v[10:11], s[12:13], v11, v10, v[2:3]
	v_lshrrev_b32_e32 v26, 6, v10
	v_xor_b32_e32 v10, s15, v9
	v_xor_b32_e32 v9, s14, v9
	v_and_b32_e32 v11, v17, v10
	v_and_b32_e32 v10, v20, v9
	v_mbcnt_lo_u32_b32 v9, v10, 0
	v_mbcnt_hi_u32_b32 v17, v11, v9
	v_cmp_eq_u32_e64 s[12:13], 0, v17
	v_cmp_ne_u64_e64 s[14:15], 0, v[10:11]
	v_add_lshl_u32 v19, v26, v18, 2
	s_and_b64 s[14:15], s[14:15], s[12:13]
	s_and_saveexec_b64 s[12:13], s[14:15]
	s_cbranch_execz .LBB25_15
; %bb.14:
	v_bcnt_u32_b32 v9, v10, 0
	v_bcnt_u32_b32 v9, v11, v9
	ds_write_b32 v19, v9 offset:32
.LBB25_15:
	s_or_b64 exec, exec, s[12:13]
	v_lshrrev_b32_sdwa v9, s48, v3 dst_sel:DWORD dst_unused:UNUSED_PAD src0_sel:DWORD src1_sel:BYTE_0
	v_and_b32_e32 v10, s33, v9
	v_mul_u32_u24_e32 v9, 9, v10
	v_add_lshl_u32 v20, v26, v9, 2
	v_and_b32_e32 v9, 1, v10
	v_add_co_u32_e64 v11, s[12:13], -1, v9
	v_addc_co_u32_e64 v21, s[12:13], 0, -1, s[12:13]
	v_cmp_ne_u32_e64 s[12:13], 0, v9
	v_xor_b32_e32 v9, s13, v21
	v_and_b32_e32 v21, exec_hi, v9
	v_lshlrev_b32_e32 v9, 30, v10
	v_xor_b32_e32 v11, s12, v11
	v_cmp_gt_i64_e64 s[12:13], 0, v[8:9]
	v_not_b32_e32 v9, v9
	v_ashrrev_i32_e32 v9, 31, v9
	v_and_b32_e32 v11, exec_lo, v11
	v_xor_b32_e32 v22, s13, v9
	v_xor_b32_e32 v9, s12, v9
	v_and_b32_e32 v11, v11, v9
	v_lshlrev_b32_e32 v9, 29, v10
	v_cmp_gt_i64_e64 s[12:13], 0, v[8:9]
	v_not_b32_e32 v9, v9
	v_ashrrev_i32_e32 v9, 31, v9
	v_and_b32_e32 v21, v21, v22
	v_xor_b32_e32 v22, s13, v9
	v_xor_b32_e32 v9, s12, v9
	v_and_b32_e32 v11, v11, v9
	v_lshlrev_b32_e32 v9, 28, v10
	v_cmp_gt_i64_e64 s[12:13], 0, v[8:9]
	v_not_b32_e32 v9, v9
	v_ashrrev_i32_e32 v9, 31, v9
	v_and_b32_e32 v21, v21, v22
	;; [unrolled: 8-line block ×5, first 2 shown]
	v_xor_b32_e32 v22, s13, v9
	v_xor_b32_e32 v9, s12, v9
	v_and_b32_e32 v11, v11, v9
	v_lshlrev_b32_e32 v9, 24, v10
	v_cmp_gt_i64_e64 s[12:13], 0, v[8:9]
	v_not_b32_e32 v8, v9
	v_ashrrev_i32_e32 v8, 31, v8
	v_xor_b32_e32 v9, s13, v8
	v_xor_b32_e32 v8, s12, v8
	; wave barrier
	ds_read_b32 v18, v20 offset:32
	v_and_b32_e32 v21, v21, v22
	v_and_b32_e32 v8, v11, v8
	;; [unrolled: 1-line block ×3, first 2 shown]
	v_mbcnt_lo_u32_b32 v10, v8, 0
	v_mbcnt_hi_u32_b32 v21, v9, v10
	v_cmp_eq_u32_e64 s[12:13], 0, v21
	v_cmp_ne_u64_e64 s[14:15], 0, v[8:9]
	s_and_b64 s[14:15], s[14:15], s[12:13]
	; wave barrier
	s_and_saveexec_b64 s[12:13], s[14:15]
	s_cbranch_execz .LBB25_17
; %bb.16:
	v_bcnt_u32_b32 v8, v8, 0
	v_bcnt_u32_b32 v8, v9, v8
	s_waitcnt lgkmcnt(0)
	v_add_u32_e32 v8, v18, v8
	ds_write_b32 v20, v8 offset:32
.LBB25_17:
	s_or_b64 exec, exec, s[12:13]
	v_lshrrev_b32_sdwa v8, s48, v12 dst_sel:DWORD dst_unused:UNUSED_PAD src0_sel:DWORD src1_sel:BYTE_0
	v_and_b32_e32 v10, s33, v8
	v_and_b32_e32 v9, 1, v10
	v_add_co_u32_e64 v11, s[12:13], -1, v9
	v_addc_co_u32_e64 v24, s[12:13], 0, -1, s[12:13]
	v_cmp_ne_u32_e64 s[12:13], 0, v9
	v_mul_u32_u24_e32 v8, 9, v10
	v_xor_b32_e32 v9, s13, v24
	v_add_lshl_u32 v23, v26, v8, 2
	v_mov_b32_e32 v8, 0
	v_and_b32_e32 v24, exec_hi, v9
	v_lshlrev_b32_e32 v9, 30, v10
	v_xor_b32_e32 v11, s12, v11
	v_cmp_gt_i64_e64 s[12:13], 0, v[8:9]
	v_not_b32_e32 v9, v9
	v_ashrrev_i32_e32 v9, 31, v9
	v_and_b32_e32 v11, exec_lo, v11
	v_xor_b32_e32 v25, s13, v9
	v_xor_b32_e32 v9, s12, v9
	v_and_b32_e32 v11, v11, v9
	v_lshlrev_b32_e32 v9, 29, v10
	v_cmp_gt_i64_e64 s[12:13], 0, v[8:9]
	v_not_b32_e32 v9, v9
	v_ashrrev_i32_e32 v9, 31, v9
	v_and_b32_e32 v24, v24, v25
	v_xor_b32_e32 v25, s13, v9
	v_xor_b32_e32 v9, s12, v9
	v_and_b32_e32 v11, v11, v9
	v_lshlrev_b32_e32 v9, 28, v10
	v_cmp_gt_i64_e64 s[12:13], 0, v[8:9]
	v_not_b32_e32 v9, v9
	v_ashrrev_i32_e32 v9, 31, v9
	v_and_b32_e32 v24, v24, v25
	;; [unrolled: 8-line block ×5, first 2 shown]
	v_xor_b32_e32 v25, s13, v9
	v_xor_b32_e32 v9, s12, v9
	v_and_b32_e32 v24, v24, v25
	v_and_b32_e32 v25, v11, v9
	v_lshlrev_b32_e32 v9, 24, v10
	v_cmp_gt_i64_e64 s[12:13], 0, v[8:9]
	v_not_b32_e32 v9, v9
	v_ashrrev_i32_e32 v9, 31, v9
	v_xor_b32_e32 v10, s13, v9
	v_xor_b32_e32 v9, s12, v9
	; wave barrier
	ds_read_b32 v22, v23 offset:32
	v_and_b32_e32 v11, v24, v10
	v_and_b32_e32 v10, v25, v9
	v_mbcnt_lo_u32_b32 v9, v10, 0
	v_mbcnt_hi_u32_b32 v24, v11, v9
	v_cmp_eq_u32_e64 s[12:13], 0, v24
	v_cmp_ne_u64_e64 s[14:15], 0, v[10:11]
	s_and_b64 s[14:15], s[14:15], s[12:13]
	; wave barrier
	s_and_saveexec_b64 s[12:13], s[14:15]
	s_cbranch_execz .LBB25_19
; %bb.18:
	v_bcnt_u32_b32 v9, v10, 0
	v_bcnt_u32_b32 v9, v11, v9
	s_waitcnt lgkmcnt(0)
	v_add_u32_e32 v9, v22, v9
	ds_write_b32 v23, v9 offset:32
.LBB25_19:
	s_or_b64 exec, exec, s[12:13]
	v_lshrrev_b32_sdwa v9, s48, v7 dst_sel:DWORD dst_unused:UNUSED_PAD src0_sel:DWORD src1_sel:BYTE_0
	v_and_b32_e32 v10, s33, v9
	v_mul_u32_u24_e32 v9, 9, v10
	v_add_lshl_u32 v27, v26, v9, 2
	v_and_b32_e32 v9, 1, v10
	v_add_co_u32_e64 v11, s[12:13], -1, v9
	v_addc_co_u32_e64 v28, s[12:13], 0, -1, s[12:13]
	v_cmp_ne_u32_e64 s[12:13], 0, v9
	v_xor_b32_e32 v9, s13, v28
	v_and_b32_e32 v28, exec_hi, v9
	v_lshlrev_b32_e32 v9, 30, v10
	v_xor_b32_e32 v11, s12, v11
	v_cmp_gt_i64_e64 s[12:13], 0, v[8:9]
	v_not_b32_e32 v9, v9
	v_ashrrev_i32_e32 v9, 31, v9
	v_and_b32_e32 v11, exec_lo, v11
	v_xor_b32_e32 v29, s13, v9
	v_xor_b32_e32 v9, s12, v9
	v_and_b32_e32 v11, v11, v9
	v_lshlrev_b32_e32 v9, 29, v10
	v_cmp_gt_i64_e64 s[12:13], 0, v[8:9]
	v_not_b32_e32 v9, v9
	v_ashrrev_i32_e32 v9, 31, v9
	v_and_b32_e32 v28, v28, v29
	v_xor_b32_e32 v29, s13, v9
	v_xor_b32_e32 v9, s12, v9
	v_and_b32_e32 v11, v11, v9
	v_lshlrev_b32_e32 v9, 28, v10
	v_cmp_gt_i64_e64 s[12:13], 0, v[8:9]
	v_not_b32_e32 v9, v9
	v_ashrrev_i32_e32 v9, 31, v9
	v_and_b32_e32 v28, v28, v29
	;; [unrolled: 8-line block ×5, first 2 shown]
	v_xor_b32_e32 v29, s13, v9
	v_xor_b32_e32 v9, s12, v9
	v_and_b32_e32 v11, v11, v9
	v_lshlrev_b32_e32 v9, 24, v10
	v_cmp_gt_i64_e64 s[12:13], 0, v[8:9]
	v_not_b32_e32 v8, v9
	v_ashrrev_i32_e32 v8, 31, v8
	v_xor_b32_e32 v9, s13, v8
	v_xor_b32_e32 v8, s12, v8
	; wave barrier
	ds_read_b32 v25, v27 offset:32
	v_and_b32_e32 v28, v28, v29
	v_and_b32_e32 v8, v11, v8
	;; [unrolled: 1-line block ×3, first 2 shown]
	v_mbcnt_lo_u32_b32 v10, v8, 0
	v_mbcnt_hi_u32_b32 v28, v9, v10
	v_cmp_eq_u32_e64 s[12:13], 0, v28
	v_cmp_ne_u64_e64 s[14:15], 0, v[8:9]
	s_and_b64 s[14:15], s[14:15], s[12:13]
	; wave barrier
	s_and_saveexec_b64 s[12:13], s[14:15]
	s_cbranch_execz .LBB25_21
; %bb.20:
	v_bcnt_u32_b32 v8, v8, 0
	v_bcnt_u32_b32 v8, v9, v8
	s_waitcnt lgkmcnt(0)
	v_add_u32_e32 v8, v25, v8
	ds_write_b32 v27, v8 offset:32
.LBB25_21:
	s_or_b64 exec, exec, s[12:13]
	v_lshrrev_b32_sdwa v8, s48, v14 dst_sel:DWORD dst_unused:UNUSED_PAD src0_sel:DWORD src1_sel:BYTE_0
	v_and_b32_e32 v10, s33, v8
	v_and_b32_e32 v9, 1, v10
	v_add_co_u32_e64 v11, s[12:13], -1, v9
	v_addc_co_u32_e64 v31, s[12:13], 0, -1, s[12:13]
	v_cmp_ne_u32_e64 s[12:13], 0, v9
	v_mul_u32_u24_e32 v8, 9, v10
	v_xor_b32_e32 v9, s13, v31
	v_add_lshl_u32 v30, v26, v8, 2
	v_mov_b32_e32 v8, 0
	v_and_b32_e32 v31, exec_hi, v9
	v_lshlrev_b32_e32 v9, 30, v10
	v_xor_b32_e32 v11, s12, v11
	v_cmp_gt_i64_e64 s[12:13], 0, v[8:9]
	v_not_b32_e32 v9, v9
	v_ashrrev_i32_e32 v9, 31, v9
	v_and_b32_e32 v11, exec_lo, v11
	v_xor_b32_e32 v32, s13, v9
	v_xor_b32_e32 v9, s12, v9
	v_and_b32_e32 v11, v11, v9
	v_lshlrev_b32_e32 v9, 29, v10
	v_cmp_gt_i64_e64 s[12:13], 0, v[8:9]
	v_not_b32_e32 v9, v9
	v_ashrrev_i32_e32 v9, 31, v9
	v_and_b32_e32 v31, v31, v32
	v_xor_b32_e32 v32, s13, v9
	v_xor_b32_e32 v9, s12, v9
	v_and_b32_e32 v11, v11, v9
	v_lshlrev_b32_e32 v9, 28, v10
	v_cmp_gt_i64_e64 s[12:13], 0, v[8:9]
	v_not_b32_e32 v9, v9
	v_ashrrev_i32_e32 v9, 31, v9
	v_and_b32_e32 v31, v31, v32
	;; [unrolled: 8-line block ×5, first 2 shown]
	v_xor_b32_e32 v32, s13, v9
	v_xor_b32_e32 v9, s12, v9
	v_and_b32_e32 v31, v31, v32
	v_and_b32_e32 v32, v11, v9
	v_lshlrev_b32_e32 v9, 24, v10
	v_cmp_gt_i64_e64 s[12:13], 0, v[8:9]
	v_not_b32_e32 v9, v9
	v_ashrrev_i32_e32 v9, 31, v9
	v_xor_b32_e32 v10, s13, v9
	v_xor_b32_e32 v9, s12, v9
	; wave barrier
	ds_read_b32 v29, v30 offset:32
	v_and_b32_e32 v11, v31, v10
	v_and_b32_e32 v10, v32, v9
	v_mbcnt_lo_u32_b32 v9, v10, 0
	v_mbcnt_hi_u32_b32 v31, v11, v9
	v_cmp_eq_u32_e64 s[12:13], 0, v31
	v_cmp_ne_u64_e64 s[14:15], 0, v[10:11]
	s_and_b64 s[14:15], s[14:15], s[12:13]
	; wave barrier
	s_and_saveexec_b64 s[12:13], s[14:15]
	s_cbranch_execz .LBB25_23
; %bb.22:
	v_bcnt_u32_b32 v9, v10, 0
	v_bcnt_u32_b32 v9, v11, v9
	s_waitcnt lgkmcnt(0)
	v_add_u32_e32 v9, v29, v9
	ds_write_b32 v30, v9 offset:32
.LBB25_23:
	s_or_b64 exec, exec, s[12:13]
	v_lshrrev_b32_sdwa v9, s48, v13 dst_sel:DWORD dst_unused:UNUSED_PAD src0_sel:DWORD src1_sel:BYTE_0
	v_and_b32_e32 v10, s33, v9
	v_mul_u32_u24_e32 v9, 9, v10
	v_add_lshl_u32 v26, v26, v9, 2
	v_and_b32_e32 v9, 1, v10
	v_add_co_u32_e64 v11, s[12:13], -1, v9
	v_addc_co_u32_e64 v34, s[12:13], 0, -1, s[12:13]
	v_cmp_ne_u32_e64 s[12:13], 0, v9
	v_xor_b32_e32 v9, s13, v34
	v_and_b32_e32 v34, exec_hi, v9
	v_lshlrev_b32_e32 v9, 30, v10
	v_xor_b32_e32 v11, s12, v11
	v_cmp_gt_i64_e64 s[12:13], 0, v[8:9]
	v_not_b32_e32 v9, v9
	v_ashrrev_i32_e32 v9, 31, v9
	v_and_b32_e32 v11, exec_lo, v11
	v_xor_b32_e32 v35, s13, v9
	v_xor_b32_e32 v9, s12, v9
	v_and_b32_e32 v11, v11, v9
	v_lshlrev_b32_e32 v9, 29, v10
	v_cmp_gt_i64_e64 s[12:13], 0, v[8:9]
	v_not_b32_e32 v9, v9
	v_ashrrev_i32_e32 v9, 31, v9
	v_and_b32_e32 v34, v34, v35
	v_xor_b32_e32 v35, s13, v9
	v_xor_b32_e32 v9, s12, v9
	v_and_b32_e32 v11, v11, v9
	v_lshlrev_b32_e32 v9, 28, v10
	v_cmp_gt_i64_e64 s[12:13], 0, v[8:9]
	v_not_b32_e32 v9, v9
	v_ashrrev_i32_e32 v9, 31, v9
	v_and_b32_e32 v34, v34, v35
	;; [unrolled: 8-line block ×5, first 2 shown]
	v_xor_b32_e32 v35, s13, v9
	v_xor_b32_e32 v9, s12, v9
	v_and_b32_e32 v11, v11, v9
	v_lshlrev_b32_e32 v9, 24, v10
	v_cmp_gt_i64_e64 s[12:13], 0, v[8:9]
	v_not_b32_e32 v8, v9
	v_ashrrev_i32_e32 v8, 31, v8
	v_xor_b32_e32 v9, s13, v8
	v_xor_b32_e32 v8, s12, v8
	; wave barrier
	ds_read_b32 v32, v26 offset:32
	v_and_b32_e32 v34, v34, v35
	v_and_b32_e32 v8, v11, v8
	v_and_b32_e32 v9, v34, v9
	v_mbcnt_lo_u32_b32 v10, v8, 0
	v_mbcnt_hi_u32_b32 v34, v9, v10
	v_cmp_eq_u32_e64 s[12:13], 0, v34
	v_cmp_ne_u64_e64 s[14:15], 0, v[8:9]
	v_add_u32_e32 v33, 32, v16
	s_and_b64 s[14:15], s[14:15], s[12:13]
	; wave barrier
	s_and_saveexec_b64 s[12:13], s[14:15]
	s_cbranch_execz .LBB25_25
; %bb.24:
	v_bcnt_u32_b32 v8, v8, 0
	v_bcnt_u32_b32 v8, v9, v8
	s_waitcnt lgkmcnt(0)
	v_add_u32_e32 v8, v32, v8
	ds_write_b32 v26, v8 offset:32
.LBB25_25:
	s_or_b64 exec, exec, s[12:13]
	; wave barrier
	s_waitcnt lgkmcnt(0)
	s_barrier
	ds_read2_b32 v[10:11], v16 offset0:8 offset1:9
	ds_read2_b32 v[8:9], v33 offset0:2 offset1:3
	ds_read_b32 v35, v33 offset:16
	v_min_u32_e32 v15, 0x1c0, v15
	v_or_b32_e32 v15, 63, v15
	s_waitcnt lgkmcnt(1)
	v_add3_u32 v36, v11, v10, v8
	s_waitcnt lgkmcnt(0)
	v_add3_u32 v35, v36, v9, v35
	v_and_b32_e32 v36, 15, v6
	v_cmp_ne_u32_e64 s[12:13], 0, v36
	v_mov_b32_dpp v37, v35 row_shr:1 row_mask:0xf bank_mask:0xf
	v_cndmask_b32_e64 v37, 0, v37, s[12:13]
	v_add_u32_e32 v35, v37, v35
	v_cmp_lt_u32_e64 s[12:13], 1, v36
	s_nop 0
	v_mov_b32_dpp v37, v35 row_shr:2 row_mask:0xf bank_mask:0xf
	v_cndmask_b32_e64 v37, 0, v37, s[12:13]
	v_add_u32_e32 v35, v35, v37
	v_cmp_lt_u32_e64 s[12:13], 3, v36
	s_nop 0
	;; [unrolled: 5-line block ×3, first 2 shown]
	v_mov_b32_dpp v37, v35 row_shr:8 row_mask:0xf bank_mask:0xf
	v_cndmask_b32_e64 v36, 0, v37, s[12:13]
	v_add_u32_e32 v35, v35, v36
	v_bfe_i32 v37, v6, 4, 1
	v_cmp_lt_u32_e64 s[12:13], 31, v6
	v_mov_b32_dpp v36, v35 row_bcast:15 row_mask:0xf bank_mask:0xf
	v_and_b32_e32 v36, v37, v36
	v_add_u32_e32 v35, v35, v36
	s_nop 1
	v_mov_b32_dpp v36, v35 row_bcast:31 row_mask:0xf bank_mask:0xf
	v_cndmask_b32_e64 v36, 0, v36, s[12:13]
	v_add_u32_e32 v35, v35, v36
	v_lshrrev_b32_e32 v36, 6, v2
	v_cmp_eq_u32_e64 s[12:13], v15, v2
	s_and_saveexec_b64 s[14:15], s[12:13]
	s_cbranch_execz .LBB25_27
; %bb.26:
	v_lshlrev_b32_e32 v15, 2, v36
	ds_write_b32 v15, v35
.LBB25_27:
	s_or_b64 exec, exec, s[14:15]
	v_cmp_gt_u32_e64 s[12:13], 8, v2
	s_waitcnt lgkmcnt(0)
	s_barrier
	s_and_saveexec_b64 s[14:15], s[12:13]
	s_cbranch_execz .LBB25_29
; %bb.28:
	v_lshlrev_b32_e32 v15, 2, v2
	ds_read_b32 v37, v15
	v_and_b32_e32 v38, 7, v6
	v_cmp_ne_u32_e64 s[12:13], 0, v38
	s_waitcnt lgkmcnt(0)
	v_mov_b32_dpp v39, v37 row_shr:1 row_mask:0xf bank_mask:0xf
	v_cndmask_b32_e64 v39, 0, v39, s[12:13]
	v_add_u32_e32 v37, v39, v37
	v_cmp_lt_u32_e64 s[12:13], 1, v38
	s_nop 0
	v_mov_b32_dpp v39, v37 row_shr:2 row_mask:0xf bank_mask:0xf
	v_cndmask_b32_e64 v39, 0, v39, s[12:13]
	v_add_u32_e32 v37, v37, v39
	v_cmp_lt_u32_e64 s[12:13], 3, v38
	s_nop 0
	v_mov_b32_dpp v39, v37 row_shr:4 row_mask:0xf bank_mask:0xf
	v_cndmask_b32_e64 v38, 0, v39, s[12:13]
	v_add_u32_e32 v37, v37, v38
	ds_write_b32 v15, v37
.LBB25_29:
	s_or_b64 exec, exec, s[14:15]
	v_cmp_lt_u32_e64 s[12:13], 63, v2
	v_mov_b32_e32 v15, 0
	s_waitcnt lgkmcnt(0)
	s_barrier
	s_and_saveexec_b64 s[14:15], s[12:13]
	s_cbranch_execz .LBB25_31
; %bb.30:
	v_lshl_add_u32 v15, v36, 2, -4
	ds_read_b32 v15, v15
.LBB25_31:
	s_or_b64 exec, exec, s[14:15]
	v_add_u32_e32 v36, -1, v6
	v_and_b32_e32 v37, 64, v6
	v_cmp_lt_i32_e64 s[12:13], v36, v37
	v_cndmask_b32_e64 v36, v36, v6, s[12:13]
	s_waitcnt lgkmcnt(0)
	v_add_u32_e32 v35, v15, v35
	v_lshlrev_b32_e32 v36, 2, v36
	ds_bpermute_b32 v35, v36, v35
	v_cmp_eq_u32_e64 s[12:13], 0, v6
	s_waitcnt lgkmcnt(0)
	v_cndmask_b32_e64 v15, v35, v15, s[12:13]
	v_cmp_ne_u32_e64 s[12:13], 0, v2
	v_cndmask_b32_e64 v15, 0, v15, s[12:13]
	v_add_u32_e32 v10, v15, v10
	v_add_u32_e32 v11, v10, v11
	;; [unrolled: 1-line block ×4, first 2 shown]
	ds_write2_b32 v16, v15, v10 offset0:8 offset1:9
	ds_write2_b32 v33, v11, v8 offset0:2 offset1:3
	ds_write_b32 v33, v9 offset:16
	s_waitcnt lgkmcnt(0)
	s_barrier
	ds_read_b32 v10, v19 offset:32
	ds_read_b32 v11, v20 offset:32
	ds_read_b32 v15, v23 offset:32
	ds_read_b32 v16, v27 offset:32
	ds_read_b32 v19, v30 offset:32
	ds_read_b32 v30, v26 offset:32
	s_movk_i32 s12, 0x100
	v_cmp_gt_u32_e64 s[12:13], s12, v2
	v_pk_mov_b32 v[8:9], 0, 0
                                        ; implicit-def: $vgpr20
	s_and_saveexec_b64 s[16:17], s[12:13]
	s_cbranch_execz .LBB25_35
; %bb.32:
	v_mul_u32_u24_e32 v8, 9, v2
	v_lshlrev_b32_e32 v20, 2, v8
	ds_read_b32 v8, v20 offset:32
	s_movk_i32 s14, 0xff
	v_cmp_ne_u32_e64 s[14:15], s14, v2
	v_mov_b32_e32 v9, 0xc00
	s_and_saveexec_b64 s[18:19], s[14:15]
	s_cbranch_execz .LBB25_34
; %bb.33:
	ds_read_b32 v9, v20 offset:68
.LBB25_34:
	s_or_b64 exec, exec, s[18:19]
	s_waitcnt lgkmcnt(0)
	v_sub_u32_e32 v20, v9, v8
	v_mov_b32_e32 v9, 0
.LBB25_35:
	s_or_b64 exec, exec, s[16:17]
	s_waitcnt lgkmcnt(5)
	v_add_u32_e32 v27, v10, v17
	s_waitcnt lgkmcnt(4)
	v_add3_u32 v26, v21, v18, v11
	s_waitcnt lgkmcnt(3)
	v_add3_u32 v24, v24, v22, v15
	;; [unrolled: 2-line block ×5, first 2 shown]
	s_barrier
	ds_write_b8 v27, v5 offset:2048
	ds_write_b8 v26, v3 offset:2048
	;; [unrolled: 1-line block ×6, first 2 shown]
	s_waitcnt lgkmcnt(0)
	s_barrier
	s_and_saveexec_b64 s[16:17], s[12:13]
	s_cbranch_execz .LBB25_45
; %bb.36:
	v_lshl_or_b32 v10, s6, 8, v2
	v_mov_b32_e32 v11, 0
	v_lshlrev_b64 v[12:13], 2, v[10:11]
	v_mov_b32_e32 v3, s35
	v_add_co_u32_e64 v12, s[14:15], s34, v12
	v_addc_co_u32_e64 v13, s[14:15], v3, v13, s[14:15]
	v_or_b32_e32 v5, 2.0, v20
	global_store_dword v[12:13], v5, off
	s_mov_b64 s[18:19], 0
	s_brev_b32 s24, 1
	s_mov_b32 s25, s6
	v_mov_b32_e32 v5, 0
                                        ; implicit-def: $sgpr14_sgpr15
	s_branch .LBB25_38
.LBB25_37:                              ;   in Loop: Header=BB25_38 Depth=1
	s_or_b64 exec, exec, s[20:21]
	v_and_b32_e32 v10, 0x3fffffff, v10
	v_add_u32_e32 v5, v10, v5
	v_cmp_eq_u32_e64 s[14:15], s24, v7
	s_and_b64 s[20:21], exec, s[14:15]
	s_or_b64 s[18:19], s[20:21], s[18:19]
	s_andn2_b64 exec, exec, s[18:19]
	s_cbranch_execz .LBB25_44
.LBB25_38:                              ; =>This Loop Header: Depth=1
                                        ;     Child Loop BB25_41 Depth 2
	s_or_b64 s[14:15], s[14:15], exec
	s_cmp_eq_u32 s25, 0
	s_cbranch_scc1 .LBB25_43
; %bb.39:                               ;   in Loop: Header=BB25_38 Depth=1
	s_add_i32 s25, s25, -1
	v_lshl_or_b32 v10, s25, 8, v2
	v_lshlrev_b64 v[14:15], 2, v[10:11]
	v_add_co_u32_e64 v14, s[14:15], s34, v14
	v_addc_co_u32_e64 v15, s[14:15], v3, v15, s[14:15]
	global_load_dword v10, v[14:15], off glc
	s_waitcnt vmcnt(0)
	v_and_b32_e32 v7, -2.0, v10
	v_cmp_eq_u32_e64 s[14:15], 0, v7
	s_and_saveexec_b64 s[20:21], s[14:15]
	s_cbranch_execz .LBB25_37
; %bb.40:                               ;   in Loop: Header=BB25_38 Depth=1
	s_mov_b64 s[22:23], 0
.LBB25_41:                              ;   Parent Loop BB25_38 Depth=1
                                        ; =>  This Inner Loop Header: Depth=2
	global_load_dword v10, v[14:15], off glc
	s_waitcnt vmcnt(0)
	v_and_b32_e32 v7, -2.0, v10
	v_cmp_ne_u32_e64 s[14:15], 0, v7
	s_or_b64 s[22:23], s[14:15], s[22:23]
	s_andn2_b64 exec, exec, s[22:23]
	s_cbranch_execnz .LBB25_41
; %bb.42:                               ;   in Loop: Header=BB25_38 Depth=1
	s_or_b64 exec, exec, s[22:23]
	s_branch .LBB25_37
.LBB25_43:                              ;   in Loop: Header=BB25_38 Depth=1
                                        ; implicit-def: $sgpr25
	s_and_b64 s[20:21], exec, s[14:15]
	s_or_b64 s[18:19], s[20:21], s[18:19]
	s_andn2_b64 exec, exec, s[18:19]
	s_cbranch_execnz .LBB25_38
.LBB25_44:
	s_or_b64 exec, exec, s[18:19]
	v_add_u32_e32 v3, v5, v20
	v_or_b32_e32 v3, 0x80000000, v3
	global_store_dword v[12:13], v3, off
	v_lshlrev_b32_e32 v3, 3, v2
	global_load_dwordx2 v[10:11], v3, s[44:45]
	v_sub_co_u32_e64 v5, s[14:15], v5, v8
	v_subb_co_u32_e64 v7, s[14:15], 0, v9, s[14:15]
	s_waitcnt vmcnt(0)
	v_add_co_u32_e64 v10, s[14:15], v5, v10
	v_addc_co_u32_e64 v11, s[14:15], v7, v11, s[14:15]
	ds_write_b64 v3, v[10:11]
.LBB25_45:
	s_or_b64 exec, exec, s[16:17]
	v_cmp_gt_u32_e64 s[14:15], s50, v2
	s_waitcnt lgkmcnt(0)
	s_barrier
	s_and_saveexec_b64 s[18:19], s[14:15]
	s_cbranch_execz .LBB25_47
; %bb.46:
	ds_read_u8 v3, v2 offset:2048
	s_waitcnt lgkmcnt(0)
	v_lshrrev_b32_sdwa v5, s48, v3 dst_sel:DWORD dst_unused:UNUSED_PAD src0_sel:DWORD src1_sel:BYTE_0
	v_and_b32_e32 v5, s33, v5
	v_lshlrev_b32_e32 v5, 3, v5
	ds_read_b64 v[10:11], v5
	v_mov_b32_e32 v5, s39
	s_waitcnt lgkmcnt(0)
	v_add_co_u32_e64 v7, s[16:17], s38, v10
	v_addc_co_u32_e64 v5, s[16:17], v5, v11, s[16:17]
	v_add_co_u32_e64 v10, s[16:17], v7, v2
	v_addc_co_u32_e64 v11, s[16:17], 0, v5, s[16:17]
	global_store_byte v[10:11], v3, off
.LBB25_47:
	s_or_b64 exec, exec, s[18:19]
	v_add_u32_e32 v3, 0x200, v2
	v_cmp_gt_u32_e64 s[16:17], s50, v3
	s_and_saveexec_b64 s[20:21], s[16:17]
	s_cbranch_execz .LBB25_49
; %bb.48:
	ds_read_u8 v5, v2 offset:2560
	s_waitcnt lgkmcnt(0)
	v_lshrrev_b32_sdwa v7, s48, v5 dst_sel:DWORD dst_unused:UNUSED_PAD src0_sel:DWORD src1_sel:BYTE_0
	v_and_b32_e32 v7, s33, v7
	v_lshlrev_b32_e32 v7, 3, v7
	ds_read_b64 v[10:11], v7
	v_mov_b32_e32 v7, s39
	s_waitcnt lgkmcnt(0)
	v_add_co_u32_e64 v10, s[18:19], s38, v10
	v_addc_co_u32_e64 v7, s[18:19], v7, v11, s[18:19]
	v_add_co_u32_e64 v10, s[18:19], v10, v2
	v_addc_co_u32_e64 v11, s[18:19], 0, v7, s[18:19]
	global_store_byte v[10:11], v5, off offset:512
.LBB25_49:
	s_or_b64 exec, exec, s[20:21]
	v_or_b32_e32 v25, 0x400, v2
	v_cmp_gt_u32_e64 s[18:19], s50, v25
	s_and_saveexec_b64 s[22:23], s[18:19]
	s_cbranch_execz .LBB25_51
; %bb.50:
	ds_read_u8 v5, v2 offset:3072
	s_waitcnt lgkmcnt(0)
	v_lshrrev_b32_sdwa v7, s48, v5 dst_sel:DWORD dst_unused:UNUSED_PAD src0_sel:DWORD src1_sel:BYTE_0
	v_and_b32_e32 v7, s33, v7
	v_lshlrev_b32_e32 v7, 3, v7
	ds_read_b64 v[10:11], v7
	v_mov_b32_e32 v7, s39
	s_waitcnt lgkmcnt(0)
	v_add_co_u32_e64 v10, s[20:21], s38, v10
	v_addc_co_u32_e64 v7, s[20:21], v7, v11, s[20:21]
	v_add_co_u32_e64 v10, s[20:21], v10, v2
	v_addc_co_u32_e64 v11, s[20:21], 0, v7, s[20:21]
	global_store_byte v[10:11], v5, off offset:1024
.LBB25_51:
	s_or_b64 exec, exec, s[22:23]
	v_add_u32_e32 v28, 0x600, v2
	v_cmp_gt_u32_e64 s[20:21], s50, v28
	s_and_saveexec_b64 s[24:25], s[20:21]
	s_cbranch_execz .LBB25_53
; %bb.52:
	ds_read_u8 v5, v2 offset:3584
	s_waitcnt lgkmcnt(0)
	v_lshrrev_b32_sdwa v7, s48, v5 dst_sel:DWORD dst_unused:UNUSED_PAD src0_sel:DWORD src1_sel:BYTE_0
	v_and_b32_e32 v7, s33, v7
	v_lshlrev_b32_e32 v7, 3, v7
	ds_read_b64 v[10:11], v7
	v_mov_b32_e32 v7, s39
	s_waitcnt lgkmcnt(0)
	v_add_co_u32_e64 v10, s[22:23], s38, v10
	v_addc_co_u32_e64 v7, s[22:23], v7, v11, s[22:23]
	v_add_co_u32_e64 v10, s[22:23], v10, v2
	v_addc_co_u32_e64 v11, s[22:23], 0, v7, s[22:23]
	global_store_byte v[10:11], v5, off offset:1536
.LBB25_53:
	s_or_b64 exec, exec, s[24:25]
	v_or_b32_e32 v29, 0x800, v2
	v_cmp_gt_u32_e64 s[22:23], s50, v29
	s_and_saveexec_b64 s[28:29], s[22:23]
	s_cbranch_execz .LBB25_55
; %bb.54:
	ds_read_u8 v5, v2 offset:4096
	s_waitcnt lgkmcnt(0)
	v_lshrrev_b32_sdwa v7, s48, v5 dst_sel:DWORD dst_unused:UNUSED_PAD src0_sel:DWORD src1_sel:BYTE_0
	v_and_b32_e32 v7, s33, v7
	v_lshlrev_b32_e32 v7, 3, v7
	ds_read_b64 v[10:11], v7
	v_mov_b32_e32 v7, s39
	s_waitcnt lgkmcnt(0)
	v_add_co_u32_e64 v10, s[24:25], s38, v10
	v_addc_co_u32_e64 v7, s[24:25], v7, v11, s[24:25]
	v_add_co_u32_e64 v10, s[24:25], v10, v2
	v_addc_co_u32_e64 v11, s[24:25], 0, v7, s[24:25]
	global_store_byte v[10:11], v5, off offset:2048
.LBB25_55:
	s_or_b64 exec, exec, s[28:29]
	v_add_u32_e32 v30, 0xa00, v2
	v_cmp_gt_u32_e64 s[24:25], s50, v30
	s_and_saveexec_b64 s[50:51], s[24:25]
	s_cbranch_execz .LBB25_57
; %bb.56:
	ds_read_u8 v5, v2 offset:4608
	s_waitcnt lgkmcnt(0)
	v_lshrrev_b32_sdwa v7, s48, v5 dst_sel:DWORD dst_unused:UNUSED_PAD src0_sel:DWORD src1_sel:BYTE_0
	v_and_b32_e32 v7, s33, v7
	v_lshlrev_b32_e32 v7, 3, v7
	ds_read_b64 v[10:11], v7
	v_mov_b32_e32 v7, s39
	s_waitcnt lgkmcnt(0)
	v_add_co_u32_e64 v10, s[28:29], s38, v10
	v_addc_co_u32_e64 v7, s[28:29], v7, v11, s[28:29]
	v_add_co_u32_e64 v10, s[28:29], v10, v2
	v_addc_co_u32_e64 v11, s[28:29], 0, v7, s[28:29]
	global_store_byte v[10:11], v5, off offset:2560
.LBB25_57:
	s_or_b64 exec, exec, s[50:51]
	s_lshl_b64 s[28:29], s[30:31], 3
	s_add_u32 s28, s40, s28
	s_addc_u32 s29, s41, s29
	v_lshlrev_b32_e32 v5, 3, v6
	v_mov_b32_e32 v6, s29
	v_add_co_u32_e64 v5, s[28:29], s28, v5
	v_addc_co_u32_e64 v6, s[28:29], 0, v6, s[28:29]
	v_lshlrev_b32_e32 v4, 3, v4
	v_add_co_u32_e64 v18, s[28:29], v5, v4
	v_addc_co_u32_e64 v19, s[28:29], 0, v6, s[28:29]
                                        ; implicit-def: $vgpr4_vgpr5
	s_and_saveexec_b64 s[28:29], vcc
	s_xor_b64 s[28:29], exec, s[28:29]
	s_cbranch_execnz .LBB25_127
; %bb.58:
	s_or_b64 exec, exec, s[28:29]
                                        ; implicit-def: $vgpr6_vgpr7
	s_and_saveexec_b64 s[28:29], s[0:1]
	s_cbranch_execnz .LBB25_128
.LBB25_59:
	s_or_b64 exec, exec, s[28:29]
                                        ; implicit-def: $vgpr10_vgpr11
	s_and_saveexec_b64 s[0:1], s[2:3]
	s_cbranch_execnz .LBB25_129
.LBB25_60:
	s_or_b64 exec, exec, s[0:1]
                                        ; implicit-def: $vgpr12_vgpr13
	s_and_saveexec_b64 s[0:1], s[26:27]
	s_cbranch_execnz .LBB25_130
.LBB25_61:
	s_or_b64 exec, exec, s[0:1]
                                        ; implicit-def: $vgpr14_vgpr15
	s_and_saveexec_b64 s[0:1], s[8:9]
	s_cbranch_execnz .LBB25_131
.LBB25_62:
	s_or_b64 exec, exec, s[0:1]
                                        ; implicit-def: $vgpr16_vgpr17
	s_and_saveexec_b64 s[0:1], s[10:11]
	s_cbranch_execz .LBB25_64
.LBB25_63:
	global_load_dwordx2 v[16:17], v[18:19], off offset:2560
.LBB25_64:
	s_or_b64 exec, exec, s[0:1]
	v_mov_b32_e32 v32, 0
	v_mov_b32_e32 v34, 0
	s_and_saveexec_b64 s[0:1], s[14:15]
	s_cbranch_execz .LBB25_66
; %bb.65:
	ds_read_u8 v18, v2 offset:2048
	s_waitcnt lgkmcnt(0)
	v_lshrrev_b32_e32 v18, s48, v18
	v_and_b32_e32 v34, s33, v18
.LBB25_66:
	s_or_b64 exec, exec, s[0:1]
	s_and_saveexec_b64 s[0:1], s[16:17]
	s_cbranch_execz .LBB25_68
; %bb.67:
	ds_read_u8 v18, v2 offset:2560
	s_waitcnt lgkmcnt(0)
	v_lshrrev_b32_e32 v18, s48, v18
	v_and_b32_e32 v32, s33, v18
.LBB25_68:
	s_or_b64 exec, exec, s[0:1]
	v_mov_b32_e32 v19, 0
	v_mov_b32_e32 v33, 0
	s_and_saveexec_b64 s[0:1], s[18:19]
	s_cbranch_execz .LBB25_70
; %bb.69:
	ds_read_u8 v18, v2 offset:3072
	s_waitcnt lgkmcnt(0)
	v_lshrrev_b32_e32 v18, s48, v18
	v_and_b32_e32 v33, s33, v18
.LBB25_70:
	s_or_b64 exec, exec, s[0:1]
	s_and_saveexec_b64 s[0:1], s[20:21]
	s_cbranch_execz .LBB25_72
; %bb.71:
	ds_read_u8 v18, v2 offset:3584
	s_waitcnt lgkmcnt(0)
	v_lshrrev_b32_e32 v18, s48, v18
	v_and_b32_e32 v19, s33, v18
.LBB25_72:
	;; [unrolled: 20-line block ×3, first 2 shown]
	s_or_b64 exec, exec, s[0:1]
	v_lshlrev_b32_e32 v27, 3, v27
	s_barrier
	s_waitcnt vmcnt(0)
	ds_write_b64 v27, v[4:5] offset:2048
	v_lshlrev_b32_e32 v4, 3, v26
	ds_write_b64 v4, v[6:7] offset:2048
	v_lshlrev_b32_e32 v4, 3, v24
	;; [unrolled: 2-line block ×6, first 2 shown]
	s_waitcnt lgkmcnt(0)
	s_barrier
	s_and_saveexec_b64 s[0:1], s[14:15]
	s_cbranch_execnz .LBB25_132
; %bb.77:
	s_or_b64 exec, exec, s[0:1]
	s_and_saveexec_b64 s[0:1], s[16:17]
	s_cbranch_execnz .LBB25_133
.LBB25_78:
	s_or_b64 exec, exec, s[0:1]
	s_and_saveexec_b64 s[0:1], s[18:19]
	s_cbranch_execnz .LBB25_134
.LBB25_79:
	s_or_b64 exec, exec, s[0:1]
	s_and_saveexec_b64 s[0:1], s[20:21]
	s_cbranch_execnz .LBB25_135
.LBB25_80:
	s_or_b64 exec, exec, s[0:1]
	s_and_saveexec_b64 s[0:1], s[22:23]
	s_cbranch_execnz .LBB25_136
.LBB25_81:
	s_or_b64 exec, exec, s[0:1]
	s_and_saveexec_b64 s[0:1], s[24:25]
	s_cbranch_execz .LBB25_83
.LBB25_82:
	v_lshlrev_b32_e32 v3, 3, v18
	ds_read_b64 v[6:7], v3
	ds_read_b64 v[4:5], v4 offset:22528
	v_mov_b32_e32 v3, s43
	s_waitcnt lgkmcnt(1)
	v_lshlrev_b64 v[6:7], 3, v[6:7]
	v_add_co_u32_e32 v6, vcc, s42, v6
	v_addc_co_u32_e32 v3, vcc, v3, v7, vcc
	v_lshlrev_b32_e32 v7, 3, v30
	v_add_co_u32_e32 v6, vcc, v6, v7
	v_addc_co_u32_e32 v7, vcc, 0, v3, vcc
	s_waitcnt lgkmcnt(0)
	global_store_dwordx2 v[6:7], v[4:5], off
.LBB25_83:
	s_or_b64 exec, exec, s[0:1]
	s_add_i32 s7, s7, -1
	s_cmp_eq_u32 s6, s7
	s_cselect_b64 s[0:1], -1, 0
	s_and_b64 s[2:3], s[12:13], s[0:1]
	s_mov_b64 s[0:1], 0
	s_mov_b64 s[8:9], 0
                                        ; implicit-def: $vgpr4_vgpr5
	s_and_saveexec_b64 s[10:11], s[2:3]
	s_xor_b64 s[2:3], exec, s[10:11]
; %bb.84:
	v_add_co_u32_e32 v4, vcc, v8, v20
	s_mov_b64 s[8:9], exec
	v_mov_b32_e32 v3, 0
	v_addc_co_u32_e32 v5, vcc, 0, v9, vcc
; %bb.85:
	s_or_b64 exec, exec, s[2:3]
	s_and_b64 vcc, exec, s[0:1]
	s_cbranch_vccnz .LBB25_87
	s_branch .LBB25_124
.LBB25_86:
	s_mov_b64 s[8:9], 0
                                        ; implicit-def: $vgpr4_vgpr5
                                        ; implicit-def: $vgpr2_vgpr3
	s_cbranch_execz .LBB25_124
.LBB25_87:
	s_add_u32 s0, s36, s30
	v_and_b32_e32 v2, 0x3ff, v0
	s_addc_u32 s1, s37, 0
	v_mbcnt_hi_u32_b32 v6, -1, v1
	v_and_b32_e32 v14, 0x1c0, v2
	v_mov_b32_e32 v1, s1
	v_add_co_u32_e32 v3, vcc, s0, v6
	v_mul_u32_u24_e32 v4, 6, v14
	v_addc_co_u32_e32 v1, vcc, 0, v1, vcc
	v_add_co_u32_e32 v16, vcc, v3, v4
	v_addc_co_u32_e32 v17, vcc, 0, v1, vcc
	global_load_ubyte v3, v[16:17], off
	s_load_dword s0, s[4:5], 0x5c
	s_load_dword s7, s[4:5], 0x50
	s_add_u32 s1, s4, 0x50
	s_addc_u32 s2, s5, 0
	v_mov_b32_e32 v8, 0
	s_waitcnt lgkmcnt(0)
	s_lshr_b32 s3, s0, 16
	s_cmp_lt_u32 s6, s7
	s_cselect_b32 s0, 12, 18
	s_add_u32 s0, s1, s0
	s_addc_u32 s1, s2, 0
	global_load_ushort v1, v8, s[0:1]
	v_mul_u32_u24_e32 v5, 5, v2
	v_lshlrev_b32_e32 v13, 2, v5
	ds_write2_b32 v13, v8, v8 offset0:8 offset1:9
	ds_write2_b32 v13, v8, v8 offset0:10 offset1:11
	ds_write_b32 v13, v8 offset:48
	global_load_ubyte v5, v[16:17], off offset:64
	global_load_ubyte v7, v[16:17], off offset:128
	;; [unrolled: 1-line block ×5, first 2 shown]
	v_bfe_u32 v9, v0, 10, 10
	v_bfe_u32 v0, v0, 20, 10
	s_lshl_b32 s0, -1, s49
	v_mad_u32_u24 v0, v0, s3, v9
	s_not_b32 s14, s0
	s_mov_b32 s31, 0
	s_waitcnt lgkmcnt(0)
	s_barrier
	s_waitcnt lgkmcnt(0)
	; wave barrier
	s_waitcnt vmcnt(6)
	v_lshrrev_b32_sdwa v9, s48, v3 dst_sel:DWORD dst_unused:UNUSED_PAD src0_sel:DWORD src1_sel:BYTE_0
	v_and_b32_e32 v15, s14, v9
	v_and_b32_e32 v17, 1, v15
	v_add_co_u32_e32 v18, vcc, -1, v17
	v_lshlrev_b32_e32 v9, 30, v15
	v_addc_co_u32_e64 v19, s[0:1], 0, -1, vcc
	v_cmp_ne_u32_e32 vcc, 0, v17
	v_cmp_gt_i64_e64 s[0:1], 0, v[8:9]
	v_not_b32_e32 v17, v9
	v_lshlrev_b32_e32 v9, 29, v15
	v_xor_b32_e32 v19, vcc_hi, v19
	v_xor_b32_e32 v18, vcc_lo, v18
	v_ashrrev_i32_e32 v17, 31, v17
	v_cmp_gt_i64_e32 vcc, 0, v[8:9]
	v_not_b32_e32 v20, v9
	v_lshlrev_b32_e32 v9, 28, v15
	s_waitcnt vmcnt(5)
	v_mad_u64_u32 v[0:1], s[2:3], v0, v1, v[2:3]
	v_and_b32_e32 v1, exec_hi, v19
	v_and_b32_e32 v18, exec_lo, v18
	v_xor_b32_e32 v19, s1, v17
	v_xor_b32_e32 v17, s0, v17
	v_ashrrev_i32_e32 v20, 31, v20
	v_cmp_gt_i64_e64 s[0:1], 0, v[8:9]
	v_not_b32_e32 v21, v9
	v_lshlrev_b32_e32 v9, 27, v15
	v_lshrrev_b32_e32 v22, 6, v0
	v_and_b32_e32 v0, v1, v19
	v_and_b32_e32 v1, v18, v17
	v_xor_b32_e32 v17, vcc_hi, v20
	v_xor_b32_e32 v18, vcc_lo, v20
	v_ashrrev_i32_e32 v19, 31, v21
	v_cmp_gt_i64_e32 vcc, 0, v[8:9]
	v_not_b32_e32 v9, v9
	v_and_b32_e32 v0, v0, v17
	v_and_b32_e32 v1, v1, v18
	v_xor_b32_e32 v17, s1, v19
	v_xor_b32_e32 v18, s0, v19
	v_ashrrev_i32_e32 v9, 31, v9
	v_and_b32_e32 v0, v0, v17
	v_and_b32_e32 v1, v1, v18
	v_xor_b32_e32 v17, vcc_hi, v9
	v_xor_b32_e32 v9, vcc_lo, v9
	v_and_b32_e32 v1, v1, v9
	v_lshlrev_b32_e32 v9, 26, v15
	v_cmp_gt_i64_e32 vcc, 0, v[8:9]
	v_not_b32_e32 v9, v9
	v_ashrrev_i32_e32 v9, 31, v9
	v_and_b32_e32 v0, v0, v17
	v_xor_b32_e32 v17, vcc_hi, v9
	v_xor_b32_e32 v9, vcc_lo, v9
	v_and_b32_e32 v1, v1, v9
	v_lshlrev_b32_e32 v9, 25, v15
	v_cmp_gt_i64_e32 vcc, 0, v[8:9]
	v_not_b32_e32 v9, v9
	v_ashrrev_i32_e32 v9, 31, v9
	v_and_b32_e32 v0, v0, v17
	v_xor_b32_e32 v17, vcc_hi, v9
	v_xor_b32_e32 v9, vcc_lo, v9
	v_and_b32_e32 v0, v0, v17
	v_and_b32_e32 v17, v1, v9
	v_lshlrev_b32_e32 v9, 24, v15
	v_not_b32_e32 v1, v9
	v_cmp_gt_i64_e32 vcc, 0, v[8:9]
	v_ashrrev_i32_e32 v1, 31, v1
	v_mul_u32_u24_e32 v16, 9, v15
	v_xor_b32_e32 v9, vcc_hi, v1
	v_xor_b32_e32 v15, vcc_lo, v1
	v_and_b32_e32 v1, v0, v9
	v_and_b32_e32 v0, v17, v15
	v_mbcnt_lo_u32_b32 v9, v0, 0
	v_mbcnt_hi_u32_b32 v15, v1, v9
	v_cmp_eq_u32_e32 vcc, 0, v15
	v_cmp_ne_u64_e64 s[0:1], 0, v[0:1]
	v_add_lshl_u32 v16, v22, v16, 2
	s_and_b64 s[2:3], s[0:1], vcc
	s_and_saveexec_b64 s[0:1], s[2:3]
	s_cbranch_execz .LBB25_89
; %bb.88:
	v_bcnt_u32_b32 v0, v0, 0
	v_bcnt_u32_b32 v0, v1, v0
	ds_write_b32 v16, v0 offset:32
.LBB25_89:
	s_or_b64 exec, exec, s[0:1]
	s_waitcnt vmcnt(4)
	v_lshrrev_b32_sdwa v0, s48, v5 dst_sel:DWORD dst_unused:UNUSED_PAD src0_sel:DWORD src1_sel:BYTE_0
	v_and_b32_e32 v0, s14, v0
	v_mul_u32_u24_e32 v1, 9, v0
	v_add_lshl_u32 v18, v22, v1, 2
	v_and_b32_e32 v1, 1, v0
	v_add_co_u32_e32 v9, vcc, -1, v1
	v_addc_co_u32_e64 v19, s[0:1], 0, -1, vcc
	v_cmp_ne_u32_e32 vcc, 0, v1
	v_xor_b32_e32 v9, vcc_lo, v9
	v_xor_b32_e32 v1, vcc_hi, v19
	v_and_b32_e32 v19, exec_lo, v9
	v_lshlrev_b32_e32 v9, 30, v0
	v_cmp_gt_i64_e32 vcc, 0, v[8:9]
	v_not_b32_e32 v9, v9
	v_ashrrev_i32_e32 v9, 31, v9
	v_xor_b32_e32 v20, vcc_hi, v9
	v_xor_b32_e32 v9, vcc_lo, v9
	v_and_b32_e32 v19, v19, v9
	v_lshlrev_b32_e32 v9, 29, v0
	v_cmp_gt_i64_e32 vcc, 0, v[8:9]
	v_not_b32_e32 v9, v9
	v_and_b32_e32 v1, exec_hi, v1
	v_ashrrev_i32_e32 v9, 31, v9
	v_and_b32_e32 v1, v1, v20
	v_xor_b32_e32 v20, vcc_hi, v9
	v_xor_b32_e32 v9, vcc_lo, v9
	v_and_b32_e32 v19, v19, v9
	v_lshlrev_b32_e32 v9, 28, v0
	v_cmp_gt_i64_e32 vcc, 0, v[8:9]
	v_not_b32_e32 v9, v9
	v_ashrrev_i32_e32 v9, 31, v9
	v_and_b32_e32 v1, v1, v20
	v_xor_b32_e32 v20, vcc_hi, v9
	v_xor_b32_e32 v9, vcc_lo, v9
	v_and_b32_e32 v19, v19, v9
	v_lshlrev_b32_e32 v9, 27, v0
	v_cmp_gt_i64_e32 vcc, 0, v[8:9]
	v_not_b32_e32 v9, v9
	v_ashrrev_i32_e32 v9, 31, v9
	v_and_b32_e32 v1, v1, v20
	v_xor_b32_e32 v20, vcc_hi, v9
	v_xor_b32_e32 v9, vcc_lo, v9
	v_and_b32_e32 v19, v19, v9
	v_lshlrev_b32_e32 v9, 26, v0
	v_cmp_gt_i64_e32 vcc, 0, v[8:9]
	v_not_b32_e32 v9, v9
	v_ashrrev_i32_e32 v9, 31, v9
	v_and_b32_e32 v1, v1, v20
	v_xor_b32_e32 v20, vcc_hi, v9
	v_xor_b32_e32 v9, vcc_lo, v9
	v_and_b32_e32 v19, v19, v9
	v_lshlrev_b32_e32 v9, 25, v0
	v_cmp_gt_i64_e32 vcc, 0, v[8:9]
	v_not_b32_e32 v9, v9
	v_ashrrev_i32_e32 v9, 31, v9
	v_and_b32_e32 v1, v1, v20
	v_xor_b32_e32 v20, vcc_hi, v9
	v_xor_b32_e32 v9, vcc_lo, v9
	v_and_b32_e32 v19, v19, v9
	v_lshlrev_b32_e32 v9, 24, v0
	v_not_b32_e32 v0, v9
	v_cmp_gt_i64_e32 vcc, 0, v[8:9]
	v_ashrrev_i32_e32 v0, 31, v0
	v_xor_b32_e32 v8, vcc_hi, v0
	v_xor_b32_e32 v0, vcc_lo, v0
	; wave barrier
	ds_read_b32 v17, v18 offset:32
	v_and_b32_e32 v1, v1, v20
	v_and_b32_e32 v0, v19, v0
	;; [unrolled: 1-line block ×3, first 2 shown]
	v_mbcnt_lo_u32_b32 v8, v0, 0
	v_mbcnt_hi_u32_b32 v19, v1, v8
	v_cmp_eq_u32_e32 vcc, 0, v19
	v_cmp_ne_u64_e64 s[0:1], 0, v[0:1]
	s_and_b64 s[2:3], s[0:1], vcc
	; wave barrier
	s_and_saveexec_b64 s[0:1], s[2:3]
	s_cbranch_execz .LBB25_91
; %bb.90:
	v_bcnt_u32_b32 v0, v0, 0
	v_bcnt_u32_b32 v0, v1, v0
	s_waitcnt lgkmcnt(0)
	v_add_u32_e32 v0, v17, v0
	ds_write_b32 v18, v0 offset:32
.LBB25_91:
	s_or_b64 exec, exec, s[0:1]
	s_waitcnt vmcnt(3)
	v_lshrrev_b32_sdwa v0, s48, v7 dst_sel:DWORD dst_unused:UNUSED_PAD src0_sel:DWORD src1_sel:BYTE_0
	v_and_b32_e32 v8, s14, v0
	v_and_b32_e32 v1, 1, v8
	v_add_co_u32_e32 v9, vcc, -1, v1
	v_addc_co_u32_e64 v23, s[0:1], 0, -1, vcc
	v_cmp_ne_u32_e32 vcc, 0, v1
	v_mul_u32_u24_e32 v0, 9, v8
	v_xor_b32_e32 v1, vcc_hi, v23
	v_add_lshl_u32 v21, v22, v0, 2
	v_mov_b32_e32 v0, 0
	v_and_b32_e32 v23, exec_hi, v1
	v_lshlrev_b32_e32 v1, 30, v8
	v_xor_b32_e32 v9, vcc_lo, v9
	v_cmp_gt_i64_e32 vcc, 0, v[0:1]
	v_not_b32_e32 v1, v1
	v_ashrrev_i32_e32 v1, 31, v1
	v_and_b32_e32 v9, exec_lo, v9
	v_xor_b32_e32 v24, vcc_hi, v1
	v_xor_b32_e32 v1, vcc_lo, v1
	v_and_b32_e32 v9, v9, v1
	v_lshlrev_b32_e32 v1, 29, v8
	v_cmp_gt_i64_e32 vcc, 0, v[0:1]
	v_not_b32_e32 v1, v1
	v_ashrrev_i32_e32 v1, 31, v1
	v_and_b32_e32 v23, v23, v24
	v_xor_b32_e32 v24, vcc_hi, v1
	v_xor_b32_e32 v1, vcc_lo, v1
	v_and_b32_e32 v9, v9, v1
	v_lshlrev_b32_e32 v1, 28, v8
	v_cmp_gt_i64_e32 vcc, 0, v[0:1]
	v_not_b32_e32 v1, v1
	v_ashrrev_i32_e32 v1, 31, v1
	v_and_b32_e32 v23, v23, v24
	;; [unrolled: 8-line block ×5, first 2 shown]
	v_xor_b32_e32 v24, vcc_hi, v1
	v_xor_b32_e32 v1, vcc_lo, v1
	v_and_b32_e32 v23, v23, v24
	v_and_b32_e32 v24, v9, v1
	v_lshlrev_b32_e32 v1, 24, v8
	v_cmp_gt_i64_e32 vcc, 0, v[0:1]
	v_not_b32_e32 v1, v1
	v_ashrrev_i32_e32 v1, 31, v1
	v_xor_b32_e32 v8, vcc_hi, v1
	v_xor_b32_e32 v1, vcc_lo, v1
	; wave barrier
	ds_read_b32 v20, v21 offset:32
	v_and_b32_e32 v9, v23, v8
	v_and_b32_e32 v8, v24, v1
	v_mbcnt_lo_u32_b32 v1, v8, 0
	v_mbcnt_hi_u32_b32 v23, v9, v1
	v_cmp_eq_u32_e32 vcc, 0, v23
	v_cmp_ne_u64_e64 s[0:1], 0, v[8:9]
	s_and_b64 s[2:3], s[0:1], vcc
	; wave barrier
	s_and_saveexec_b64 s[0:1], s[2:3]
	s_cbranch_execz .LBB25_93
; %bb.92:
	v_bcnt_u32_b32 v1, v8, 0
	v_bcnt_u32_b32 v1, v9, v1
	s_waitcnt lgkmcnt(0)
	v_add_u32_e32 v1, v20, v1
	ds_write_b32 v21, v1 offset:32
.LBB25_93:
	s_or_b64 exec, exec, s[0:1]
	s_waitcnt vmcnt(2)
	v_lshrrev_b32_sdwa v1, s48, v10 dst_sel:DWORD dst_unused:UNUSED_PAD src0_sel:DWORD src1_sel:BYTE_0
	v_and_b32_e32 v8, s14, v1
	v_mul_u32_u24_e32 v1, 9, v8
	v_add_lshl_u32 v25, v22, v1, 2
	v_and_b32_e32 v1, 1, v8
	v_add_co_u32_e32 v9, vcc, -1, v1
	v_addc_co_u32_e64 v26, s[0:1], 0, -1, vcc
	v_cmp_ne_u32_e32 vcc, 0, v1
	v_xor_b32_e32 v1, vcc_hi, v26
	v_and_b32_e32 v26, exec_hi, v1
	v_lshlrev_b32_e32 v1, 30, v8
	v_xor_b32_e32 v9, vcc_lo, v9
	v_cmp_gt_i64_e32 vcc, 0, v[0:1]
	v_not_b32_e32 v1, v1
	v_ashrrev_i32_e32 v1, 31, v1
	v_and_b32_e32 v9, exec_lo, v9
	v_xor_b32_e32 v27, vcc_hi, v1
	v_xor_b32_e32 v1, vcc_lo, v1
	v_and_b32_e32 v9, v9, v1
	v_lshlrev_b32_e32 v1, 29, v8
	v_cmp_gt_i64_e32 vcc, 0, v[0:1]
	v_not_b32_e32 v1, v1
	v_ashrrev_i32_e32 v1, 31, v1
	v_and_b32_e32 v26, v26, v27
	v_xor_b32_e32 v27, vcc_hi, v1
	v_xor_b32_e32 v1, vcc_lo, v1
	v_and_b32_e32 v9, v9, v1
	v_lshlrev_b32_e32 v1, 28, v8
	v_cmp_gt_i64_e32 vcc, 0, v[0:1]
	v_not_b32_e32 v1, v1
	v_ashrrev_i32_e32 v1, 31, v1
	v_and_b32_e32 v26, v26, v27
	v_xor_b32_e32 v27, vcc_hi, v1
	v_xor_b32_e32 v1, vcc_lo, v1
	v_and_b32_e32 v9, v9, v1
	v_lshlrev_b32_e32 v1, 27, v8
	v_cmp_gt_i64_e32 vcc, 0, v[0:1]
	v_not_b32_e32 v1, v1
	v_ashrrev_i32_e32 v1, 31, v1
	v_and_b32_e32 v26, v26, v27
	v_xor_b32_e32 v27, vcc_hi, v1
	v_xor_b32_e32 v1, vcc_lo, v1
	v_and_b32_e32 v9, v9, v1
	v_lshlrev_b32_e32 v1, 26, v8
	v_cmp_gt_i64_e32 vcc, 0, v[0:1]
	v_not_b32_e32 v1, v1
	v_ashrrev_i32_e32 v1, 31, v1
	v_and_b32_e32 v26, v26, v27
	v_xor_b32_e32 v27, vcc_hi, v1
	v_xor_b32_e32 v1, vcc_lo, v1
	v_and_b32_e32 v9, v9, v1
	v_lshlrev_b32_e32 v1, 25, v8
	v_cmp_gt_i64_e32 vcc, 0, v[0:1]
	v_not_b32_e32 v1, v1
	v_ashrrev_i32_e32 v1, 31, v1
	v_and_b32_e32 v26, v26, v27
	v_xor_b32_e32 v27, vcc_hi, v1
	v_xor_b32_e32 v1, vcc_lo, v1
	v_and_b32_e32 v9, v9, v1
	v_lshlrev_b32_e32 v1, 24, v8
	v_cmp_gt_i64_e32 vcc, 0, v[0:1]
	v_not_b32_e32 v0, v1
	v_ashrrev_i32_e32 v0, 31, v0
	v_xor_b32_e32 v1, vcc_hi, v0
	v_xor_b32_e32 v0, vcc_lo, v0
	; wave barrier
	ds_read_b32 v24, v25 offset:32
	v_and_b32_e32 v26, v26, v27
	v_and_b32_e32 v0, v9, v0
	;; [unrolled: 1-line block ×3, first 2 shown]
	v_mbcnt_lo_u32_b32 v8, v0, 0
	v_mbcnt_hi_u32_b32 v26, v1, v8
	v_cmp_eq_u32_e32 vcc, 0, v26
	v_cmp_ne_u64_e64 s[0:1], 0, v[0:1]
	s_and_b64 s[2:3], s[0:1], vcc
	; wave barrier
	s_and_saveexec_b64 s[0:1], s[2:3]
	s_cbranch_execz .LBB25_95
; %bb.94:
	v_bcnt_u32_b32 v0, v0, 0
	v_bcnt_u32_b32 v0, v1, v0
	s_waitcnt lgkmcnt(0)
	v_add_u32_e32 v0, v24, v0
	ds_write_b32 v25, v0 offset:32
.LBB25_95:
	s_or_b64 exec, exec, s[0:1]
	s_waitcnt vmcnt(1)
	v_lshrrev_b32_sdwa v0, s48, v11 dst_sel:DWORD dst_unused:UNUSED_PAD src0_sel:DWORD src1_sel:BYTE_0
	v_and_b32_e32 v8, s14, v0
	v_and_b32_e32 v1, 1, v8
	v_add_co_u32_e32 v9, vcc, -1, v1
	v_addc_co_u32_e64 v29, s[0:1], 0, -1, vcc
	v_cmp_ne_u32_e32 vcc, 0, v1
	v_mul_u32_u24_e32 v0, 9, v8
	v_xor_b32_e32 v1, vcc_hi, v29
	v_add_lshl_u32 v28, v22, v0, 2
	v_mov_b32_e32 v0, 0
	v_and_b32_e32 v29, exec_hi, v1
	v_lshlrev_b32_e32 v1, 30, v8
	v_xor_b32_e32 v9, vcc_lo, v9
	v_cmp_gt_i64_e32 vcc, 0, v[0:1]
	v_not_b32_e32 v1, v1
	v_ashrrev_i32_e32 v1, 31, v1
	v_and_b32_e32 v9, exec_lo, v9
	v_xor_b32_e32 v30, vcc_hi, v1
	v_xor_b32_e32 v1, vcc_lo, v1
	v_and_b32_e32 v9, v9, v1
	v_lshlrev_b32_e32 v1, 29, v8
	v_cmp_gt_i64_e32 vcc, 0, v[0:1]
	v_not_b32_e32 v1, v1
	v_ashrrev_i32_e32 v1, 31, v1
	v_and_b32_e32 v29, v29, v30
	v_xor_b32_e32 v30, vcc_hi, v1
	v_xor_b32_e32 v1, vcc_lo, v1
	v_and_b32_e32 v9, v9, v1
	v_lshlrev_b32_e32 v1, 28, v8
	v_cmp_gt_i64_e32 vcc, 0, v[0:1]
	v_not_b32_e32 v1, v1
	v_ashrrev_i32_e32 v1, 31, v1
	v_and_b32_e32 v29, v29, v30
	;; [unrolled: 8-line block ×5, first 2 shown]
	v_xor_b32_e32 v30, vcc_hi, v1
	v_xor_b32_e32 v1, vcc_lo, v1
	v_and_b32_e32 v29, v29, v30
	v_and_b32_e32 v30, v9, v1
	v_lshlrev_b32_e32 v1, 24, v8
	v_cmp_gt_i64_e32 vcc, 0, v[0:1]
	v_not_b32_e32 v1, v1
	v_ashrrev_i32_e32 v1, 31, v1
	v_xor_b32_e32 v8, vcc_hi, v1
	v_xor_b32_e32 v1, vcc_lo, v1
	; wave barrier
	ds_read_b32 v27, v28 offset:32
	v_and_b32_e32 v9, v29, v8
	v_and_b32_e32 v8, v30, v1
	v_mbcnt_lo_u32_b32 v1, v8, 0
	v_mbcnt_hi_u32_b32 v29, v9, v1
	v_cmp_eq_u32_e32 vcc, 0, v29
	v_cmp_ne_u64_e64 s[0:1], 0, v[8:9]
	s_and_b64 s[2:3], s[0:1], vcc
	; wave barrier
	s_and_saveexec_b64 s[0:1], s[2:3]
	s_cbranch_execz .LBB25_97
; %bb.96:
	v_bcnt_u32_b32 v1, v8, 0
	v_bcnt_u32_b32 v1, v9, v1
	s_waitcnt lgkmcnt(0)
	v_add_u32_e32 v1, v27, v1
	ds_write_b32 v28, v1 offset:32
.LBB25_97:
	s_or_b64 exec, exec, s[0:1]
	s_waitcnt vmcnt(0)
	v_lshrrev_b32_sdwa v1, s48, v12 dst_sel:DWORD dst_unused:UNUSED_PAD src0_sel:DWORD src1_sel:BYTE_0
	v_and_b32_e32 v8, s14, v1
	v_mul_u32_u24_e32 v1, 9, v8
	v_add_lshl_u32 v30, v22, v1, 2
	v_and_b32_e32 v1, 1, v8
	v_add_co_u32_e32 v9, vcc, -1, v1
	v_addc_co_u32_e64 v32, s[0:1], 0, -1, vcc
	v_cmp_ne_u32_e32 vcc, 0, v1
	v_xor_b32_e32 v1, vcc_hi, v32
	v_and_b32_e32 v32, exec_hi, v1
	v_lshlrev_b32_e32 v1, 30, v8
	v_xor_b32_e32 v9, vcc_lo, v9
	v_cmp_gt_i64_e32 vcc, 0, v[0:1]
	v_not_b32_e32 v1, v1
	v_ashrrev_i32_e32 v1, 31, v1
	v_and_b32_e32 v9, exec_lo, v9
	v_xor_b32_e32 v33, vcc_hi, v1
	v_xor_b32_e32 v1, vcc_lo, v1
	v_and_b32_e32 v9, v9, v1
	v_lshlrev_b32_e32 v1, 29, v8
	v_cmp_gt_i64_e32 vcc, 0, v[0:1]
	v_not_b32_e32 v1, v1
	v_ashrrev_i32_e32 v1, 31, v1
	v_and_b32_e32 v32, v32, v33
	v_xor_b32_e32 v33, vcc_hi, v1
	v_xor_b32_e32 v1, vcc_lo, v1
	v_and_b32_e32 v9, v9, v1
	v_lshlrev_b32_e32 v1, 28, v8
	v_cmp_gt_i64_e32 vcc, 0, v[0:1]
	v_not_b32_e32 v1, v1
	v_ashrrev_i32_e32 v1, 31, v1
	v_and_b32_e32 v32, v32, v33
	;; [unrolled: 8-line block ×5, first 2 shown]
	v_xor_b32_e32 v33, vcc_hi, v1
	v_xor_b32_e32 v1, vcc_lo, v1
	v_and_b32_e32 v9, v9, v1
	v_lshlrev_b32_e32 v1, 24, v8
	v_cmp_gt_i64_e32 vcc, 0, v[0:1]
	v_not_b32_e32 v0, v1
	v_ashrrev_i32_e32 v0, 31, v0
	v_xor_b32_e32 v1, vcc_hi, v0
	v_xor_b32_e32 v0, vcc_lo, v0
	; wave barrier
	ds_read_b32 v22, v30 offset:32
	v_and_b32_e32 v32, v32, v33
	v_and_b32_e32 v0, v9, v0
	;; [unrolled: 1-line block ×3, first 2 shown]
	v_mbcnt_lo_u32_b32 v8, v0, 0
	v_mbcnt_hi_u32_b32 v32, v1, v8
	v_cmp_eq_u32_e32 vcc, 0, v32
	v_cmp_ne_u64_e64 s[0:1], 0, v[0:1]
	v_add_u32_e32 v31, 32, v13
	s_and_b64 s[2:3], s[0:1], vcc
	; wave barrier
	s_and_saveexec_b64 s[0:1], s[2:3]
	s_cbranch_execz .LBB25_99
; %bb.98:
	v_bcnt_u32_b32 v0, v0, 0
	v_bcnt_u32_b32 v0, v1, v0
	s_waitcnt lgkmcnt(0)
	v_add_u32_e32 v0, v22, v0
	ds_write_b32 v30, v0 offset:32
.LBB25_99:
	s_or_b64 exec, exec, s[0:1]
	; wave barrier
	s_waitcnt lgkmcnt(0)
	s_barrier
	ds_read2_b32 v[8:9], v13 offset0:8 offset1:9
	ds_read2_b32 v[0:1], v31 offset0:2 offset1:3
	ds_read_b32 v33, v31 offset:16
	v_min_u32_e32 v14, 0x1c0, v14
	v_or_b32_e32 v14, 63, v14
	s_waitcnt lgkmcnt(1)
	v_add3_u32 v34, v9, v8, v0
	s_waitcnt lgkmcnt(0)
	v_add3_u32 v33, v34, v1, v33
	v_and_b32_e32 v34, 15, v6
	v_cmp_ne_u32_e32 vcc, 0, v34
	v_mov_b32_dpp v35, v33 row_shr:1 row_mask:0xf bank_mask:0xf
	v_cndmask_b32_e32 v35, 0, v35, vcc
	v_add_u32_e32 v33, v35, v33
	v_cmp_lt_u32_e32 vcc, 1, v34
	s_nop 0
	v_mov_b32_dpp v35, v33 row_shr:2 row_mask:0xf bank_mask:0xf
	v_cndmask_b32_e32 v35, 0, v35, vcc
	v_add_u32_e32 v33, v33, v35
	v_cmp_lt_u32_e32 vcc, 3, v34
	s_nop 0
	;; [unrolled: 5-line block ×3, first 2 shown]
	v_mov_b32_dpp v35, v33 row_shr:8 row_mask:0xf bank_mask:0xf
	v_cndmask_b32_e32 v34, 0, v35, vcc
	v_add_u32_e32 v33, v33, v34
	v_bfe_i32 v35, v6, 4, 1
	v_cmp_lt_u32_e32 vcc, 31, v6
	v_mov_b32_dpp v34, v33 row_bcast:15 row_mask:0xf bank_mask:0xf
	v_and_b32_e32 v34, v35, v34
	v_add_u32_e32 v33, v33, v34
	s_nop 1
	v_mov_b32_dpp v34, v33 row_bcast:31 row_mask:0xf bank_mask:0xf
	v_cndmask_b32_e32 v34, 0, v34, vcc
	v_add_u32_e32 v33, v33, v34
	v_lshrrev_b32_e32 v34, 6, v2
	v_cmp_eq_u32_e32 vcc, v14, v2
	s_and_saveexec_b64 s[0:1], vcc
	s_cbranch_execz .LBB25_101
; %bb.100:
	v_lshlrev_b32_e32 v14, 2, v34
	ds_write_b32 v14, v33
.LBB25_101:
	s_or_b64 exec, exec, s[0:1]
	v_cmp_gt_u32_e32 vcc, 8, v2
	s_waitcnt lgkmcnt(0)
	s_barrier
	s_and_saveexec_b64 s[0:1], vcc
	s_cbranch_execz .LBB25_103
; %bb.102:
	v_lshlrev_b32_e32 v14, 2, v2
	ds_read_b32 v35, v14
	v_and_b32_e32 v36, 7, v6
	v_cmp_ne_u32_e32 vcc, 0, v36
	s_waitcnt lgkmcnt(0)
	v_mov_b32_dpp v37, v35 row_shr:1 row_mask:0xf bank_mask:0xf
	v_cndmask_b32_e32 v37, 0, v37, vcc
	v_add_u32_e32 v35, v37, v35
	v_cmp_lt_u32_e32 vcc, 1, v36
	s_nop 0
	v_mov_b32_dpp v37, v35 row_shr:2 row_mask:0xf bank_mask:0xf
	v_cndmask_b32_e32 v37, 0, v37, vcc
	v_add_u32_e32 v35, v35, v37
	v_cmp_lt_u32_e32 vcc, 3, v36
	s_nop 0
	v_mov_b32_dpp v37, v35 row_shr:4 row_mask:0xf bank_mask:0xf
	v_cndmask_b32_e32 v36, 0, v37, vcc
	v_add_u32_e32 v35, v35, v36
	ds_write_b32 v14, v35
.LBB25_103:
	s_or_b64 exec, exec, s[0:1]
	v_cmp_lt_u32_e32 vcc, 63, v2
	v_mov_b32_e32 v14, 0
	s_waitcnt lgkmcnt(0)
	s_barrier
	s_and_saveexec_b64 s[0:1], vcc
	s_cbranch_execz .LBB25_105
; %bb.104:
	v_lshl_add_u32 v14, v34, 2, -4
	ds_read_b32 v14, v14
.LBB25_105:
	s_or_b64 exec, exec, s[0:1]
	v_add_u32_e32 v34, -1, v6
	v_and_b32_e32 v35, 64, v6
	v_cmp_lt_i32_e32 vcc, v34, v35
	v_cndmask_b32_e32 v34, v34, v6, vcc
	s_waitcnt lgkmcnt(0)
	v_add_u32_e32 v33, v14, v33
	v_lshlrev_b32_e32 v34, 2, v34
	ds_bpermute_b32 v33, v34, v33
	v_cmp_eq_u32_e32 vcc, 0, v6
	s_movk_i32 s2, 0xff
	s_movk_i32 s3, 0x100
	v_cmp_lt_u32_e64 s[0:1], s2, v2
	s_waitcnt lgkmcnt(0)
	v_cndmask_b32_e32 v14, v33, v14, vcc
	v_cmp_ne_u32_e32 vcc, 0, v2
	v_cndmask_b32_e32 v14, 0, v14, vcc
	v_add_u32_e32 v8, v14, v8
	v_add_u32_e32 v9, v8, v9
	;; [unrolled: 1-line block ×4, first 2 shown]
	ds_write2_b32 v13, v14, v8 offset0:8 offset1:9
	ds_write2_b32 v31, v9, v0 offset0:2 offset1:3
	ds_write_b32 v31, v1 offset:16
	s_waitcnt lgkmcnt(0)
	s_barrier
	ds_read_b32 v8, v16 offset:32
	ds_read_b32 v9, v18 offset:32
	;; [unrolled: 1-line block ×6, first 2 shown]
	v_cmp_gt_u32_e32 vcc, s3, v2
	v_pk_mov_b32 v[0:1], 0, 0
                                        ; implicit-def: $vgpr14
	s_and_saveexec_b64 s[4:5], vcc
	s_cbranch_execz .LBB25_109
; %bb.106:
	v_mul_u32_u24_e32 v0, 9, v2
	v_lshlrev_b32_e32 v14, 2, v0
	ds_read_b32 v0, v14 offset:32
	v_cmp_ne_u32_e64 s[2:3], s2, v2
	v_mov_b32_e32 v1, 0xc00
	s_and_saveexec_b64 s[10:11], s[2:3]
	s_cbranch_execz .LBB25_108
; %bb.107:
	ds_read_b32 v1, v14 offset:68
.LBB25_108:
	s_or_b64 exec, exec, s[10:11]
	s_waitcnt lgkmcnt(0)
	v_sub_u32_e32 v14, v1, v0
	v_mov_b32_e32 v1, 0
.LBB25_109:
	s_or_b64 exec, exec, s[4:5]
	s_waitcnt lgkmcnt(5)
	v_add_u32_e32 v21, v8, v15
	s_waitcnt lgkmcnt(4)
	v_add3_u32 v19, v19, v17, v9
	s_waitcnt lgkmcnt(3)
	v_add3_u32 v18, v23, v20, v13
	;; [unrolled: 2-line block ×5, first 2 shown]
	s_barrier
	ds_write_b8 v21, v3 offset:2048
	ds_write_b8 v19, v5 offset:2048
	;; [unrolled: 1-line block ×6, first 2 shown]
	s_waitcnt lgkmcnt(0)
	s_barrier
	s_and_saveexec_b64 s[2:3], s[0:1]
	s_xor_b64 s[0:1], exec, s[2:3]
; %bb.110:
	v_mov_b32_e32 v3, 0
; %bb.111:
	s_andn2_saveexec_b64 s[2:3], s[0:1]
	s_cbranch_execz .LBB25_121
; %bb.112:
	v_lshl_or_b32 v8, s6, 8, v2
	v_mov_b32_e32 v9, 0
	v_lshlrev_b64 v[10:11], 2, v[8:9]
	v_mov_b32_e32 v3, s35
	v_add_co_u32_e64 v10, s[0:1], s34, v10
	v_addc_co_u32_e64 v11, s[0:1], v3, v11, s[0:1]
	v_or_b32_e32 v5, 2.0, v14
	global_store_dword v[10:11], v5, off
	s_mov_b64 s[4:5], 0
	s_brev_b32 s15, 1
	s_mov_b32 s16, s6
	v_mov_b32_e32 v5, 0
                                        ; implicit-def: $sgpr0_sgpr1
	s_branch .LBB25_115
.LBB25_113:                             ;   in Loop: Header=BB25_115 Depth=1
	s_or_b64 exec, exec, s[12:13]
.LBB25_114:                             ;   in Loop: Header=BB25_115 Depth=1
	s_or_b64 exec, exec, s[10:11]
	v_and_b32_e32 v8, 0x3fffffff, v8
	v_add_u32_e32 v5, v8, v5
	v_cmp_eq_u32_e64 s[0:1], s15, v7
	s_and_b64 s[10:11], exec, s[0:1]
	s_or_b64 s[4:5], s[10:11], s[4:5]
	s_andn2_b64 exec, exec, s[4:5]
	s_cbranch_execz .LBB25_120
.LBB25_115:                             ; =>This Loop Header: Depth=1
                                        ;     Child Loop BB25_118 Depth 2
	s_or_b64 s[0:1], s[0:1], exec
	s_cmp_eq_u32 s16, 0
	s_cbranch_scc1 .LBB25_119
; %bb.116:                              ;   in Loop: Header=BB25_115 Depth=1
	s_add_i32 s16, s16, -1
	v_lshl_or_b32 v8, s16, 8, v2
	v_lshlrev_b64 v[12:13], 2, v[8:9]
	v_add_co_u32_e64 v12, s[0:1], s34, v12
	v_addc_co_u32_e64 v13, s[0:1], v3, v13, s[0:1]
	global_load_dword v8, v[12:13], off glc
	s_waitcnt vmcnt(0)
	v_and_b32_e32 v7, -2.0, v8
	v_cmp_eq_u32_e64 s[0:1], 0, v7
	s_and_saveexec_b64 s[10:11], s[0:1]
	s_cbranch_execz .LBB25_114
; %bb.117:                              ;   in Loop: Header=BB25_115 Depth=1
	s_mov_b64 s[12:13], 0
.LBB25_118:                             ;   Parent Loop BB25_115 Depth=1
                                        ; =>  This Inner Loop Header: Depth=2
	global_load_dword v8, v[12:13], off glc
	s_waitcnt vmcnt(0)
	v_and_b32_e32 v7, -2.0, v8
	v_cmp_ne_u32_e64 s[0:1], 0, v7
	s_or_b64 s[12:13], s[0:1], s[12:13]
	s_andn2_b64 exec, exec, s[12:13]
	s_cbranch_execnz .LBB25_118
	s_branch .LBB25_113
.LBB25_119:                             ;   in Loop: Header=BB25_115 Depth=1
                                        ; implicit-def: $sgpr16
	s_and_b64 s[10:11], exec, s[0:1]
	s_or_b64 s[4:5], s[10:11], s[4:5]
	s_andn2_b64 exec, exec, s[4:5]
	s_cbranch_execnz .LBB25_115
.LBB25_120:
	s_or_b64 exec, exec, s[4:5]
	v_add_u32_e32 v3, v5, v14
	v_or_b32_e32 v3, 0x80000000, v3
	global_store_dword v[10:11], v3, off
	v_lshlrev_b32_e32 v7, 3, v2
	global_load_dwordx2 v[8:9], v7, s[44:45]
	v_sub_co_u32_e64 v5, s[0:1], v5, v0
	v_subb_co_u32_e64 v10, s[0:1], 0, v1, s[0:1]
	v_mov_b32_e32 v3, 0
	s_waitcnt vmcnt(0)
	v_add_co_u32_e64 v8, s[0:1], v5, v8
	v_addc_co_u32_e64 v9, s[0:1], v10, v9, s[0:1]
	ds_write_b64 v7, v[8:9]
.LBB25_121:
	s_or_b64 exec, exec, s[2:3]
	s_waitcnt lgkmcnt(0)
	s_barrier
	ds_read_u8 v5, v2 offset:4096
	ds_read_u8 v7, v2 offset:3072
	;; [unrolled: 1-line block ×5, first 2 shown]
	s_waitcnt lgkmcnt(4)
	v_lshrrev_b32_sdwa v8, s48, v5 dst_sel:DWORD dst_unused:UNUSED_PAD src0_sel:DWORD src1_sel:BYTE_0
	v_and_b32_e32 v8, s14, v8
	v_lshlrev_b32_e32 v30, 3, v8
	ds_read_b64 v[8:9], v30
	ds_read_u8 v31, v2 offset:2048
	s_waitcnt lgkmcnt(2)
	v_lshrrev_b32_sdwa v10, s48, v29 dst_sel:DWORD dst_unused:UNUSED_PAD src0_sel:DWORD src1_sel:BYTE_0
	v_and_b32_e32 v10, s14, v10
	v_lshlrev_b32_e32 v32, 3, v10
	ds_read_b64 v[10:11], v32
	s_waitcnt lgkmcnt(1)
	v_lshrrev_b32_sdwa v12, s48, v31 dst_sel:DWORD dst_unused:UNUSED_PAD src0_sel:DWORD src1_sel:BYTE_0
	v_and_b32_e32 v12, s14, v12
	v_lshlrev_b32_e32 v33, 3, v12
	v_lshrrev_b32_sdwa v12, s48, v28 dst_sel:DWORD dst_unused:UNUSED_PAD src0_sel:DWORD src1_sel:BYTE_0
	v_and_b32_e32 v12, s14, v12
	v_lshlrev_b32_e32 v35, 3, v12
	;; [unrolled: 3-line block ×4, first 2 shown]
	ds_read_b64 v[12:13], v33
	ds_read_b64 v[22:23], v35
	;; [unrolled: 1-line block ×4, first 2 shown]
	v_mov_b32_e32 v34, s39
	s_waitcnt lgkmcnt(3)
	v_add_co_u32_e64 v12, s[0:1], s38, v12
	v_addc_co_u32_e64 v13, s[0:1], v34, v13, s[0:1]
	v_add_co_u32_e64 v12, s[0:1], v12, v2
	v_addc_co_u32_e64 v13, s[0:1], v13, v3, s[0:1]
	global_store_byte v[12:13], v31, off
	v_mov_b32_e32 v12, s39
	s_waitcnt lgkmcnt(2)
	v_add_co_u32_e64 v13, s[0:1], s38, v22
	v_addc_co_u32_e64 v22, s[0:1], v12, v23, s[0:1]
	v_add_co_u32_e64 v12, s[0:1], v13, v2
	v_addc_co_u32_e64 v13, s[0:1], v22, v3, s[0:1]
	global_store_byte v[12:13], v28, off offset:512
	v_mov_b32_e32 v12, s39
	s_waitcnt lgkmcnt(1)
	v_add_co_u32_e64 v13, s[0:1], s38, v24
	v_addc_co_u32_e64 v22, s[0:1], v12, v25, s[0:1]
	v_add_co_u32_e64 v12, s[0:1], v13, v2
	v_addc_co_u32_e64 v13, s[0:1], v22, v3, s[0:1]
	global_store_byte v[12:13], v7, off offset:1024
	v_mov_b32_e32 v7, s39
	s_waitcnt lgkmcnt(0)
	v_add_co_u32_e64 v12, s[0:1], s38, v26
	v_addc_co_u32_e64 v7, s[0:1], v7, v27, s[0:1]
	v_add_co_u32_e64 v12, s[0:1], v12, v2
	v_addc_co_u32_e64 v13, s[0:1], v7, v3, s[0:1]
	v_mov_b32_e32 v7, s39
	v_add_co_u32_e64 v8, s[0:1], s38, v8
	v_addc_co_u32_e64 v7, s[0:1], v7, v9, s[0:1]
	v_add_co_u32_e64 v8, s[0:1], v8, v2
	v_addc_co_u32_e64 v9, s[0:1], v7, v3, s[0:1]
	global_store_byte v[12:13], v20, off offset:1536
	global_store_byte v[8:9], v5, off offset:2048
	v_mov_b32_e32 v5, s39
	v_add_co_u32_e64 v7, s[0:1], s38, v10
	v_addc_co_u32_e64 v5, s[0:1], v5, v11, s[0:1]
	v_add_co_u32_e64 v8, s[0:1], v7, v2
	v_addc_co_u32_e64 v9, s[0:1], v5, v3, s[0:1]
	s_lshl_b64 s[0:1], s[30:31], 3
	s_add_u32 s0, s40, s0
	s_addc_u32 s1, s41, s1
	v_lshlrev_b32_e32 v5, 3, v6
	v_mov_b32_e32 v6, s1
	v_add_co_u32_e64 v5, s[0:1], s0, v5
	v_addc_co_u32_e64 v6, s[0:1], 0, v6, s[0:1]
	v_lshlrev_b32_e32 v4, 3, v4
	v_add_co_u32_e64 v4, s[0:1], v5, v4
	global_store_byte v[8:9], v29, off offset:2560
	v_addc_co_u32_e64 v5, s[0:1], 0, v6, s[0:1]
	global_load_dwordx2 v[6:7], v[4:5], off
	global_load_dwordx2 v[8:9], v[4:5], off offset:512
	global_load_dwordx2 v[10:11], v[4:5], off offset:1024
	;; [unrolled: 1-line block ×5, first 2 shown]
	v_lshlrev_b32_e32 v4, 3, v21
	s_barrier
	v_or_b32_e32 v20, 0x800, v2
	v_lshlrev_b32_e32 v26, 3, v2
	s_add_i32 s7, s7, -1
	s_cmp_eq_u32 s6, s7
	s_waitcnt vmcnt(5)
	ds_write_b64 v4, v[6:7] offset:2048
	v_lshlrev_b32_e32 v4, 3, v19
	s_waitcnt vmcnt(4)
	ds_write_b64 v4, v[8:9] offset:2048
	v_lshlrev_b32_e32 v4, 3, v18
	s_waitcnt vmcnt(3)
	ds_write_b64 v4, v[10:11] offset:2048
	v_lshlrev_b32_e32 v4, 3, v17
	s_waitcnt vmcnt(2)
	ds_write_b64 v4, v[12:13] offset:2048
	v_lshlrev_b32_e32 v4, 3, v16
	s_waitcnt vmcnt(1)
	ds_write_b64 v4, v[22:23] offset:2048
	v_lshlrev_b32_e32 v4, 3, v15
	s_waitcnt vmcnt(0)
	ds_write_b64 v4, v[24:25] offset:2048
	s_waitcnt lgkmcnt(0)
	s_barrier
	ds_read_b64 v[4:5], v33
	v_mov_b32_e32 v7, s43
	v_lshlrev_b32_e32 v6, 3, v2
	ds_read_b64 v[8:9], v35
	ds_read_b64 v[10:11], v36
	ds_read_b64 v[12:13], v37
	v_mov_b32_e32 v22, s43
	s_waitcnt lgkmcnt(3)
	v_lshlrev_b64 v[4:5], 3, v[4:5]
	v_add_co_u32_e64 v15, s[0:1], s42, v4
	v_addc_co_u32_e64 v7, s[0:1], v7, v5, s[0:1]
	v_lshlrev_b64 v[4:5], 3, v[2:3]
	v_add_co_u32_e64 v4, s[0:1], v15, v4
	v_addc_co_u32_e64 v5, s[0:1], v7, v5, s[0:1]
	ds_read_b64 v[6:7], v6 offset:2048
	v_mad_u32_u24 v15, v2, 7, v20
	ds_read_b64 v[16:17], v30
	ds_read_b64 v[18:19], v15 offset:20480
	ds_read_b64 v[20:21], v32
	s_waitcnt lgkmcnt(6)
	v_lshlrev_b64 v[8:9], 3, v[8:9]
	v_add_co_u32_e64 v8, s[0:1], s42, v8
	s_waitcnt lgkmcnt(3)
	global_store_dwordx2 v[4:5], v[6:7], off
	ds_read2st64_b64 v[4:7], v15 offset0:8 offset1:16
	v_addc_co_u32_e64 v9, s[0:1], v22, v9, s[0:1]
	v_add_u32_e32 v22, 0x1000, v26
	v_add_co_u32_e64 v8, s[0:1], v8, v22
	v_addc_co_u32_e64 v9, s[0:1], 0, v9, s[0:1]
	s_waitcnt lgkmcnt(0)
	global_store_dwordx2 v[8:9], v[4:5], off
	v_lshlrev_b64 v[4:5], 3, v[10:11]
	v_mov_b32_e32 v8, s43
	v_add_co_u32_e64 v4, s[0:1], s42, v4
	v_addc_co_u32_e64 v5, s[0:1], v8, v5, s[0:1]
	v_or_b32_e32 v8, 0x2000, v26
	v_add_co_u32_e64 v4, s[0:1], v4, v8
	v_addc_co_u32_e64 v5, s[0:1], 0, v5, s[0:1]
	global_store_dwordx2 v[4:5], v[6:7], off
	ds_read2st64_b64 v[4:7], v15 offset0:24 offset1:32
	v_lshlrev_b64 v[8:9], 3, v[12:13]
	v_mov_b32_e32 v10, s43
	v_add_co_u32_e64 v8, s[0:1], s42, v8
	v_addc_co_u32_e64 v9, s[0:1], v10, v9, s[0:1]
	v_add_u32_e32 v10, 0x3000, v26
	v_add_co_u32_e64 v8, s[0:1], v8, v10
	v_addc_co_u32_e64 v9, s[0:1], 0, v9, s[0:1]
	s_waitcnt lgkmcnt(0)
	global_store_dwordx2 v[8:9], v[4:5], off
	v_lshlrev_b64 v[4:5], 3, v[16:17]
	v_mov_b32_e32 v8, s43
	v_add_co_u32_e64 v4, s[0:1], s42, v4
	v_addc_co_u32_e64 v5, s[0:1], v8, v5, s[0:1]
	v_or_b32_e32 v8, 0x4000, v26
	v_add_co_u32_e64 v4, s[0:1], v4, v8
	v_addc_co_u32_e64 v5, s[0:1], 0, v5, s[0:1]
	global_store_dwordx2 v[4:5], v[6:7], off
	v_lshlrev_b64 v[4:5], 3, v[20:21]
	v_mov_b32_e32 v6, s43
	v_add_co_u32_e64 v4, s[0:1], s42, v4
	v_addc_co_u32_e64 v5, s[0:1], v6, v5, s[0:1]
	v_add_u32_e32 v6, 0x5000, v26
	v_add_co_u32_e64 v4, s[0:1], v4, v6
	v_addc_co_u32_e64 v5, s[0:1], 0, v5, s[0:1]
	s_cselect_b64 s[0:1], -1, 0
	s_and_b64 s[2:3], vcc, s[0:1]
	global_store_dwordx2 v[4:5], v[18:19], off
                                        ; implicit-def: $vgpr4_vgpr5
	s_and_saveexec_b64 s[0:1], s[2:3]
; %bb.122:
	v_add_co_u32_e32 v4, vcc, v0, v14
	v_addc_co_u32_e32 v5, vcc, 0, v1, vcc
	s_or_b64 s[8:9], s[8:9], exec
; %bb.123:
	s_or_b64 exec, exec, s[0:1]
.LBB25_124:
	s_and_saveexec_b64 s[0:1], s[8:9]
	s_cbranch_execnz .LBB25_126
; %bb.125:
	s_endpgm
.LBB25_126:
	v_lshlrev_b32_e32 v6, 3, v2
	v_lshlrev_b64 v[0:1], 3, v[2:3]
	ds_read_b64 v[2:3], v6
	v_mov_b32_e32 v7, s47
	v_add_co_u32_e32 v0, vcc, s46, v0
	v_addc_co_u32_e32 v1, vcc, v7, v1, vcc
	s_waitcnt lgkmcnt(0)
	v_add_co_u32_e32 v2, vcc, v2, v4
	v_addc_co_u32_e32 v3, vcc, v3, v5, vcc
	global_store_dwordx2 v[0:1], v[2:3], off
	s_endpgm
.LBB25_127:
	global_load_dwordx2 v[4:5], v[18:19], off
	s_or_b64 exec, exec, s[28:29]
                                        ; implicit-def: $vgpr6_vgpr7
	s_and_saveexec_b64 s[28:29], s[0:1]
	s_cbranch_execz .LBB25_59
.LBB25_128:
	global_load_dwordx2 v[6:7], v[18:19], off offset:512
	s_or_b64 exec, exec, s[28:29]
                                        ; implicit-def: $vgpr10_vgpr11
	s_and_saveexec_b64 s[0:1], s[2:3]
	s_cbranch_execz .LBB25_60
.LBB25_129:
	global_load_dwordx2 v[10:11], v[18:19], off offset:1024
	s_or_b64 exec, exec, s[0:1]
                                        ; implicit-def: $vgpr12_vgpr13
	s_and_saveexec_b64 s[0:1], s[26:27]
	s_cbranch_execz .LBB25_61
.LBB25_130:
	global_load_dwordx2 v[12:13], v[18:19], off offset:1536
	s_or_b64 exec, exec, s[0:1]
                                        ; implicit-def: $vgpr14_vgpr15
	s_and_saveexec_b64 s[0:1], s[8:9]
	s_cbranch_execz .LBB25_62
.LBB25_131:
	global_load_dwordx2 v[14:15], v[18:19], off offset:2048
	s_or_b64 exec, exec, s[0:1]
                                        ; implicit-def: $vgpr16_vgpr17
	s_and_saveexec_b64 s[0:1], s[10:11]
	s_cbranch_execnz .LBB25_63
	s_branch .LBB25_64
.LBB25_132:
	v_lshlrev_b32_e32 v5, 3, v34
	ds_read_b64 v[6:7], v5
	ds_read_b64 v[10:11], v4 offset:2048
	v_mov_b32_e32 v5, s43
	s_waitcnt lgkmcnt(1)
	v_lshlrev_b64 v[6:7], 3, v[6:7]
	v_add_co_u32_e32 v6, vcc, s42, v6
	v_addc_co_u32_e32 v5, vcc, v5, v7, vcc
	v_add_co_u32_e32 v6, vcc, v6, v4
	v_addc_co_u32_e32 v7, vcc, 0, v5, vcc
	s_waitcnt lgkmcnt(0)
	global_store_dwordx2 v[6:7], v[10:11], off
	s_or_b64 exec, exec, s[0:1]
	s_and_saveexec_b64 s[0:1], s[16:17]
	s_cbranch_execz .LBB25_78
.LBB25_133:
	v_lshlrev_b32_e32 v5, 3, v32
	ds_read_b64 v[6:7], v5
	ds_read_b64 v[10:11], v4 offset:6144
	v_mov_b32_e32 v5, s43
	v_lshlrev_b32_e32 v3, 3, v3
	s_waitcnt lgkmcnt(1)
	v_lshlrev_b64 v[6:7], 3, v[6:7]
	v_add_co_u32_e32 v6, vcc, s42, v6
	v_addc_co_u32_e32 v5, vcc, v5, v7, vcc
	v_add_co_u32_e32 v6, vcc, v6, v3
	v_addc_co_u32_e32 v7, vcc, 0, v5, vcc
	s_waitcnt lgkmcnt(0)
	global_store_dwordx2 v[6:7], v[10:11], off
	s_or_b64 exec, exec, s[0:1]
	s_and_saveexec_b64 s[0:1], s[18:19]
	s_cbranch_execz .LBB25_79
.LBB25_134:
	v_lshlrev_b32_e32 v3, 3, v33
	ds_read_b64 v[6:7], v3
	ds_read_b64 v[10:11], v4 offset:10240
	v_mov_b32_e32 v3, s43
	s_waitcnt lgkmcnt(1)
	v_lshlrev_b64 v[6:7], 3, v[6:7]
	v_add_co_u32_e32 v5, vcc, s42, v6
	v_addc_co_u32_e32 v3, vcc, v3, v7, vcc
	v_lshlrev_b32_e32 v6, 3, v25
	v_add_co_u32_e32 v6, vcc, v5, v6
	v_addc_co_u32_e32 v7, vcc, 0, v3, vcc
	s_waitcnt lgkmcnt(0)
	global_store_dwordx2 v[6:7], v[10:11], off
	s_or_b64 exec, exec, s[0:1]
	s_and_saveexec_b64 s[0:1], s[20:21]
	s_cbranch_execz .LBB25_80
.LBB25_135:
	v_lshlrev_b32_e32 v3, 3, v19
	ds_read_b64 v[6:7], v3
	ds_read_b64 v[10:11], v4 offset:14336
	v_mov_b32_e32 v3, s43
	s_waitcnt lgkmcnt(1)
	v_lshlrev_b64 v[6:7], 3, v[6:7]
	v_add_co_u32_e32 v5, vcc, s42, v6
	v_addc_co_u32_e32 v3, vcc, v3, v7, vcc
	v_lshlrev_b32_e32 v6, 3, v28
	v_add_co_u32_e32 v6, vcc, v5, v6
	v_addc_co_u32_e32 v7, vcc, 0, v3, vcc
	s_waitcnt lgkmcnt(0)
	global_store_dwordx2 v[6:7], v[10:11], off
	s_or_b64 exec, exec, s[0:1]
	s_and_saveexec_b64 s[0:1], s[22:23]
	s_cbranch_execz .LBB25_81
.LBB25_136:
	v_lshlrev_b32_e32 v3, 3, v31
	ds_read_b64 v[6:7], v3
	ds_read_b64 v[10:11], v4 offset:18432
	v_mov_b32_e32 v3, s43
	s_waitcnt lgkmcnt(1)
	v_lshlrev_b64 v[6:7], 3, v[6:7]
	v_add_co_u32_e32 v5, vcc, s42, v6
	v_addc_co_u32_e32 v3, vcc, v3, v7, vcc
	v_lshlrev_b32_e32 v6, 3, v29
	v_add_co_u32_e32 v6, vcc, v5, v6
	v_addc_co_u32_e32 v7, vcc, 0, v3, vcc
	s_waitcnt lgkmcnt(0)
	global_store_dwordx2 v[6:7], v[10:11], off
	s_or_b64 exec, exec, s[0:1]
	s_and_saveexec_b64 s[0:1], s[24:25]
	s_cbranch_execnz .LBB25_82
	s_branch .LBB25_83
	.section	.rodata,"a",@progbits
	.p2align	6, 0x0
	.amdhsa_kernel _ZN7rocprim17ROCPRIM_304000_NS6detail25onesweep_iteration_kernelINS1_34wrapped_radix_sort_onesweep_configINS0_14default_configEhN2at4cuda3cub6detail10OpaqueTypeILi8EEEEELb0EPhSC_PSA_SD_mNS0_19identity_decomposerEEEvT1_T2_T3_T4_jPT5_SK_PNS1_23onesweep_lookback_stateET6_jjj
		.amdhsa_group_segment_fixed_size 26624
		.amdhsa_private_segment_fixed_size 0
		.amdhsa_kernarg_size 336
		.amdhsa_user_sgpr_count 6
		.amdhsa_user_sgpr_private_segment_buffer 1
		.amdhsa_user_sgpr_dispatch_ptr 0
		.amdhsa_user_sgpr_queue_ptr 0
		.amdhsa_user_sgpr_kernarg_segment_ptr 1
		.amdhsa_user_sgpr_dispatch_id 0
		.amdhsa_user_sgpr_flat_scratch_init 0
		.amdhsa_user_sgpr_kernarg_preload_length 0
		.amdhsa_user_sgpr_kernarg_preload_offset 0
		.amdhsa_user_sgpr_private_segment_size 0
		.amdhsa_uses_dynamic_stack 0
		.amdhsa_system_sgpr_private_segment_wavefront_offset 0
		.amdhsa_system_sgpr_workgroup_id_x 1
		.amdhsa_system_sgpr_workgroup_id_y 0
		.amdhsa_system_sgpr_workgroup_id_z 0
		.amdhsa_system_sgpr_workgroup_info 0
		.amdhsa_system_vgpr_workitem_id 2
		.amdhsa_next_free_vgpr 40
		.amdhsa_next_free_sgpr 52
		.amdhsa_accum_offset 40
		.amdhsa_reserve_vcc 1
		.amdhsa_reserve_flat_scratch 0
		.amdhsa_float_round_mode_32 0
		.amdhsa_float_round_mode_16_64 0
		.amdhsa_float_denorm_mode_32 3
		.amdhsa_float_denorm_mode_16_64 3
		.amdhsa_dx10_clamp 1
		.amdhsa_ieee_mode 1
		.amdhsa_fp16_overflow 0
		.amdhsa_tg_split 0
		.amdhsa_exception_fp_ieee_invalid_op 0
		.amdhsa_exception_fp_denorm_src 0
		.amdhsa_exception_fp_ieee_div_zero 0
		.amdhsa_exception_fp_ieee_overflow 0
		.amdhsa_exception_fp_ieee_underflow 0
		.amdhsa_exception_fp_ieee_inexact 0
		.amdhsa_exception_int_div_zero 0
	.end_amdhsa_kernel
	.section	.text._ZN7rocprim17ROCPRIM_304000_NS6detail25onesweep_iteration_kernelINS1_34wrapped_radix_sort_onesweep_configINS0_14default_configEhN2at4cuda3cub6detail10OpaqueTypeILi8EEEEELb0EPhSC_PSA_SD_mNS0_19identity_decomposerEEEvT1_T2_T3_T4_jPT5_SK_PNS1_23onesweep_lookback_stateET6_jjj,"axG",@progbits,_ZN7rocprim17ROCPRIM_304000_NS6detail25onesweep_iteration_kernelINS1_34wrapped_radix_sort_onesweep_configINS0_14default_configEhN2at4cuda3cub6detail10OpaqueTypeILi8EEEEELb0EPhSC_PSA_SD_mNS0_19identity_decomposerEEEvT1_T2_T3_T4_jPT5_SK_PNS1_23onesweep_lookback_stateET6_jjj,comdat
.Lfunc_end25:
	.size	_ZN7rocprim17ROCPRIM_304000_NS6detail25onesweep_iteration_kernelINS1_34wrapped_radix_sort_onesweep_configINS0_14default_configEhN2at4cuda3cub6detail10OpaqueTypeILi8EEEEELb0EPhSC_PSA_SD_mNS0_19identity_decomposerEEEvT1_T2_T3_T4_jPT5_SK_PNS1_23onesweep_lookback_stateET6_jjj, .Lfunc_end25-_ZN7rocprim17ROCPRIM_304000_NS6detail25onesweep_iteration_kernelINS1_34wrapped_radix_sort_onesweep_configINS0_14default_configEhN2at4cuda3cub6detail10OpaqueTypeILi8EEEEELb0EPhSC_PSA_SD_mNS0_19identity_decomposerEEEvT1_T2_T3_T4_jPT5_SK_PNS1_23onesweep_lookback_stateET6_jjj
                                        ; -- End function
	.section	.AMDGPU.csdata,"",@progbits
; Kernel info:
; codeLenInByte = 11016
; NumSgprs: 56
; NumVgprs: 40
; NumAgprs: 0
; TotalNumVgprs: 40
; ScratchSize: 0
; MemoryBound: 0
; FloatMode: 240
; IeeeMode: 1
; LDSByteSize: 26624 bytes/workgroup (compile time only)
; SGPRBlocks: 6
; VGPRBlocks: 4
; NumSGPRsForWavesPerEU: 56
; NumVGPRsForWavesPerEU: 40
; AccumOffset: 40
; Occupancy: 4
; WaveLimiterHint : 1
; COMPUTE_PGM_RSRC2:SCRATCH_EN: 0
; COMPUTE_PGM_RSRC2:USER_SGPR: 6
; COMPUTE_PGM_RSRC2:TRAP_HANDLER: 0
; COMPUTE_PGM_RSRC2:TGID_X_EN: 1
; COMPUTE_PGM_RSRC2:TGID_Y_EN: 0
; COMPUTE_PGM_RSRC2:TGID_Z_EN: 0
; COMPUTE_PGM_RSRC2:TIDIG_COMP_CNT: 2
; COMPUTE_PGM_RSRC3_GFX90A:ACCUM_OFFSET: 9
; COMPUTE_PGM_RSRC3_GFX90A:TG_SPLIT: 0
	.section	.text._ZN7rocprim17ROCPRIM_304000_NS6detail28radix_sort_block_sort_kernelINS1_36wrapped_radix_sort_block_sort_configINS0_13kernel_configILj256ELj4ELj4294967295EEEaN2at4cuda3cub6detail10OpaqueTypeILi8EEEEELb1EPKaPaPKSB_PSB_NS0_19identity_decomposerEEEvT1_T2_T3_T4_jT5_jj,"axG",@progbits,_ZN7rocprim17ROCPRIM_304000_NS6detail28radix_sort_block_sort_kernelINS1_36wrapped_radix_sort_block_sort_configINS0_13kernel_configILj256ELj4ELj4294967295EEEaN2at4cuda3cub6detail10OpaqueTypeILi8EEEEELb1EPKaPaPKSB_PSB_NS0_19identity_decomposerEEEvT1_T2_T3_T4_jT5_jj,comdat
	.protected	_ZN7rocprim17ROCPRIM_304000_NS6detail28radix_sort_block_sort_kernelINS1_36wrapped_radix_sort_block_sort_configINS0_13kernel_configILj256ELj4ELj4294967295EEEaN2at4cuda3cub6detail10OpaqueTypeILi8EEEEELb1EPKaPaPKSB_PSB_NS0_19identity_decomposerEEEvT1_T2_T3_T4_jT5_jj ; -- Begin function _ZN7rocprim17ROCPRIM_304000_NS6detail28radix_sort_block_sort_kernelINS1_36wrapped_radix_sort_block_sort_configINS0_13kernel_configILj256ELj4ELj4294967295EEEaN2at4cuda3cub6detail10OpaqueTypeILi8EEEEELb1EPKaPaPKSB_PSB_NS0_19identity_decomposerEEEvT1_T2_T3_T4_jT5_jj
	.globl	_ZN7rocprim17ROCPRIM_304000_NS6detail28radix_sort_block_sort_kernelINS1_36wrapped_radix_sort_block_sort_configINS0_13kernel_configILj256ELj4ELj4294967295EEEaN2at4cuda3cub6detail10OpaqueTypeILi8EEEEELb1EPKaPaPKSB_PSB_NS0_19identity_decomposerEEEvT1_T2_T3_T4_jT5_jj
	.p2align	8
	.type	_ZN7rocprim17ROCPRIM_304000_NS6detail28radix_sort_block_sort_kernelINS1_36wrapped_radix_sort_block_sort_configINS0_13kernel_configILj256ELj4ELj4294967295EEEaN2at4cuda3cub6detail10OpaqueTypeILi8EEEEELb1EPKaPaPKSB_PSB_NS0_19identity_decomposerEEEvT1_T2_T3_T4_jT5_jj,@function
_ZN7rocprim17ROCPRIM_304000_NS6detail28radix_sort_block_sort_kernelINS1_36wrapped_radix_sort_block_sort_configINS0_13kernel_configILj256ELj4ELj4294967295EEEaN2at4cuda3cub6detail10OpaqueTypeILi8EEEEELb1EPKaPaPKSB_PSB_NS0_19identity_decomposerEEEvT1_T2_T3_T4_jT5_jj: ; @_ZN7rocprim17ROCPRIM_304000_NS6detail28radix_sort_block_sort_kernelINS1_36wrapped_radix_sort_block_sort_configINS0_13kernel_configILj256ELj4ELj4294967295EEEaN2at4cuda3cub6detail10OpaqueTypeILi8EEEEELb1EPKaPaPKSB_PSB_NS0_19identity_decomposerEEEvT1_T2_T3_T4_jT5_jj
; %bb.0:
	s_load_dword s2, s[4:5], 0x20
	s_load_dwordx8 s[36:43], s[4:5], 0x0
	s_lshl_b32 s28, s6, 10
	v_mbcnt_lo_u32_b32 v1, -1, 0
	v_and_b32_e32 v8, 0x3ff, v0
	s_waitcnt lgkmcnt(0)
	s_lshr_b32 s0, s2, 10
	s_cmp_lg_u32 s6, s0
	s_cselect_b64 s[30:31], -1, 0
	s_add_u32 s1, s36, s28
	s_addc_u32 s3, s37, 0
	v_mbcnt_hi_u32_b32 v2, -1, v1
	v_lshlrev_b32_e32 v1, 2, v8
	v_mov_b32_e32 v3, s3
	v_add_co_u32_e32 v4, vcc, s1, v2
	v_and_b32_e32 v6, 0x300, v1
	v_addc_co_u32_e32 v3, vcc, 0, v3, vcc
	v_add_co_u32_e32 v4, vcc, v4, v6
	s_mov_b32 s29, 0
	s_cmp_eq_u32 s6, s0
	v_addc_co_u32_e32 v5, vcc, 0, v3, vcc
	v_lshlrev_b32_e32 v14, 3, v2
	v_lshlrev_b32_e32 v13, 3, v6
	v_add_u32_e32 v12, v2, v6
	s_cbranch_scc1 .LBB26_2
; %bb.1:
	s_lshl_b64 s[0:1], s[28:29], 3
	s_add_u32 s0, s40, s0
	s_addc_u32 s1, s41, s1
	v_mov_b32_e32 v9, s1
	v_add_co_u32_e32 v15, vcc, s0, v14
	v_addc_co_u32_e32 v9, vcc, 0, v9, vcc
	v_add_co_u32_e32 v16, vcc, v15, v13
	v_addc_co_u32_e32 v17, vcc, 0, v9, vcc
	global_load_ubyte v3, v[4:5], off offset:192
	global_load_ubyte v10, v[4:5], off offset:128
	;; [unrolled: 1-line block ×3, first 2 shown]
	global_load_ubyte v11, v[4:5], off
	global_load_dwordx2 v[20:21], v[16:17], off
	global_load_dwordx2 v[22:23], v[16:17], off offset:512
	global_load_dwordx2 v[24:25], v[16:17], off offset:1024
	;; [unrolled: 1-line block ×3, first 2 shown]
	v_add_u32_e32 v32, v2, v6
	v_add_u32_e32 v9, 64, v32
	;; [unrolled: 1-line block ×4, first 2 shown]
	s_sub_i32 s33, s2, s28
	s_cbranch_execz .LBB26_3
	s_branch .LBB26_17
.LBB26_2:
                                        ; implicit-def: $vgpr11
                                        ; implicit-def: $vgpr7
                                        ; implicit-def: $vgpr10
                                        ; implicit-def: $vgpr3
                                        ; implicit-def: $vgpr20_vgpr21
                                        ; implicit-def: $vgpr22_vgpr23
                                        ; implicit-def: $vgpr24_vgpr25
                                        ; implicit-def: $vgpr26_vgpr27
                                        ; implicit-def: $vgpr32
                                        ; implicit-def: $vgpr9
                                        ; implicit-def: $vgpr29
                                        ; implicit-def: $vgpr31
	s_sub_i32 s33, s2, s28
.LBB26_3:
	v_cmp_gt_u32_e32 vcc, s33, v12
	s_waitcnt vmcnt(4)
	v_mov_b32_e32 v11, 0x80
	v_mov_b32_e32 v3, 0x80
	v_mov_b32_e32 v7, 0x80
	v_mov_b32_e32 v10, 0x80
	s_and_saveexec_b64 s[0:1], vcc
	s_cbranch_execz .LBB26_5
; %bb.4:
	global_load_ubyte v11, v[4:5], off
	v_mov_b32_e32 v7, 0x80
	v_mov_b32_e32 v10, 0x80
	;; [unrolled: 1-line block ×3, first 2 shown]
.LBB26_5:
	s_or_b64 exec, exec, s[0:1]
	v_add_u32_e32 v9, 64, v12
	v_cmp_gt_u32_e64 s[0:1], s33, v9
	s_and_saveexec_b64 s[2:3], s[0:1]
	s_cbranch_execz .LBB26_7
; %bb.6:
	global_load_ubyte v7, v[4:5], off offset:64
.LBB26_7:
	s_or_b64 exec, exec, s[2:3]
	v_add_u32_e32 v29, 0x80, v12
	v_cmp_gt_u32_e64 s[2:3], s33, v29
	s_and_saveexec_b64 s[6:7], s[2:3]
	s_cbranch_execz .LBB26_9
; %bb.8:
	global_load_ubyte v10, v[4:5], off offset:128
.LBB26_9:
	;; [unrolled: 8-line block ×3, first 2 shown]
	s_or_b64 exec, exec, s[8:9]
	s_lshl_b64 s[8:9], s[28:29], 3
	s_add_u32 s8, s40, s8
	s_addc_u32 s9, s41, s9
	v_mov_b32_e32 v4, s9
	v_add_co_u32_e64 v5, s[8:9], s8, v14
	v_addc_co_u32_e64 v6, s[8:9], 0, v4, s[8:9]
	v_add_co_u32_e64 v4, s[8:9], v5, v13
	v_addc_co_u32_e64 v5, s[8:9], 0, v6, s[8:9]
                                        ; implicit-def: $vgpr20_vgpr21
	s_and_saveexec_b64 s[8:9], vcc
	s_cbranch_execnz .LBB26_54
; %bb.12:
	s_or_b64 exec, exec, s[8:9]
                                        ; implicit-def: $vgpr22_vgpr23
	s_and_saveexec_b64 s[8:9], s[0:1]
	s_cbranch_execnz .LBB26_55
.LBB26_13:
	s_or_b64 exec, exec, s[8:9]
                                        ; implicit-def: $vgpr24_vgpr25
	s_and_saveexec_b64 s[0:1], s[2:3]
	s_cbranch_execnz .LBB26_56
.LBB26_14:
	s_or_b64 exec, exec, s[0:1]
                                        ; implicit-def: $vgpr26_vgpr27
	s_and_saveexec_b64 s[0:1], s[6:7]
	s_cbranch_execz .LBB26_16
.LBB26_15:
	global_load_dwordx2 v[26:27], v[4:5], off offset:1536
.LBB26_16:
	s_or_b64 exec, exec, s[0:1]
	v_mov_b32_e32 v32, v12
.LBB26_17:
	s_load_dwordx2 s[34:35], s[4:5], 0x28
	s_load_dword s1, s[4:5], 0x3c
	s_movk_i32 s0, 0x7f
	s_waitcnt vmcnt(0)
	v_xor_b32_e32 v4, 0x7f, v11
	v_xor_b32_sdwa v5, v7, s0 dst_sel:BYTE_1 dst_unused:UNUSED_PAD src0_sel:DWORD src1_sel:DWORD
	v_xor_b32_e32 v6, 0x7f, v10
	v_xor_b32_sdwa v3, v3, s0 dst_sel:BYTE_1 dst_unused:UNUSED_PAD src0_sel:DWORD src1_sel:DWORD
	v_or_b32_sdwa v4, v4, v5 dst_sel:DWORD dst_unused:UNUSED_PAD src0_sel:BYTE_0 src1_sel:DWORD
	v_or_b32_sdwa v3, v6, v3 dst_sel:WORD_1 dst_unused:UNUSED_PAD src0_sel:BYTE_0 src1_sel:DWORD
	v_or_b32_sdwa v35, v4, v3 dst_sel:DWORD dst_unused:UNUSED_PAD src0_sel:WORD_0 src1_sel:DWORD
	s_waitcnt lgkmcnt(0)
	s_lshr_b32 s0, s1, 16
	v_bfe_u32 v3, v0, 10, 10
	v_bfe_u32 v0, v0, 20, 10
	s_and_b32 s1, s1, 0xffff
	v_mad_u32_u24 v0, v0, s0, v3
	v_mad_u64_u32 v[4:5], s[0:1], v0, s1, v[8:9]
	v_and_b32_e32 v0, 15, v2
	v_cmp_eq_u32_e64 s[0:1], 0, v0
	v_cmp_lt_u32_e64 s[2:3], 1, v0
	v_cmp_lt_u32_e64 s[4:5], 3, v0
	;; [unrolled: 1-line block ×3, first 2 shown]
	v_and_b32_e32 v0, 16, v2
	v_cmp_eq_u32_e64 s[8:9], 0, v0
	v_and_b32_e32 v0, 0x3c0, v8
	v_min_u32_e32 v0, 0xc0, v0
	v_or_b32_e32 v0, 63, v0
	v_lshlrev_b32_e32 v33, 2, v1
	v_cmp_eq_u32_e64 s[12:13], v0, v8
	v_add_u32_e32 v0, -1, v2
	v_and_b32_e32 v1, 64, v2
	v_cmp_lt_i32_e32 vcc, v0, v1
	v_cndmask_b32_e32 v0, v0, v2, vcc
	s_mov_b32 s26, 0
	v_lshlrev_b32_e32 v36, 2, v0
	v_lshrrev_b32_e32 v0, 4, v8
	v_and_b32_e32 v1, 3, v2
	v_lshrrev_b32_e32 v34, 6, v4
	v_cmp_lt_u32_e64 s[10:11], 31, v2
	v_cmp_eq_u32_e64 s[18:19], 0, v2
	v_and_b32_e32 v37, 60, v0
	v_mul_i32_i24_e32 v0, -12, v8
	v_cmp_eq_u32_e64 s[22:23], 0, v1
	v_cmp_lt_u32_e64 s[24:25], 1, v1
	v_mul_lo_u32 v1, v32, 7
	v_mul_lo_u32 v2, v9, 7
	;; [unrolled: 1-line block ×4, first 2 shown]
	s_mov_b32 s27, s26
	s_mov_b32 s40, s26
	;; [unrolled: 1-line block ×3, first 2 shown]
	s_add_i32 s36, s35, s34
	v_cmp_gt_u32_e64 s[14:15], 4, v8
	v_cmp_lt_u32_e64 s[16:17], 63, v8
	v_cmp_eq_u32_e64 s[20:21], 0, v8
	v_add_u32_e32 v38, -4, v37
	v_pk_mov_b32 v[14:15], s[26:27], s[26:27] op_sel:[0,1]
	v_pk_mov_b32 v[16:17], s[40:41], s[40:41] op_sel:[0,1]
	v_add_u32_e32 v39, v33, v0
	v_add_u32_e32 v40, v32, v1
	;; [unrolled: 1-line block ×5, first 2 shown]
	v_mov_b32_e32 v18, 0
	s_branch .LBB26_19
.LBB26_18:                              ;   in Loop: Header=BB26_19 Depth=1
	s_barrier
	ds_write_b8 v30, v35
	ds_write_b8 v28, v19
	;; [unrolled: 1-line block ×4, first 2 shown]
	s_waitcnt lgkmcnt(0)
	s_barrier
	ds_read_u8 v20, v9
	ds_read_u8 v21, v32
	;; [unrolled: 1-line block ×4, first 2 shown]
	s_waitcnt lgkmcnt(0)
	v_lshlrev_b16_e32 v20, 8, v20
	v_or_b32_e32 v20, v21, v20
	v_lshlrev_b16_e32 v21, 8, v22
	v_or_b32_sdwa v21, v23, v21 dst_sel:WORD_1 dst_unused:UNUSED_PAD src0_sel:DWORD src1_sel:DWORD
	v_or_b32_sdwa v35, v20, v21 dst_sel:DWORD dst_unused:UNUSED_PAD src0_sel:WORD_0 src1_sel:DWORD
	v_mad_u64_u32 v[20:21], s[26:27], v30, 7, v[30:31]
	s_barrier
	ds_write_b64 v20, v[12:13]
	v_mad_u64_u32 v[20:21], s[26:27], v28, 7, v[28:29]
	ds_write_b64 v20, v[10:11]
	v_mad_u64_u32 v[20:21], s[26:27], v2, 7, v[2:3]
	;; [unrolled: 2-line block ×3, first 2 shown]
	ds_write_b64 v20, v[4:5]
	s_waitcnt lgkmcnt(0)
	s_barrier
	ds_read_b64 v[20:21], v40
	ds_read_b64 v[22:23], v41
	ds_read_b64 v[24:25], v42
	ds_read_b64 v[26:27], v43
	s_add_i32 s35, s35, -8
	s_waitcnt lgkmcnt(0)
	s_barrier
	s_cbranch_execz .LBB26_35
.LBB26_19:                              ; =>This Inner Loop Header: Depth=1
	s_min_u32 s26, s35, 8
	s_lshl_b32 s26, -1, s26
	s_not_b32 s37, s26
	v_lshrrev_b32_sdwa v0, s34, v35 dst_sel:DWORD dst_unused:UNUSED_PAD src0_sel:DWORD src1_sel:BYTE_0
	v_and_b32_e32 v0, s37, v0
	v_lshl_add_u32 v1, v0, 2, v34
	v_pk_mov_b32 v[12:13], v[20:21], v[20:21] op_sel:[0,1]
	v_lshl_add_u32 v20, v1, 2, 16
	v_and_b32_e32 v1, 1, v0
	v_add_co_u32_e32 v2, vcc, -1, v1
	v_addc_co_u32_e64 v3, s[26:27], 0, -1, vcc
	v_cmp_ne_u32_e32 vcc, 0, v1
	v_lshlrev_b32_e32 v19, 30, v0
	v_xor_b32_e32 v1, vcc_hi, v3
	v_not_b32_e32 v3, v19
	v_xor_b32_e32 v2, vcc_lo, v2
	v_cmp_gt_i64_e32 vcc, 0, v[18:19]
	v_ashrrev_i32_e32 v3, 31, v3
	v_and_b32_e32 v1, exec_hi, v1
	v_xor_b32_e32 v19, vcc_hi, v3
	v_and_b32_e32 v2, exec_lo, v2
	v_xor_b32_e32 v3, vcc_lo, v3
	v_and_b32_e32 v1, v1, v19
	v_lshlrev_b32_e32 v19, 29, v0
	v_and_b32_e32 v2, v2, v3
	v_not_b32_e32 v3, v19
	v_cmp_gt_i64_e32 vcc, 0, v[18:19]
	v_ashrrev_i32_e32 v3, 31, v3
	v_xor_b32_e32 v19, vcc_hi, v3
	v_xor_b32_e32 v3, vcc_lo, v3
	v_and_b32_e32 v1, v1, v19
	v_lshlrev_b32_e32 v19, 28, v0
	v_and_b32_e32 v2, v2, v3
	v_not_b32_e32 v3, v19
	v_cmp_gt_i64_e32 vcc, 0, v[18:19]
	v_ashrrev_i32_e32 v3, 31, v3
	v_xor_b32_e32 v19, vcc_hi, v3
	;; [unrolled: 8-line block ×5, first 2 shown]
	v_and_b32_e32 v1, v1, v19
	v_lshlrev_b32_e32 v19, 24, v0
	v_not_b32_e32 v0, v19
	v_xor_b32_e32 v3, vcc_lo, v3
	v_cmp_gt_i64_e32 vcc, 0, v[18:19]
	v_ashrrev_i32_e32 v0, 31, v0
	v_and_b32_e32 v2, v2, v3
	v_xor_b32_e32 v3, vcc_hi, v0
	v_xor_b32_e32 v0, vcc_lo, v0
	v_and_b32_e32 v0, v2, v0
	v_and_b32_e32 v1, v1, v3
	v_mbcnt_lo_u32_b32 v2, v0, 0
	v_mbcnt_hi_u32_b32 v21, v1, v2
	v_cmp_eq_u32_e32 vcc, 0, v21
	v_cmp_ne_u64_e64 s[26:27], 0, v[0:1]
	v_pk_mov_b32 v[10:11], v[22:23], v[22:23] op_sel:[0,1]
	v_pk_mov_b32 v[6:7], v[24:25], v[24:25] op_sel:[0,1]
	v_pk_mov_b32 v[4:5], v[26:27], v[26:27] op_sel:[0,1]
	s_and_b64 s[40:41], s[26:27], vcc
	ds_write2_b64 v33, v[14:15], v[16:17] offset0:2 offset1:3
	s_waitcnt lgkmcnt(0)
	s_barrier
	s_waitcnt lgkmcnt(0)
	; wave barrier
	s_and_saveexec_b64 s[26:27], s[40:41]
	s_cbranch_execz .LBB26_21
; %bb.20:                               ;   in Loop: Header=BB26_19 Depth=1
	v_bcnt_u32_b32 v0, v0, 0
	v_bcnt_u32_b32 v0, v1, v0
	ds_write_b32 v20, v0
.LBB26_21:                              ;   in Loop: Header=BB26_19 Depth=1
	s_or_b64 exec, exec, s[26:27]
	v_lshrrev_b32_sdwa v0, s34, v35 dst_sel:DWORD dst_unused:UNUSED_PAD src0_sel:DWORD src1_sel:BYTE_1
	v_and_b32_e32 v0, s37, v0
	v_lshlrev_b32_e32 v1, 2, v0
	v_add_lshl_u32 v1, v1, v34, 2
	; wave barrier
	v_add_u32_e32 v23, 16, v1
	ds_read_b32 v22, v1 offset:16
	v_and_b32_e32 v1, 1, v0
	v_add_co_u32_e32 v2, vcc, -1, v1
	v_addc_co_u32_e64 v3, s[26:27], 0, -1, vcc
	v_cmp_ne_u32_e32 vcc, 0, v1
	v_lshlrev_b32_e32 v19, 30, v0
	v_xor_b32_e32 v1, vcc_hi, v3
	v_not_b32_e32 v3, v19
	v_xor_b32_e32 v2, vcc_lo, v2
	v_cmp_gt_i64_e32 vcc, 0, v[18:19]
	v_ashrrev_i32_e32 v3, 31, v3
	v_and_b32_e32 v1, exec_hi, v1
	v_xor_b32_e32 v19, vcc_hi, v3
	v_and_b32_e32 v2, exec_lo, v2
	v_xor_b32_e32 v3, vcc_lo, v3
	v_and_b32_e32 v1, v1, v19
	v_lshlrev_b32_e32 v19, 29, v0
	v_and_b32_e32 v2, v2, v3
	v_not_b32_e32 v3, v19
	v_cmp_gt_i64_e32 vcc, 0, v[18:19]
	v_ashrrev_i32_e32 v3, 31, v3
	v_xor_b32_e32 v19, vcc_hi, v3
	v_xor_b32_e32 v3, vcc_lo, v3
	v_and_b32_e32 v1, v1, v19
	v_lshlrev_b32_e32 v19, 28, v0
	v_and_b32_e32 v2, v2, v3
	v_not_b32_e32 v3, v19
	v_cmp_gt_i64_e32 vcc, 0, v[18:19]
	v_ashrrev_i32_e32 v3, 31, v3
	v_xor_b32_e32 v19, vcc_hi, v3
	;; [unrolled: 8-line block ×5, first 2 shown]
	v_and_b32_e32 v1, v1, v19
	v_lshlrev_b32_e32 v19, 24, v0
	v_not_b32_e32 v0, v19
	v_xor_b32_e32 v3, vcc_lo, v3
	v_cmp_gt_i64_e32 vcc, 0, v[18:19]
	v_ashrrev_i32_e32 v0, 31, v0
	v_and_b32_e32 v2, v2, v3
	v_xor_b32_e32 v3, vcc_hi, v0
	v_xor_b32_e32 v0, vcc_lo, v0
	v_and_b32_e32 v0, v2, v0
	v_and_b32_e32 v1, v1, v3
	v_mbcnt_lo_u32_b32 v2, v0, 0
	v_mbcnt_hi_u32_b32 v24, v1, v2
	v_cmp_eq_u32_e32 vcc, 0, v24
	v_cmp_ne_u64_e64 s[26:27], 0, v[0:1]
	s_and_b64 s[40:41], s[26:27], vcc
	; wave barrier
	s_and_saveexec_b64 s[26:27], s[40:41]
	s_cbranch_execz .LBB26_23
; %bb.22:                               ;   in Loop: Header=BB26_19 Depth=1
	v_bcnt_u32_b32 v0, v0, 0
	v_bcnt_u32_b32 v0, v1, v0
	s_waitcnt lgkmcnt(0)
	v_add_u32_e32 v0, v22, v0
	ds_write_b32 v23, v0
.LBB26_23:                              ;   in Loop: Header=BB26_19 Depth=1
	s_or_b64 exec, exec, s[26:27]
	v_lshrrev_b32_sdwa v0, s34, v35 dst_sel:DWORD dst_unused:UNUSED_PAD src0_sel:DWORD src1_sel:BYTE_2
	v_and_b32_e32 v0, s37, v0
	v_lshlrev_b32_e32 v1, 2, v0
	v_add_lshl_u32 v1, v1, v34, 2
	; wave barrier
	v_add_u32_e32 v26, 16, v1
	ds_read_b32 v25, v1 offset:16
	v_and_b32_e32 v1, 1, v0
	v_add_co_u32_e32 v2, vcc, -1, v1
	v_addc_co_u32_e64 v3, s[26:27], 0, -1, vcc
	v_cmp_ne_u32_e32 vcc, 0, v1
	v_lshlrev_b32_e32 v19, 30, v0
	v_xor_b32_e32 v1, vcc_hi, v3
	v_not_b32_e32 v3, v19
	v_xor_b32_e32 v2, vcc_lo, v2
	v_cmp_gt_i64_e32 vcc, 0, v[18:19]
	v_ashrrev_i32_e32 v3, 31, v3
	v_and_b32_e32 v1, exec_hi, v1
	v_xor_b32_e32 v19, vcc_hi, v3
	v_and_b32_e32 v2, exec_lo, v2
	v_xor_b32_e32 v3, vcc_lo, v3
	v_and_b32_e32 v1, v1, v19
	v_lshlrev_b32_e32 v19, 29, v0
	v_and_b32_e32 v2, v2, v3
	v_not_b32_e32 v3, v19
	v_cmp_gt_i64_e32 vcc, 0, v[18:19]
	v_ashrrev_i32_e32 v3, 31, v3
	v_xor_b32_e32 v19, vcc_hi, v3
	v_xor_b32_e32 v3, vcc_lo, v3
	v_and_b32_e32 v1, v1, v19
	v_lshlrev_b32_e32 v19, 28, v0
	v_and_b32_e32 v2, v2, v3
	v_not_b32_e32 v3, v19
	v_cmp_gt_i64_e32 vcc, 0, v[18:19]
	v_ashrrev_i32_e32 v3, 31, v3
	v_xor_b32_e32 v19, vcc_hi, v3
	;; [unrolled: 8-line block ×5, first 2 shown]
	v_and_b32_e32 v1, v1, v19
	v_lshlrev_b32_e32 v19, 24, v0
	v_not_b32_e32 v0, v19
	v_xor_b32_e32 v3, vcc_lo, v3
	v_cmp_gt_i64_e32 vcc, 0, v[18:19]
	v_ashrrev_i32_e32 v0, 31, v0
	v_and_b32_e32 v2, v2, v3
	v_xor_b32_e32 v3, vcc_hi, v0
	v_xor_b32_e32 v0, vcc_lo, v0
	v_and_b32_e32 v0, v2, v0
	v_and_b32_e32 v1, v1, v3
	v_mbcnt_lo_u32_b32 v2, v0, 0
	v_mbcnt_hi_u32_b32 v27, v1, v2
	v_cmp_eq_u32_e32 vcc, 0, v27
	v_cmp_ne_u64_e64 s[26:27], 0, v[0:1]
	s_and_b64 s[40:41], s[26:27], vcc
	; wave barrier
	s_and_saveexec_b64 s[26:27], s[40:41]
	s_cbranch_execz .LBB26_25
; %bb.24:                               ;   in Loop: Header=BB26_19 Depth=1
	v_bcnt_u32_b32 v0, v0, 0
	v_bcnt_u32_b32 v0, v1, v0
	s_waitcnt lgkmcnt(0)
	v_add_u32_e32 v0, v25, v0
	ds_write_b32 v26, v0
.LBB26_25:                              ;   in Loop: Header=BB26_19 Depth=1
	s_or_b64 exec, exec, s[26:27]
	v_lshrrev_b32_e32 v44, 24, v35
	v_lshrrev_b32_e32 v0, s34, v44
	v_and_b32_e32 v0, s37, v0
	v_lshlrev_b32_e32 v1, 2, v0
	v_add_lshl_u32 v1, v1, v34, 2
	; wave barrier
	v_add_u32_e32 v28, 16, v1
	ds_read_b32 v45, v1 offset:16
	v_and_b32_e32 v1, 1, v0
	v_add_co_u32_e32 v2, vcc, -1, v1
	v_addc_co_u32_e64 v3, s[26:27], 0, -1, vcc
	v_cmp_ne_u32_e32 vcc, 0, v1
	v_lshlrev_b32_e32 v19, 30, v0
	v_xor_b32_e32 v1, vcc_hi, v3
	v_not_b32_e32 v3, v19
	v_xor_b32_e32 v2, vcc_lo, v2
	v_cmp_gt_i64_e32 vcc, 0, v[18:19]
	v_ashrrev_i32_e32 v3, 31, v3
	v_and_b32_e32 v1, exec_hi, v1
	v_xor_b32_e32 v19, vcc_hi, v3
	v_and_b32_e32 v2, exec_lo, v2
	v_xor_b32_e32 v3, vcc_lo, v3
	v_and_b32_e32 v1, v1, v19
	v_lshlrev_b32_e32 v19, 29, v0
	v_and_b32_e32 v2, v2, v3
	v_not_b32_e32 v3, v19
	v_cmp_gt_i64_e32 vcc, 0, v[18:19]
	v_ashrrev_i32_e32 v3, 31, v3
	v_xor_b32_e32 v19, vcc_hi, v3
	v_xor_b32_e32 v3, vcc_lo, v3
	v_and_b32_e32 v1, v1, v19
	v_lshlrev_b32_e32 v19, 28, v0
	v_and_b32_e32 v2, v2, v3
	v_not_b32_e32 v3, v19
	v_cmp_gt_i64_e32 vcc, 0, v[18:19]
	v_ashrrev_i32_e32 v3, 31, v3
	v_xor_b32_e32 v19, vcc_hi, v3
	;; [unrolled: 8-line block ×5, first 2 shown]
	v_and_b32_e32 v1, v1, v19
	v_lshlrev_b32_e32 v19, 24, v0
	v_not_b32_e32 v0, v19
	v_xor_b32_e32 v3, vcc_lo, v3
	v_cmp_gt_i64_e32 vcc, 0, v[18:19]
	v_ashrrev_i32_e32 v0, 31, v0
	v_and_b32_e32 v2, v2, v3
	v_xor_b32_e32 v3, vcc_hi, v0
	v_xor_b32_e32 v0, vcc_lo, v0
	v_and_b32_e32 v0, v2, v0
	v_and_b32_e32 v1, v1, v3
	v_mbcnt_lo_u32_b32 v2, v0, 0
	v_mbcnt_hi_u32_b32 v46, v1, v2
	v_cmp_eq_u32_e32 vcc, 0, v46
	v_cmp_ne_u64_e64 s[26:27], 0, v[0:1]
	s_and_b64 s[40:41], s[26:27], vcc
	; wave barrier
	s_and_saveexec_b64 s[26:27], s[40:41]
	s_cbranch_execz .LBB26_27
; %bb.26:                               ;   in Loop: Header=BB26_19 Depth=1
	v_bcnt_u32_b32 v0, v0, 0
	v_bcnt_u32_b32 v0, v1, v0
	s_waitcnt lgkmcnt(0)
	v_add_u32_e32 v0, v45, v0
	ds_write_b32 v28, v0
.LBB26_27:                              ;   in Loop: Header=BB26_19 Depth=1
	s_or_b64 exec, exec, s[26:27]
	; wave barrier
	s_waitcnt lgkmcnt(0)
	s_barrier
	ds_read2_b64 v[0:3], v33 offset0:2 offset1:3
	s_waitcnt lgkmcnt(0)
	v_add_u32_e32 v19, v1, v0
	v_add3_u32 v3, v19, v2, v3
	s_nop 1
	v_mov_b32_dpp v19, v3 row_shr:1 row_mask:0xf bank_mask:0xf
	v_cndmask_b32_e64 v19, v19, 0, s[0:1]
	v_add_u32_e32 v3, v19, v3
	s_nop 1
	v_mov_b32_dpp v19, v3 row_shr:2 row_mask:0xf bank_mask:0xf
	v_cndmask_b32_e64 v19, 0, v19, s[2:3]
	v_add_u32_e32 v3, v3, v19
	;; [unrolled: 4-line block ×4, first 2 shown]
	s_nop 1
	v_mov_b32_dpp v19, v3 row_bcast:15 row_mask:0xf bank_mask:0xf
	v_cndmask_b32_e64 v19, v19, 0, s[8:9]
	v_add_u32_e32 v3, v3, v19
	s_nop 1
	v_mov_b32_dpp v19, v3 row_bcast:31 row_mask:0xf bank_mask:0xf
	v_cndmask_b32_e64 v19, 0, v19, s[10:11]
	v_add_u32_e32 v3, v3, v19
	s_and_saveexec_b64 s[26:27], s[12:13]
	s_cbranch_execz .LBB26_29
; %bb.28:                               ;   in Loop: Header=BB26_19 Depth=1
	ds_write_b32 v37, v3
.LBB26_29:                              ;   in Loop: Header=BB26_19 Depth=1
	s_or_b64 exec, exec, s[26:27]
	s_waitcnt lgkmcnt(0)
	s_barrier
	s_and_saveexec_b64 s[26:27], s[14:15]
	s_cbranch_execz .LBB26_31
; %bb.30:                               ;   in Loop: Header=BB26_19 Depth=1
	ds_read_b32 v19, v39
	s_waitcnt lgkmcnt(0)
	s_nop 0
	v_mov_b32_dpp v30, v19 row_shr:1 row_mask:0xf bank_mask:0xf
	v_cndmask_b32_e64 v30, v30, 0, s[22:23]
	v_add_u32_e32 v19, v30, v19
	s_nop 1
	v_mov_b32_dpp v30, v19 row_shr:2 row_mask:0xf bank_mask:0xf
	v_cndmask_b32_e64 v30, 0, v30, s[24:25]
	v_add_u32_e32 v19, v19, v30
	ds_write_b32 v39, v19
.LBB26_31:                              ;   in Loop: Header=BB26_19 Depth=1
	s_or_b64 exec, exec, s[26:27]
	v_mov_b32_e32 v30, 0
	s_waitcnt lgkmcnt(0)
	s_barrier
	s_and_saveexec_b64 s[26:27], s[16:17]
	s_cbranch_execz .LBB26_33
; %bb.32:                               ;   in Loop: Header=BB26_19 Depth=1
	ds_read_b32 v30, v38
.LBB26_33:                              ;   in Loop: Header=BB26_19 Depth=1
	s_or_b64 exec, exec, s[26:27]
	s_waitcnt lgkmcnt(0)
	v_add_u32_e32 v3, v30, v3
	ds_bpermute_b32 v47, v36, v3
	s_add_i32 s34, s34, 8
	v_mov_b32_e32 v3, v35
	v_lshrrev_b32_e32 v19, 8, v35
	s_cmp_ge_u32 s34, s36
	s_waitcnt lgkmcnt(0)
	v_cndmask_b32_e64 v30, v47, v30, s[18:19]
	v_cndmask_b32_e64 v48, v30, 0, s[20:21]
	v_add_u32_e32 v49, v48, v0
	v_add_u32_e32 v0, v49, v1
	;; [unrolled: 1-line block ×3, first 2 shown]
	ds_write2_b64 v33, v[48:49], v[0:1] offset0:2 offset1:3
	s_waitcnt lgkmcnt(0)
	s_barrier
	ds_read_b32 v0, v20
	ds_read_b32 v2, v23
	;; [unrolled: 1-line block ×4, first 2 shown]
	v_lshrrev_b32_e32 v1, 16, v35
	s_waitcnt lgkmcnt(3)
	v_add_u32_e32 v30, v0, v21
	s_waitcnt lgkmcnt(2)
	v_add3_u32 v28, v24, v22, v2
	s_waitcnt lgkmcnt(1)
	v_add3_u32 v2, v27, v25, v20
	;; [unrolled: 2-line block ×3, first 2 shown]
	s_cbranch_scc0 .LBB26_18
; %bb.34:
                                        ; implicit-def: $sgpr34
                                        ; implicit-def: $vgpr35
                                        ; implicit-def: $vgpr20_vgpr21
                                        ; implicit-def: $vgpr22_vgpr23
                                        ; implicit-def: $vgpr24_vgpr25
                                        ; implicit-def: $vgpr26_vgpr27
.LBB26_35:
	v_mad_u64_u32 v[14:15], s[0:1], v30, 7, v[30:31]
	s_barrier
	ds_write_b8 v30, v3
	ds_write_b8 v28, v19
	;; [unrolled: 1-line block ×4, first 2 shown]
	s_waitcnt lgkmcnt(0)
	s_barrier
	ds_read_u8 v9, v8
	ds_read_u8 v16, v8 offset:256
	ds_read_u8 v17, v8 offset:512
	;; [unrolled: 1-line block ×3, first 2 shown]
	s_waitcnt lgkmcnt(0)
	s_barrier
	ds_write_b64 v14, v[12:13]
	v_mad_u64_u32 v[12:13], s[0:1], v28, 7, v[28:29]
	v_mad_u64_u32 v[2:3], s[0:1], v2, 7, v[2:3]
	;; [unrolled: 1-line block ×3, first 2 shown]
	ds_write_b64 v12, v[10:11]
	ds_write_b64 v2, v[6:7]
	;; [unrolled: 1-line block ×3, first 2 shown]
	v_mad_u32_u24 v0, v8, 7, v8
	s_waitcnt lgkmcnt(0)
	s_barrier
	ds_read2st64_b64 v[4:7], v0 offset1:4
	ds_read2st64_b64 v[0:3], v0 offset0:8 offset1:12
	s_add_u32 s0, s38, s28
	s_addc_u32 s1, s39, 0
	v_mov_b32_e32 v11, s1
	v_add_co_u32_e32 v10, vcc, s0, v8
	v_addc_co_u32_e32 v11, vcc, 0, v11, vcc
	v_xor_b32_e32 v15, 0x7f, v9
	v_xor_b32_e32 v14, 0x7f, v16
	;; [unrolled: 1-line block ×4, first 2 shown]
	s_andn2_b64 vcc, exec, s[30:31]
	v_lshlrev_b32_e32 v12, 3, v8
	s_cbranch_vccnz .LBB26_37
; %bb.36:
	s_lshl_b64 s[0:1], s[28:29], 3
	s_add_u32 s0, s42, s0
	s_addc_u32 s1, s43, s1
	v_mov_b32_e32 v16, s1
	v_add_co_u32_e32 v17, vcc, s0, v12
	v_addc_co_u32_e32 v18, vcc, 0, v16, vcc
	v_add_co_u32_e32 v16, vcc, 0x1000, v17
	global_store_byte v[10:11], v15, off
	global_store_byte v[10:11], v14, off offset:256
	global_store_byte v[10:11], v13, off offset:512
	;; [unrolled: 1-line block ×3, first 2 shown]
	s_waitcnt lgkmcnt(1)
	global_store_dwordx2 v12, v[4:5], s[0:1]
	global_store_dwordx2 v12, v[6:7], s[0:1] offset:2048
	v_addc_co_u32_e32 v17, vcc, 0, v18, vcc
	s_mov_b64 s[6:7], -1
	s_waitcnt lgkmcnt(0)
	global_store_dwordx2 v[16:17], v[0:1], off
	s_cbranch_execz .LBB26_38
	s_branch .LBB26_51
.LBB26_37:
	s_mov_b64 s[6:7], 0
.LBB26_38:
	v_cmp_gt_u32_e32 vcc, s33, v8
	s_and_saveexec_b64 s[0:1], vcc
	s_cbranch_execz .LBB26_40
; %bb.39:
	global_store_byte v[10:11], v15, off
.LBB26_40:
	s_or_b64 exec, exec, s[0:1]
	v_add_u32_e32 v15, 0x100, v8
	v_cmp_gt_u32_e64 s[0:1], s33, v15
	s_and_saveexec_b64 s[2:3], s[0:1]
	s_cbranch_execz .LBB26_42
; %bb.41:
	global_store_byte v[10:11], v14, off offset:256
.LBB26_42:
	s_or_b64 exec, exec, s[2:3]
	v_add_u32_e32 v14, 0x200, v8
	v_cmp_gt_u32_e64 s[2:3], s33, v14
	s_and_saveexec_b64 s[4:5], s[2:3]
	s_cbranch_execz .LBB26_44
; %bb.43:
	global_store_byte v[10:11], v13, off offset:512
.LBB26_44:
	;; [unrolled: 8-line block ×3, first 2 shown]
	s_or_b64 exec, exec, s[4:5]
	s_lshl_b64 s[4:5], s[28:29], 3
	s_add_u32 s4, s42, s4
	s_addc_u32 s5, s43, s5
	v_mov_b32_e32 v9, s5
	v_add_co_u32_e64 v8, s[4:5], s4, v12
	v_addc_co_u32_e64 v9, s[4:5], 0, v9, s[4:5]
	s_and_saveexec_b64 s[4:5], vcc
	s_cbranch_execnz .LBB26_57
; %bb.47:
	s_or_b64 exec, exec, s[4:5]
	s_and_saveexec_b64 s[4:5], s[0:1]
	s_cbranch_execnz .LBB26_58
.LBB26_48:
	s_or_b64 exec, exec, s[4:5]
	s_and_saveexec_b64 s[0:1], s[2:3]
	s_cbranch_execz .LBB26_50
.LBB26_49:
	s_waitcnt lgkmcnt(1)
	v_add_co_u32_e32 v4, vcc, 0x1000, v8
	v_addc_co_u32_e32 v5, vcc, 0, v9, vcc
	s_waitcnt lgkmcnt(0)
	global_store_dwordx2 v[4:5], v[0:1], off
.LBB26_50:
	s_or_b64 exec, exec, s[0:1]
.LBB26_51:
	s_and_saveexec_b64 s[0:1], s[6:7]
	s_cbranch_execnz .LBB26_53
; %bb.52:
	s_endpgm
.LBB26_53:
	s_lshl_b64 s[0:1], s[28:29], 3
	s_add_u32 s0, s42, s0
	s_addc_u32 s1, s43, s1
	s_waitcnt lgkmcnt(0)
	v_mov_b32_e32 v0, s1
	v_add_co_u32_e32 v1, vcc, s0, v12
	v_addc_co_u32_e32 v4, vcc, 0, v0, vcc
	v_add_co_u32_e32 v0, vcc, 0x1000, v1
	v_addc_co_u32_e32 v1, vcc, 0, v4, vcc
	global_store_dwordx2 v[0:1], v[2:3], off offset:2048
	s_endpgm
.LBB26_54:
	global_load_dwordx2 v[20:21], v[4:5], off
	s_or_b64 exec, exec, s[8:9]
                                        ; implicit-def: $vgpr22_vgpr23
	s_and_saveexec_b64 s[8:9], s[0:1]
	s_cbranch_execz .LBB26_13
.LBB26_55:
	global_load_dwordx2 v[22:23], v[4:5], off offset:512
	s_or_b64 exec, exec, s[8:9]
                                        ; implicit-def: $vgpr24_vgpr25
	s_and_saveexec_b64 s[0:1], s[2:3]
	s_cbranch_execz .LBB26_14
.LBB26_56:
	global_load_dwordx2 v[24:25], v[4:5], off offset:1024
	s_or_b64 exec, exec, s[0:1]
                                        ; implicit-def: $vgpr26_vgpr27
	s_and_saveexec_b64 s[0:1], s[6:7]
	s_cbranch_execnz .LBB26_15
	s_branch .LBB26_16
.LBB26_57:
	s_waitcnt lgkmcnt(1)
	global_store_dwordx2 v[8:9], v[4:5], off
	s_or_b64 exec, exec, s[4:5]
	s_and_saveexec_b64 s[4:5], s[0:1]
	s_cbranch_execz .LBB26_48
.LBB26_58:
	s_waitcnt lgkmcnt(1)
	global_store_dwordx2 v[8:9], v[6:7], off offset:2048
	s_or_b64 exec, exec, s[4:5]
	s_and_saveexec_b64 s[0:1], s[2:3]
	s_cbranch_execnz .LBB26_49
	s_branch .LBB26_50
	.section	.rodata,"a",@progbits
	.p2align	6, 0x0
	.amdhsa_kernel _ZN7rocprim17ROCPRIM_304000_NS6detail28radix_sort_block_sort_kernelINS1_36wrapped_radix_sort_block_sort_configINS0_13kernel_configILj256ELj4ELj4294967295EEEaN2at4cuda3cub6detail10OpaqueTypeILi8EEEEELb1EPKaPaPKSB_PSB_NS0_19identity_decomposerEEEvT1_T2_T3_T4_jT5_jj
		.amdhsa_group_segment_fixed_size 8192
		.amdhsa_private_segment_fixed_size 0
		.amdhsa_kernarg_size 304
		.amdhsa_user_sgpr_count 6
		.amdhsa_user_sgpr_private_segment_buffer 1
		.amdhsa_user_sgpr_dispatch_ptr 0
		.amdhsa_user_sgpr_queue_ptr 0
		.amdhsa_user_sgpr_kernarg_segment_ptr 1
		.amdhsa_user_sgpr_dispatch_id 0
		.amdhsa_user_sgpr_flat_scratch_init 0
		.amdhsa_user_sgpr_kernarg_preload_length 0
		.amdhsa_user_sgpr_kernarg_preload_offset 0
		.amdhsa_user_sgpr_private_segment_size 0
		.amdhsa_uses_dynamic_stack 0
		.amdhsa_system_sgpr_private_segment_wavefront_offset 0
		.amdhsa_system_sgpr_workgroup_id_x 1
		.amdhsa_system_sgpr_workgroup_id_y 0
		.amdhsa_system_sgpr_workgroup_id_z 0
		.amdhsa_system_sgpr_workgroup_info 0
		.amdhsa_system_vgpr_workitem_id 2
		.amdhsa_next_free_vgpr 50
		.amdhsa_next_free_sgpr 44
		.amdhsa_accum_offset 52
		.amdhsa_reserve_vcc 1
		.amdhsa_reserve_flat_scratch 0
		.amdhsa_float_round_mode_32 0
		.amdhsa_float_round_mode_16_64 0
		.amdhsa_float_denorm_mode_32 3
		.amdhsa_float_denorm_mode_16_64 3
		.amdhsa_dx10_clamp 1
		.amdhsa_ieee_mode 1
		.amdhsa_fp16_overflow 0
		.amdhsa_tg_split 0
		.amdhsa_exception_fp_ieee_invalid_op 0
		.amdhsa_exception_fp_denorm_src 0
		.amdhsa_exception_fp_ieee_div_zero 0
		.amdhsa_exception_fp_ieee_overflow 0
		.amdhsa_exception_fp_ieee_underflow 0
		.amdhsa_exception_fp_ieee_inexact 0
		.amdhsa_exception_int_div_zero 0
	.end_amdhsa_kernel
	.section	.text._ZN7rocprim17ROCPRIM_304000_NS6detail28radix_sort_block_sort_kernelINS1_36wrapped_radix_sort_block_sort_configINS0_13kernel_configILj256ELj4ELj4294967295EEEaN2at4cuda3cub6detail10OpaqueTypeILi8EEEEELb1EPKaPaPKSB_PSB_NS0_19identity_decomposerEEEvT1_T2_T3_T4_jT5_jj,"axG",@progbits,_ZN7rocprim17ROCPRIM_304000_NS6detail28radix_sort_block_sort_kernelINS1_36wrapped_radix_sort_block_sort_configINS0_13kernel_configILj256ELj4ELj4294967295EEEaN2at4cuda3cub6detail10OpaqueTypeILi8EEEEELb1EPKaPaPKSB_PSB_NS0_19identity_decomposerEEEvT1_T2_T3_T4_jT5_jj,comdat
.Lfunc_end26:
	.size	_ZN7rocprim17ROCPRIM_304000_NS6detail28radix_sort_block_sort_kernelINS1_36wrapped_radix_sort_block_sort_configINS0_13kernel_configILj256ELj4ELj4294967295EEEaN2at4cuda3cub6detail10OpaqueTypeILi8EEEEELb1EPKaPaPKSB_PSB_NS0_19identity_decomposerEEEvT1_T2_T3_T4_jT5_jj, .Lfunc_end26-_ZN7rocprim17ROCPRIM_304000_NS6detail28radix_sort_block_sort_kernelINS1_36wrapped_radix_sort_block_sort_configINS0_13kernel_configILj256ELj4ELj4294967295EEEaN2at4cuda3cub6detail10OpaqueTypeILi8EEEEELb1EPKaPaPKSB_PSB_NS0_19identity_decomposerEEEvT1_T2_T3_T4_jT5_jj
                                        ; -- End function
	.section	.AMDGPU.csdata,"",@progbits
; Kernel info:
; codeLenInByte = 3976
; NumSgprs: 48
; NumVgprs: 50
; NumAgprs: 0
; TotalNumVgprs: 50
; ScratchSize: 0
; MemoryBound: 0
; FloatMode: 240
; IeeeMode: 1
; LDSByteSize: 8192 bytes/workgroup (compile time only)
; SGPRBlocks: 5
; VGPRBlocks: 6
; NumSGPRsForWavesPerEU: 48
; NumVGPRsForWavesPerEU: 50
; AccumOffset: 52
; Occupancy: 8
; WaveLimiterHint : 1
; COMPUTE_PGM_RSRC2:SCRATCH_EN: 0
; COMPUTE_PGM_RSRC2:USER_SGPR: 6
; COMPUTE_PGM_RSRC2:TRAP_HANDLER: 0
; COMPUTE_PGM_RSRC2:TGID_X_EN: 1
; COMPUTE_PGM_RSRC2:TGID_Y_EN: 0
; COMPUTE_PGM_RSRC2:TGID_Z_EN: 0
; COMPUTE_PGM_RSRC2:TIDIG_COMP_CNT: 2
; COMPUTE_PGM_RSRC3_GFX90A:ACCUM_OFFSET: 12
; COMPUTE_PGM_RSRC3_GFX90A:TG_SPLIT: 0
	.section	.text._ZN7rocprim17ROCPRIM_304000_NS6detail39device_merge_sort_compile_time_verifierINS1_36wrapped_merge_sort_block_sort_configINS1_28merge_sort_block_sort_configILj256ELj4ELNS0_20block_sort_algorithmE0EEEaN2at4cuda3cub6detail10OpaqueTypeILi8EEEEENS1_37wrapped_merge_sort_block_merge_configINS0_14default_configEaSC_EEEEvv,"axG",@progbits,_ZN7rocprim17ROCPRIM_304000_NS6detail39device_merge_sort_compile_time_verifierINS1_36wrapped_merge_sort_block_sort_configINS1_28merge_sort_block_sort_configILj256ELj4ELNS0_20block_sort_algorithmE0EEEaN2at4cuda3cub6detail10OpaqueTypeILi8EEEEENS1_37wrapped_merge_sort_block_merge_configINS0_14default_configEaSC_EEEEvv,comdat
	.protected	_ZN7rocprim17ROCPRIM_304000_NS6detail39device_merge_sort_compile_time_verifierINS1_36wrapped_merge_sort_block_sort_configINS1_28merge_sort_block_sort_configILj256ELj4ELNS0_20block_sort_algorithmE0EEEaN2at4cuda3cub6detail10OpaqueTypeILi8EEEEENS1_37wrapped_merge_sort_block_merge_configINS0_14default_configEaSC_EEEEvv ; -- Begin function _ZN7rocprim17ROCPRIM_304000_NS6detail39device_merge_sort_compile_time_verifierINS1_36wrapped_merge_sort_block_sort_configINS1_28merge_sort_block_sort_configILj256ELj4ELNS0_20block_sort_algorithmE0EEEaN2at4cuda3cub6detail10OpaqueTypeILi8EEEEENS1_37wrapped_merge_sort_block_merge_configINS0_14default_configEaSC_EEEEvv
	.globl	_ZN7rocprim17ROCPRIM_304000_NS6detail39device_merge_sort_compile_time_verifierINS1_36wrapped_merge_sort_block_sort_configINS1_28merge_sort_block_sort_configILj256ELj4ELNS0_20block_sort_algorithmE0EEEaN2at4cuda3cub6detail10OpaqueTypeILi8EEEEENS1_37wrapped_merge_sort_block_merge_configINS0_14default_configEaSC_EEEEvv
	.p2align	8
	.type	_ZN7rocprim17ROCPRIM_304000_NS6detail39device_merge_sort_compile_time_verifierINS1_36wrapped_merge_sort_block_sort_configINS1_28merge_sort_block_sort_configILj256ELj4ELNS0_20block_sort_algorithmE0EEEaN2at4cuda3cub6detail10OpaqueTypeILi8EEEEENS1_37wrapped_merge_sort_block_merge_configINS0_14default_configEaSC_EEEEvv,@function
_ZN7rocprim17ROCPRIM_304000_NS6detail39device_merge_sort_compile_time_verifierINS1_36wrapped_merge_sort_block_sort_configINS1_28merge_sort_block_sort_configILj256ELj4ELNS0_20block_sort_algorithmE0EEEaN2at4cuda3cub6detail10OpaqueTypeILi8EEEEENS1_37wrapped_merge_sort_block_merge_configINS0_14default_configEaSC_EEEEvv: ; @_ZN7rocprim17ROCPRIM_304000_NS6detail39device_merge_sort_compile_time_verifierINS1_36wrapped_merge_sort_block_sort_configINS1_28merge_sort_block_sort_configILj256ELj4ELNS0_20block_sort_algorithmE0EEEaN2at4cuda3cub6detail10OpaqueTypeILi8EEEEENS1_37wrapped_merge_sort_block_merge_configINS0_14default_configEaSC_EEEEvv
; %bb.0:
	s_endpgm
	.section	.rodata,"a",@progbits
	.p2align	6, 0x0
	.amdhsa_kernel _ZN7rocprim17ROCPRIM_304000_NS6detail39device_merge_sort_compile_time_verifierINS1_36wrapped_merge_sort_block_sort_configINS1_28merge_sort_block_sort_configILj256ELj4ELNS0_20block_sort_algorithmE0EEEaN2at4cuda3cub6detail10OpaqueTypeILi8EEEEENS1_37wrapped_merge_sort_block_merge_configINS0_14default_configEaSC_EEEEvv
		.amdhsa_group_segment_fixed_size 0
		.amdhsa_private_segment_fixed_size 0
		.amdhsa_kernarg_size 0
		.amdhsa_user_sgpr_count 4
		.amdhsa_user_sgpr_private_segment_buffer 1
		.amdhsa_user_sgpr_dispatch_ptr 0
		.amdhsa_user_sgpr_queue_ptr 0
		.amdhsa_user_sgpr_kernarg_segment_ptr 0
		.amdhsa_user_sgpr_dispatch_id 0
		.amdhsa_user_sgpr_flat_scratch_init 0
		.amdhsa_user_sgpr_kernarg_preload_length 0
		.amdhsa_user_sgpr_kernarg_preload_offset 0
		.amdhsa_user_sgpr_private_segment_size 0
		.amdhsa_uses_dynamic_stack 0
		.amdhsa_system_sgpr_private_segment_wavefront_offset 0
		.amdhsa_system_sgpr_workgroup_id_x 1
		.amdhsa_system_sgpr_workgroup_id_y 0
		.amdhsa_system_sgpr_workgroup_id_z 0
		.amdhsa_system_sgpr_workgroup_info 0
		.amdhsa_system_vgpr_workitem_id 0
		.amdhsa_next_free_vgpr 1
		.amdhsa_next_free_sgpr 0
		.amdhsa_accum_offset 4
		.amdhsa_reserve_vcc 0
		.amdhsa_reserve_flat_scratch 0
		.amdhsa_float_round_mode_32 0
		.amdhsa_float_round_mode_16_64 0
		.amdhsa_float_denorm_mode_32 3
		.amdhsa_float_denorm_mode_16_64 3
		.amdhsa_dx10_clamp 1
		.amdhsa_ieee_mode 1
		.amdhsa_fp16_overflow 0
		.amdhsa_tg_split 0
		.amdhsa_exception_fp_ieee_invalid_op 0
		.amdhsa_exception_fp_denorm_src 0
		.amdhsa_exception_fp_ieee_div_zero 0
		.amdhsa_exception_fp_ieee_overflow 0
		.amdhsa_exception_fp_ieee_underflow 0
		.amdhsa_exception_fp_ieee_inexact 0
		.amdhsa_exception_int_div_zero 0
	.end_amdhsa_kernel
	.section	.text._ZN7rocprim17ROCPRIM_304000_NS6detail39device_merge_sort_compile_time_verifierINS1_36wrapped_merge_sort_block_sort_configINS1_28merge_sort_block_sort_configILj256ELj4ELNS0_20block_sort_algorithmE0EEEaN2at4cuda3cub6detail10OpaqueTypeILi8EEEEENS1_37wrapped_merge_sort_block_merge_configINS0_14default_configEaSC_EEEEvv,"axG",@progbits,_ZN7rocprim17ROCPRIM_304000_NS6detail39device_merge_sort_compile_time_verifierINS1_36wrapped_merge_sort_block_sort_configINS1_28merge_sort_block_sort_configILj256ELj4ELNS0_20block_sort_algorithmE0EEEaN2at4cuda3cub6detail10OpaqueTypeILi8EEEEENS1_37wrapped_merge_sort_block_merge_configINS0_14default_configEaSC_EEEEvv,comdat
.Lfunc_end27:
	.size	_ZN7rocprim17ROCPRIM_304000_NS6detail39device_merge_sort_compile_time_verifierINS1_36wrapped_merge_sort_block_sort_configINS1_28merge_sort_block_sort_configILj256ELj4ELNS0_20block_sort_algorithmE0EEEaN2at4cuda3cub6detail10OpaqueTypeILi8EEEEENS1_37wrapped_merge_sort_block_merge_configINS0_14default_configEaSC_EEEEvv, .Lfunc_end27-_ZN7rocprim17ROCPRIM_304000_NS6detail39device_merge_sort_compile_time_verifierINS1_36wrapped_merge_sort_block_sort_configINS1_28merge_sort_block_sort_configILj256ELj4ELNS0_20block_sort_algorithmE0EEEaN2at4cuda3cub6detail10OpaqueTypeILi8EEEEENS1_37wrapped_merge_sort_block_merge_configINS0_14default_configEaSC_EEEEvv
                                        ; -- End function
	.section	.AMDGPU.csdata,"",@progbits
; Kernel info:
; codeLenInByte = 4
; NumSgprs: 4
; NumVgprs: 0
; NumAgprs: 0
; TotalNumVgprs: 0
; ScratchSize: 0
; MemoryBound: 0
; FloatMode: 240
; IeeeMode: 1
; LDSByteSize: 0 bytes/workgroup (compile time only)
; SGPRBlocks: 0
; VGPRBlocks: 0
; NumSGPRsForWavesPerEU: 4
; NumVGPRsForWavesPerEU: 1
; AccumOffset: 4
; Occupancy: 8
; WaveLimiterHint : 0
; COMPUTE_PGM_RSRC2:SCRATCH_EN: 0
; COMPUTE_PGM_RSRC2:USER_SGPR: 4
; COMPUTE_PGM_RSRC2:TRAP_HANDLER: 0
; COMPUTE_PGM_RSRC2:TGID_X_EN: 1
; COMPUTE_PGM_RSRC2:TGID_Y_EN: 0
; COMPUTE_PGM_RSRC2:TGID_Z_EN: 0
; COMPUTE_PGM_RSRC2:TIDIG_COMP_CNT: 0
; COMPUTE_PGM_RSRC3_GFX90A:ACCUM_OFFSET: 0
; COMPUTE_PGM_RSRC3_GFX90A:TG_SPLIT: 0
	.section	.text._ZN7rocprim17ROCPRIM_304000_NS6detail45device_block_merge_mergepath_partition_kernelINS1_37wrapped_merge_sort_block_merge_configINS0_14default_configEaN2at4cuda3cub6detail10OpaqueTypeILi8EEEEEPajNS1_19radix_merge_compareILb1ELb0EaNS0_19identity_decomposerEEEEEvT0_T1_jPSH_T2_SH_,"axG",@progbits,_ZN7rocprim17ROCPRIM_304000_NS6detail45device_block_merge_mergepath_partition_kernelINS1_37wrapped_merge_sort_block_merge_configINS0_14default_configEaN2at4cuda3cub6detail10OpaqueTypeILi8EEEEEPajNS1_19radix_merge_compareILb1ELb0EaNS0_19identity_decomposerEEEEEvT0_T1_jPSH_T2_SH_,comdat
	.protected	_ZN7rocprim17ROCPRIM_304000_NS6detail45device_block_merge_mergepath_partition_kernelINS1_37wrapped_merge_sort_block_merge_configINS0_14default_configEaN2at4cuda3cub6detail10OpaqueTypeILi8EEEEEPajNS1_19radix_merge_compareILb1ELb0EaNS0_19identity_decomposerEEEEEvT0_T1_jPSH_T2_SH_ ; -- Begin function _ZN7rocprim17ROCPRIM_304000_NS6detail45device_block_merge_mergepath_partition_kernelINS1_37wrapped_merge_sort_block_merge_configINS0_14default_configEaN2at4cuda3cub6detail10OpaqueTypeILi8EEEEEPajNS1_19radix_merge_compareILb1ELb0EaNS0_19identity_decomposerEEEEEvT0_T1_jPSH_T2_SH_
	.globl	_ZN7rocprim17ROCPRIM_304000_NS6detail45device_block_merge_mergepath_partition_kernelINS1_37wrapped_merge_sort_block_merge_configINS0_14default_configEaN2at4cuda3cub6detail10OpaqueTypeILi8EEEEEPajNS1_19radix_merge_compareILb1ELb0EaNS0_19identity_decomposerEEEEEvT0_T1_jPSH_T2_SH_
	.p2align	8
	.type	_ZN7rocprim17ROCPRIM_304000_NS6detail45device_block_merge_mergepath_partition_kernelINS1_37wrapped_merge_sort_block_merge_configINS0_14default_configEaN2at4cuda3cub6detail10OpaqueTypeILi8EEEEEPajNS1_19radix_merge_compareILb1ELb0EaNS0_19identity_decomposerEEEEEvT0_T1_jPSH_T2_SH_,@function
_ZN7rocprim17ROCPRIM_304000_NS6detail45device_block_merge_mergepath_partition_kernelINS1_37wrapped_merge_sort_block_merge_configINS0_14default_configEaN2at4cuda3cub6detail10OpaqueTypeILi8EEEEEPajNS1_19radix_merge_compareILb1ELb0EaNS0_19identity_decomposerEEEEEvT0_T1_jPSH_T2_SH_: ; @_ZN7rocprim17ROCPRIM_304000_NS6detail45device_block_merge_mergepath_partition_kernelINS1_37wrapped_merge_sort_block_merge_configINS0_14default_configEaN2at4cuda3cub6detail10OpaqueTypeILi8EEEEEPajNS1_19radix_merge_compareILb1ELb0EaNS0_19identity_decomposerEEEEEvT0_T1_jPSH_T2_SH_
; %bb.0:
	s_load_dwordx2 s[0:1], s[4:5], 0x8
	v_lshl_or_b32 v0, s6, 7, v0
	s_waitcnt lgkmcnt(0)
	v_cmp_gt_u32_e32 vcc, s1, v0
	s_and_saveexec_b64 s[2:3], vcc
	s_cbranch_execz .LBB28_6
; %bb.1:
	s_load_dword s1, s[4:5], 0x1c
	s_waitcnt lgkmcnt(0)
	s_lshr_b32 s2, s1, 9
	s_and_b32 s2, s2, 0x7ffffe
	s_add_i32 s3, s2, -1
	s_sub_i32 s2, 0, s2
	v_and_b32_e32 v1, s2, v0
	v_lshlrev_b32_e32 v3, 10, v1
	v_min_u32_e32 v1, s0, v3
	v_add_u32_e32 v3, s1, v3
	v_min_u32_e32 v7, s0, v3
	v_add_u32_e32 v3, s1, v7
	v_and_b32_e32 v2, s3, v0
	v_min_u32_e32 v4, s0, v3
	v_lshlrev_b32_e32 v2, 10, v2
	v_sub_u32_e32 v3, v4, v1
	v_min_u32_e32 v3, v3, v2
	v_sub_u32_e32 v5, v7, v1
	v_sub_u32_e32 v2, v4, v7
	v_sub_u32_e64 v2, v3, v2 clamp
	v_min_u32_e32 v4, v3, v5
	v_cmp_lt_u32_e32 vcc, v2, v4
	s_and_saveexec_b64 s[0:1], vcc
	s_cbranch_execz .LBB28_5
; %bb.2:
	s_load_dwordx2 s[2:3], s[4:5], 0x0
	s_waitcnt lgkmcnt(0)
	v_mov_b32_e32 v8, s3
	v_add_co_u32_e32 v5, vcc, s2, v1
	v_addc_co_u32_e32 v6, vcc, 0, v8, vcc
	v_add_co_u32_e32 v7, vcc, s2, v7
	v_addc_co_u32_e32 v8, vcc, 0, v8, vcc
	s_mov_b64 s[2:3], 0
.LBB28_3:                               ; =>This Inner Loop Header: Depth=1
	v_add_u32_e32 v9, v4, v2
	v_lshrrev_b32_e32 v9, 1, v9
	v_add_co_u32_e32 v10, vcc, v5, v9
	v_xad_u32 v12, v9, -1, v3
	v_addc_co_u32_e32 v11, vcc, 0, v6, vcc
	v_add_co_u32_e32 v12, vcc, v7, v12
	v_addc_co_u32_e32 v13, vcc, 0, v8, vcc
	global_load_sbyte v14, v[10:11], off
	global_load_sbyte v15, v[12:13], off
	v_add_u32_e32 v10, 1, v9
	s_waitcnt vmcnt(0)
	v_cmp_gt_i16_e32 vcc, v15, v14
	v_cndmask_b32_e32 v4, v4, v9, vcc
	v_cndmask_b32_e32 v2, v10, v2, vcc
	v_cmp_ge_u32_e32 vcc, v2, v4
	s_or_b64 s[2:3], vcc, s[2:3]
	s_andn2_b64 exec, exec, s[2:3]
	s_cbranch_execnz .LBB28_3
; %bb.4:
	s_or_b64 exec, exec, s[2:3]
.LBB28_5:
	s_or_b64 exec, exec, s[0:1]
	s_load_dwordx2 s[0:1], s[4:5], 0x10
	v_add_u32_e32 v2, v2, v1
	v_mov_b32_e32 v1, 0
	v_lshlrev_b64 v[0:1], 2, v[0:1]
	s_waitcnt lgkmcnt(0)
	v_mov_b32_e32 v3, s1
	v_add_co_u32_e32 v0, vcc, s0, v0
	v_addc_co_u32_e32 v1, vcc, v3, v1, vcc
	global_store_dword v[0:1], v2, off
.LBB28_6:
	s_endpgm
	.section	.rodata,"a",@progbits
	.p2align	6, 0x0
	.amdhsa_kernel _ZN7rocprim17ROCPRIM_304000_NS6detail45device_block_merge_mergepath_partition_kernelINS1_37wrapped_merge_sort_block_merge_configINS0_14default_configEaN2at4cuda3cub6detail10OpaqueTypeILi8EEEEEPajNS1_19radix_merge_compareILb1ELb0EaNS0_19identity_decomposerEEEEEvT0_T1_jPSH_T2_SH_
		.amdhsa_group_segment_fixed_size 0
		.amdhsa_private_segment_fixed_size 0
		.amdhsa_kernarg_size 32
		.amdhsa_user_sgpr_count 6
		.amdhsa_user_sgpr_private_segment_buffer 1
		.amdhsa_user_sgpr_dispatch_ptr 0
		.amdhsa_user_sgpr_queue_ptr 0
		.amdhsa_user_sgpr_kernarg_segment_ptr 1
		.amdhsa_user_sgpr_dispatch_id 0
		.amdhsa_user_sgpr_flat_scratch_init 0
		.amdhsa_user_sgpr_kernarg_preload_length 0
		.amdhsa_user_sgpr_kernarg_preload_offset 0
		.amdhsa_user_sgpr_private_segment_size 0
		.amdhsa_uses_dynamic_stack 0
		.amdhsa_system_sgpr_private_segment_wavefront_offset 0
		.amdhsa_system_sgpr_workgroup_id_x 1
		.amdhsa_system_sgpr_workgroup_id_y 0
		.amdhsa_system_sgpr_workgroup_id_z 0
		.amdhsa_system_sgpr_workgroup_info 0
		.amdhsa_system_vgpr_workitem_id 0
		.amdhsa_next_free_vgpr 16
		.amdhsa_next_free_sgpr 7
		.amdhsa_accum_offset 16
		.amdhsa_reserve_vcc 1
		.amdhsa_reserve_flat_scratch 0
		.amdhsa_float_round_mode_32 0
		.amdhsa_float_round_mode_16_64 0
		.amdhsa_float_denorm_mode_32 3
		.amdhsa_float_denorm_mode_16_64 3
		.amdhsa_dx10_clamp 1
		.amdhsa_ieee_mode 1
		.amdhsa_fp16_overflow 0
		.amdhsa_tg_split 0
		.amdhsa_exception_fp_ieee_invalid_op 0
		.amdhsa_exception_fp_denorm_src 0
		.amdhsa_exception_fp_ieee_div_zero 0
		.amdhsa_exception_fp_ieee_overflow 0
		.amdhsa_exception_fp_ieee_underflow 0
		.amdhsa_exception_fp_ieee_inexact 0
		.amdhsa_exception_int_div_zero 0
	.end_amdhsa_kernel
	.section	.text._ZN7rocprim17ROCPRIM_304000_NS6detail45device_block_merge_mergepath_partition_kernelINS1_37wrapped_merge_sort_block_merge_configINS0_14default_configEaN2at4cuda3cub6detail10OpaqueTypeILi8EEEEEPajNS1_19radix_merge_compareILb1ELb0EaNS0_19identity_decomposerEEEEEvT0_T1_jPSH_T2_SH_,"axG",@progbits,_ZN7rocprim17ROCPRIM_304000_NS6detail45device_block_merge_mergepath_partition_kernelINS1_37wrapped_merge_sort_block_merge_configINS0_14default_configEaN2at4cuda3cub6detail10OpaqueTypeILi8EEEEEPajNS1_19radix_merge_compareILb1ELb0EaNS0_19identity_decomposerEEEEEvT0_T1_jPSH_T2_SH_,comdat
.Lfunc_end28:
	.size	_ZN7rocprim17ROCPRIM_304000_NS6detail45device_block_merge_mergepath_partition_kernelINS1_37wrapped_merge_sort_block_merge_configINS0_14default_configEaN2at4cuda3cub6detail10OpaqueTypeILi8EEEEEPajNS1_19radix_merge_compareILb1ELb0EaNS0_19identity_decomposerEEEEEvT0_T1_jPSH_T2_SH_, .Lfunc_end28-_ZN7rocprim17ROCPRIM_304000_NS6detail45device_block_merge_mergepath_partition_kernelINS1_37wrapped_merge_sort_block_merge_configINS0_14default_configEaN2at4cuda3cub6detail10OpaqueTypeILi8EEEEEPajNS1_19radix_merge_compareILb1ELb0EaNS0_19identity_decomposerEEEEEvT0_T1_jPSH_T2_SH_
                                        ; -- End function
	.section	.AMDGPU.csdata,"",@progbits
; Kernel info:
; codeLenInByte = 320
; NumSgprs: 11
; NumVgprs: 16
; NumAgprs: 0
; TotalNumVgprs: 16
; ScratchSize: 0
; MemoryBound: 0
; FloatMode: 240
; IeeeMode: 1
; LDSByteSize: 0 bytes/workgroup (compile time only)
; SGPRBlocks: 1
; VGPRBlocks: 1
; NumSGPRsForWavesPerEU: 11
; NumVGPRsForWavesPerEU: 16
; AccumOffset: 16
; Occupancy: 8
; WaveLimiterHint : 0
; COMPUTE_PGM_RSRC2:SCRATCH_EN: 0
; COMPUTE_PGM_RSRC2:USER_SGPR: 6
; COMPUTE_PGM_RSRC2:TRAP_HANDLER: 0
; COMPUTE_PGM_RSRC2:TGID_X_EN: 1
; COMPUTE_PGM_RSRC2:TGID_Y_EN: 0
; COMPUTE_PGM_RSRC2:TGID_Z_EN: 0
; COMPUTE_PGM_RSRC2:TIDIG_COMP_CNT: 0
; COMPUTE_PGM_RSRC3_GFX90A:ACCUM_OFFSET: 3
; COMPUTE_PGM_RSRC3_GFX90A:TG_SPLIT: 0
	.section	.text._ZN7rocprim17ROCPRIM_304000_NS6detail35device_block_merge_mergepath_kernelINS1_37wrapped_merge_sort_block_merge_configINS0_14default_configEaN2at4cuda3cub6detail10OpaqueTypeILi8EEEEEPaSC_PSA_SD_jNS1_19radix_merge_compareILb1ELb0EaNS0_19identity_decomposerEEEEEvT0_T1_T2_T3_T4_SL_jT5_PKSL_NS1_7vsmem_tE,"axG",@progbits,_ZN7rocprim17ROCPRIM_304000_NS6detail35device_block_merge_mergepath_kernelINS1_37wrapped_merge_sort_block_merge_configINS0_14default_configEaN2at4cuda3cub6detail10OpaqueTypeILi8EEEEEPaSC_PSA_SD_jNS1_19radix_merge_compareILb1ELb0EaNS0_19identity_decomposerEEEEEvT0_T1_T2_T3_T4_SL_jT5_PKSL_NS1_7vsmem_tE,comdat
	.protected	_ZN7rocprim17ROCPRIM_304000_NS6detail35device_block_merge_mergepath_kernelINS1_37wrapped_merge_sort_block_merge_configINS0_14default_configEaN2at4cuda3cub6detail10OpaqueTypeILi8EEEEEPaSC_PSA_SD_jNS1_19radix_merge_compareILb1ELb0EaNS0_19identity_decomposerEEEEEvT0_T1_T2_T3_T4_SL_jT5_PKSL_NS1_7vsmem_tE ; -- Begin function _ZN7rocprim17ROCPRIM_304000_NS6detail35device_block_merge_mergepath_kernelINS1_37wrapped_merge_sort_block_merge_configINS0_14default_configEaN2at4cuda3cub6detail10OpaqueTypeILi8EEEEEPaSC_PSA_SD_jNS1_19radix_merge_compareILb1ELb0EaNS0_19identity_decomposerEEEEEvT0_T1_T2_T3_T4_SL_jT5_PKSL_NS1_7vsmem_tE
	.globl	_ZN7rocprim17ROCPRIM_304000_NS6detail35device_block_merge_mergepath_kernelINS1_37wrapped_merge_sort_block_merge_configINS0_14default_configEaN2at4cuda3cub6detail10OpaqueTypeILi8EEEEEPaSC_PSA_SD_jNS1_19radix_merge_compareILb1ELb0EaNS0_19identity_decomposerEEEEEvT0_T1_T2_T3_T4_SL_jT5_PKSL_NS1_7vsmem_tE
	.p2align	8
	.type	_ZN7rocprim17ROCPRIM_304000_NS6detail35device_block_merge_mergepath_kernelINS1_37wrapped_merge_sort_block_merge_configINS0_14default_configEaN2at4cuda3cub6detail10OpaqueTypeILi8EEEEEPaSC_PSA_SD_jNS1_19radix_merge_compareILb1ELb0EaNS0_19identity_decomposerEEEEEvT0_T1_T2_T3_T4_SL_jT5_PKSL_NS1_7vsmem_tE,@function
_ZN7rocprim17ROCPRIM_304000_NS6detail35device_block_merge_mergepath_kernelINS1_37wrapped_merge_sort_block_merge_configINS0_14default_configEaN2at4cuda3cub6detail10OpaqueTypeILi8EEEEEPaSC_PSA_SD_jNS1_19radix_merge_compareILb1ELb0EaNS0_19identity_decomposerEEEEEvT0_T1_T2_T3_T4_SL_jT5_PKSL_NS1_7vsmem_tE: ; @_ZN7rocprim17ROCPRIM_304000_NS6detail35device_block_merge_mergepath_kernelINS1_37wrapped_merge_sort_block_merge_configINS0_14default_configEaN2at4cuda3cub6detail10OpaqueTypeILi8EEEEEPaSC_PSA_SD_jNS1_19radix_merge_compareILb1ELb0EaNS0_19identity_decomposerEEEEEvT0_T1_T2_T3_T4_SL_jT5_PKSL_NS1_7vsmem_tE
; %bb.0:
	s_load_dwordx2 s[24:25], s[4:5], 0x40
	s_load_dwordx4 s[16:19], s[4:5], 0x20
	s_add_u32 s2, s4, 64
	s_addc_u32 s3, s5, 0
	s_waitcnt lgkmcnt(0)
	s_mul_i32 s0, s25, s8
	s_add_i32 s0, s0, s7
	s_mul_i32 s0, s0, s24
	s_add_i32 s0, s0, s6
	s_cmp_ge_u32 s0, s18
	s_cbranch_scc1 .LBB29_75
; %bb.1:
	s_load_dwordx8 s[8:15], s[4:5], 0x0
	s_load_dwordx2 s[20:21], s[4:5], 0x30
	s_lshr_b32 s29, s16, 10
	s_cmp_lg_u32 s0, s29
	s_mov_b32 s1, 0
	s_cselect_b64 s[18:19], -1, 0
	s_lshl_b64 s[4:5], s[0:1], 2
	s_waitcnt lgkmcnt(0)
	s_add_u32 s4, s20, s4
	s_addc_u32 s5, s21, s5
	s_load_dwordx2 s[20:21], s[4:5], 0x0
	s_lshr_b32 s4, s17, 9
	s_and_b32 s4, s4, 0x7ffffe
	s_sub_i32 s4, 0, s4
	s_and_b32 s5, s0, s4
	s_lshl_b32 s7, s5, 10
	s_lshl_b32 s25, s0, 10
	;; [unrolled: 1-line block ×3, first 2 shown]
	s_sub_i32 s22, s25, s7
	s_add_i32 s5, s5, s17
	s_add_i32 s23, s5, s22
	s_waitcnt lgkmcnt(0)
	s_sub_i32 s22, s23, s20
	s_sub_i32 s23, s23, s21
	;; [unrolled: 1-line block ×3, first 2 shown]
	s_min_u32 s22, s16, s22
	s_addk_i32 s23, 0x400
	s_or_b32 s4, s0, s4
	s_min_u32 s7, s16, s5
	s_add_i32 s5, s5, s17
	s_cmp_eq_u32 s4, -1
	s_cselect_b32 s4, s5, s23
	s_cselect_b32 s5, s7, s21
	s_min_u32 s4, s4, s16
	s_sub_i32 s26, s5, s20
	s_sub_i32 s27, s4, s22
	s_add_u32 s5, s8, s20
	s_addc_u32 s28, s9, 0
	s_add_u32 s4, s8, s22
	s_addc_u32 s7, s9, 0
	s_cmp_lt_u32 s6, s24
	v_mov_b32_e32 v1, 0
	s_cselect_b32 s6, 12, 18
	global_load_dword v2, v1, s[2:3] offset:14
	s_add_u32 s2, s2, s6
	s_addc_u32 s3, s3, 0
	global_load_ushort v1, v1, s[2:3]
	s_mov_b32 s23, s1
	s_mov_b32 s21, s1
	s_cmp_eq_u32 s0, s29
	v_cmp_gt_u32_e32 vcc, s26, v0
	s_waitcnt vmcnt(1)
	v_lshrrev_b32_e32 v3, 16, v2
	v_and_b32_e32 v2, 0xffff, v2
	v_mul_lo_u32 v2, v2, v3
	s_waitcnt vmcnt(0)
	v_mul_lo_u32 v2, v2, v1
	v_add_u32_e32 v4, v2, v0
	v_add_u32_e32 v3, v4, v2
	s_cbranch_scc1 .LBB29_3
; %bb.2:
	v_mov_b32_e32 v1, s28
	v_add_co_u32_e64 v5, s[0:1], s5, v0
	v_addc_co_u32_e64 v1, s[0:1], 0, v1, s[0:1]
	v_subrev_u32_e32 v6, s26, v0
	v_mov_b32_e32 v7, s7
	v_add_co_u32_e64 v6, s[0:1], s4, v6
	v_addc_co_u32_e64 v7, s[0:1], 0, v7, s[0:1]
	v_cndmask_b32_e32 v11, v7, v1, vcc
	v_cndmask_b32_e32 v10, v6, v5, vcc
	v_mov_b32_e32 v1, s28
	v_add_co_u32_e32 v5, vcc, s5, v4
	v_addc_co_u32_e32 v1, vcc, 0, v1, vcc
	v_subrev_u32_e32 v6, s26, v4
	v_mov_b32_e32 v7, s7
	v_add_co_u32_e32 v6, vcc, s4, v6
	v_addc_co_u32_e32 v7, vcc, 0, v7, vcc
	v_cmp_gt_u32_e32 vcc, s26, v4
	v_cndmask_b32_e32 v13, v7, v1, vcc
	v_cndmask_b32_e32 v12, v6, v5, vcc
	v_mov_b32_e32 v1, s28
	v_add_co_u32_e32 v5, vcc, s5, v3
	v_addc_co_u32_e32 v1, vcc, 0, v1, vcc
	v_subrev_u32_e32 v6, s26, v3
	v_mov_b32_e32 v7, s7
	v_add_co_u32_e32 v6, vcc, s4, v6
	v_addc_co_u32_e32 v7, vcc, 0, v7, vcc
	v_cmp_gt_u32_e32 vcc, s26, v3
	v_cndmask_b32_e32 v15, v7, v1, vcc
	v_add_u32_e32 v1, v3, v2
	v_cndmask_b32_e32 v14, v6, v5, vcc
	v_mov_b32_e32 v5, s28
	v_add_co_u32_e32 v6, vcc, s5, v1
	v_addc_co_u32_e32 v5, vcc, 0, v5, vcc
	v_subrev_u32_e32 v7, s26, v1
	v_mov_b32_e32 v8, s7
	v_add_co_u32_e32 v7, vcc, s4, v7
	v_addc_co_u32_e32 v8, vcc, 0, v8, vcc
	v_cmp_gt_u32_e32 vcc, s26, v1
	v_cndmask_b32_e32 v17, v8, v5, vcc
	v_cndmask_b32_e32 v16, v7, v6, vcc
	global_load_ubyte v1, v[10:11], off
	global_load_ubyte v6, v[12:13], off
	;; [unrolled: 1-line block ×4, first 2 shown]
	s_add_i32 s17, s27, s26
	s_cbranch_execz .LBB29_4
	s_branch .LBB29_13
.LBB29_3:
                                        ; implicit-def: $vgpr1
                                        ; implicit-def: $vgpr6
                                        ; implicit-def: $vgpr7
                                        ; implicit-def: $vgpr9
                                        ; implicit-def: $sgpr17
.LBB29_4:
	s_add_i32 s17, s27, s26
	v_cmp_gt_u32_e32 vcc, s17, v0
                                        ; implicit-def: $vgpr1
	s_and_saveexec_b64 s[0:1], vcc
	s_cbranch_execz .LBB29_6
; %bb.5:
	s_waitcnt vmcnt(3)
	v_mov_b32_e32 v1, s28
	v_add_co_u32_e32 v5, vcc, s5, v0
	v_addc_co_u32_e32 v1, vcc, 0, v1, vcc
	s_waitcnt vmcnt(2)
	v_subrev_u32_e32 v6, s26, v0
	s_waitcnt vmcnt(1)
	v_mov_b32_e32 v7, s7
	v_add_co_u32_e32 v6, vcc, s4, v6
	v_addc_co_u32_e32 v7, vcc, 0, v7, vcc
	v_cmp_gt_u32_e32 vcc, s26, v0
	v_cndmask_b32_e32 v7, v7, v1, vcc
	v_cndmask_b32_e32 v6, v6, v5, vcc
	global_load_ubyte v1, v[6:7], off
.LBB29_6:
	s_or_b64 exec, exec, s[0:1]
	v_cmp_gt_u32_e32 vcc, s17, v4
                                        ; implicit-def: $vgpr6
	s_and_saveexec_b64 s[0:1], vcc
	s_cbranch_execz .LBB29_8
; %bb.7:
	v_mov_b32_e32 v5, s28
	s_waitcnt vmcnt(2)
	v_add_co_u32_e32 v6, vcc, s5, v4
	v_addc_co_u32_e32 v5, vcc, 0, v5, vcc
	s_waitcnt vmcnt(1)
	v_subrev_u32_e32 v7, s26, v4
	v_mov_b32_e32 v8, s7
	v_add_co_u32_e32 v7, vcc, s4, v7
	v_addc_co_u32_e32 v8, vcc, 0, v8, vcc
	v_cmp_gt_u32_e32 vcc, s26, v4
	v_cndmask_b32_e32 v5, v8, v5, vcc
	v_cndmask_b32_e32 v4, v7, v6, vcc
	global_load_ubyte v6, v[4:5], off
.LBB29_8:
	s_or_b64 exec, exec, s[0:1]
	v_cmp_gt_u32_e32 vcc, s17, v3
                                        ; implicit-def: $vgpr7
	s_and_saveexec_b64 s[0:1], vcc
	s_cbranch_execz .LBB29_10
; %bb.9:
	v_mov_b32_e32 v4, s28
	s_waitcnt vmcnt(1)
	v_add_co_u32_e32 v7, vcc, s5, v3
	v_addc_co_u32_e32 v4, vcc, 0, v4, vcc
	v_subrev_u32_e32 v5, s26, v3
	v_mov_b32_e32 v8, s7
	s_waitcnt vmcnt(0)
	v_add_co_u32_e32 v9, vcc, s4, v5
	v_addc_co_u32_e32 v5, vcc, 0, v8, vcc
	v_cmp_gt_u32_e32 vcc, s26, v3
	v_cndmask_b32_e32 v5, v5, v4, vcc
	v_cndmask_b32_e32 v4, v9, v7, vcc
	global_load_ubyte v7, v[4:5], off
.LBB29_10:
	s_or_b64 exec, exec, s[0:1]
	v_add_u32_e32 v2, v3, v2
	v_cmp_gt_u32_e32 vcc, s17, v2
                                        ; implicit-def: $vgpr9
	s_and_saveexec_b64 s[0:1], vcc
	s_cbranch_execz .LBB29_12
; %bb.11:
	v_mov_b32_e32 v3, s28
	v_add_co_u32_e32 v4, vcc, s5, v2
	v_addc_co_u32_e32 v3, vcc, 0, v3, vcc
	v_subrev_u32_e32 v5, s26, v2
	v_mov_b32_e32 v8, s7
	v_add_co_u32_e32 v5, vcc, s4, v5
	v_addc_co_u32_e32 v8, vcc, 0, v8, vcc
	v_cmp_gt_u32_e32 vcc, s26, v2
	v_cndmask_b32_e32 v3, v8, v3, vcc
	v_cndmask_b32_e32 v2, v5, v4, vcc
	global_load_ubyte v9, v[2:3], off
.LBB29_12:
	s_or_b64 exec, exec, s[0:1]
.LBB29_13:
	v_lshlrev_b32_e32 v8, 2, v0
	v_min_u32_e32 v3, s17, v8
	v_sub_u32_e64 v2, v3, s27 clamp
	v_min_u32_e32 v4, s26, v3
	v_cmp_lt_u32_e32 vcc, v2, v4
	s_waitcnt vmcnt(0)
	ds_write_b8 v0, v1
	ds_write_b8 v0, v6 offset:256
	ds_write_b8 v0, v7 offset:512
	;; [unrolled: 1-line block ×3, first 2 shown]
	s_waitcnt lgkmcnt(0)
	s_barrier
	s_and_saveexec_b64 s[0:1], vcc
	s_cbranch_execz .LBB29_17
; %bb.14:
	v_add_u32_e32 v5, s26, v3
	s_mov_b64 s[2:3], 0
.LBB29_15:                              ; =>This Inner Loop Header: Depth=1
	v_add_u32_e32 v10, v4, v2
	v_lshrrev_b32_e32 v10, 1, v10
	v_xad_u32 v11, v10, -1, v5
	ds_read_i8 v12, v10
	ds_read_i8 v11, v11
	v_add_u32_e32 v13, 1, v10
	s_waitcnt lgkmcnt(0)
	v_cmp_gt_i16_e32 vcc, v11, v12
	v_cndmask_b32_e32 v4, v4, v10, vcc
	v_cndmask_b32_e32 v2, v13, v2, vcc
	v_cmp_ge_u32_e32 vcc, v2, v4
	s_or_b64 s[2:3], vcc, s[2:3]
	s_andn2_b64 exec, exec, s[2:3]
	s_cbranch_execnz .LBB29_15
; %bb.16:
	s_or_b64 exec, exec, s[2:3]
.LBB29_17:
	s_or_b64 exec, exec, s[0:1]
	v_sub_u32_e32 v3, v3, v2
	v_add_u32_e32 v3, s26, v3
	v_cmp_ge_u32_e32 vcc, s26, v2
	v_cmp_ge_u32_e64 s[0:1], s17, v3
	s_or_b64 s[0:1], vcc, s[0:1]
                                        ; implicit-def: $vgpr10
                                        ; implicit-def: $vgpr11
                                        ; implicit-def: $vgpr12
                                        ; implicit-def: $vgpr13
	s_and_saveexec_b64 s[6:7], s[0:1]
	s_cbranch_execz .LBB29_23
; %bb.18:
	v_cmp_gt_u32_e32 vcc, s26, v2
                                        ; implicit-def: $vgpr1
	s_and_saveexec_b64 s[0:1], vcc
	s_cbranch_execz .LBB29_20
; %bb.19:
	ds_read_u8 v1, v2
.LBB29_20:
	s_or_b64 exec, exec, s[0:1]
	v_cmp_le_u32_e64 s[0:1], s17, v3
	v_cmp_gt_u32_e64 s[2:3], s17, v3
                                        ; implicit-def: $vgpr4
	s_and_saveexec_b64 s[4:5], s[2:3]
	s_cbranch_execz .LBB29_22
; %bb.21:
	ds_read_u8 v4, v3
.LBB29_22:
	s_or_b64 exec, exec, s[4:5]
	s_waitcnt lgkmcnt(0)
	v_cmp_le_i16_sdwa s[2:3], sext(v4), sext(v1) src0_sel:BYTE_0 src1_sel:BYTE_0
	s_and_b64 s[2:3], vcc, s[2:3]
	s_or_b64 vcc, s[0:1], s[2:3]
	v_mov_b32_e32 v5, s17
	v_mov_b32_e32 v6, s26
	v_cndmask_b32_e32 v13, v3, v2, vcc
	v_cndmask_b32_e32 v7, v5, v6, vcc
	v_add_u32_e32 v9, 1, v13
	v_add_u32_e32 v7, -1, v7
	v_min_u32_e32 v7, v9, v7
	ds_read_u8 v7, v7
	v_cndmask_b32_e32 v2, v2, v9, vcc
	v_cndmask_b32_e32 v3, v9, v3, vcc
	v_cmp_gt_u32_e64 s[2:3], s26, v2
	v_cmp_le_u32_e64 s[0:1], s17, v3
	s_waitcnt lgkmcnt(0)
	v_cndmask_b32_e32 v10, v7, v4, vcc
	v_cndmask_b32_e32 v7, v1, v7, vcc
	v_cmp_le_i16_sdwa s[4:5], sext(v10), sext(v7) src0_sel:BYTE_0 src1_sel:BYTE_0
	s_and_b64 s[2:3], s[2:3], s[4:5]
	s_or_b64 s[0:1], s[0:1], s[2:3]
	v_cndmask_b32_e64 v12, v3, v2, s[0:1]
	v_cndmask_b32_e64 v9, v5, v6, s[0:1]
	v_add_u32_e32 v11, 1, v12
	v_add_u32_e32 v9, -1, v9
	v_min_u32_e32 v9, v11, v9
	ds_read_u8 v9, v9
	v_cndmask_b32_e64 v2, v2, v11, s[0:1]
	v_cndmask_b32_e64 v3, v11, v3, s[0:1]
	v_cmp_gt_u32_e64 s[4:5], s26, v2
	v_cmp_le_u32_e64 s[2:3], s17, v3
	s_waitcnt lgkmcnt(0)
	v_cndmask_b32_e64 v14, v9, v10, s[0:1]
	v_cndmask_b32_e64 v9, v7, v9, s[0:1]
	v_cmp_le_i16_sdwa s[8:9], sext(v14), sext(v9) src0_sel:BYTE_0 src1_sel:BYTE_0
	s_and_b64 s[4:5], s[4:5], s[8:9]
	s_or_b64 s[2:3], s[2:3], s[4:5]
	v_cndmask_b32_e64 v11, v3, v2, s[2:3]
	v_cndmask_b32_e64 v5, v5, v6, s[2:3]
	v_add_u32_e32 v15, 1, v11
	v_add_u32_e32 v5, -1, v5
	v_min_u32_e32 v5, v15, v5
	ds_read_u8 v5, v5
	v_cndmask_b32_e32 v1, v4, v1, vcc
	v_cndmask_b32_e64 v2, v2, v15, s[2:3]
	v_cndmask_b32_e64 v6, v10, v7, s[0:1]
	;; [unrolled: 1-line block ×3, first 2 shown]
	s_waitcnt lgkmcnt(0)
	v_cndmask_b32_e64 v4, v5, v14, s[2:3]
	v_cndmask_b32_e64 v5, v9, v5, s[2:3]
	;; [unrolled: 1-line block ×3, first 2 shown]
	v_cmp_gt_u32_e64 s[0:1], s26, v2
	v_cmp_le_i16_sdwa s[2:3], sext(v4), sext(v5) src0_sel:BYTE_0 src1_sel:BYTE_0
	v_cmp_le_u32_e32 vcc, s17, v3
	s_and_b64 s[0:1], s[0:1], s[2:3]
	s_or_b64 vcc, vcc, s[0:1]
	v_cndmask_b32_e32 v10, v3, v2, vcc
	v_cndmask_b32_e32 v9, v4, v5, vcc
.LBB29_23:
	s_or_b64 exec, exec, s[6:7]
	s_lshl_b64 s[0:1], s[20:21], 3
	s_add_u32 s24, s12, s0
	s_addc_u32 s28, s13, s1
	s_lshl_b64 s[0:1], s[22:23], 3
	s_add_u32 s29, s12, s0
	v_cndmask_b32_e64 v2, 0, 1, s[18:19]
	s_addc_u32 s30, s13, s1
	v_cmp_gt_u32_e64 s[4:5], s26, v0
	v_cmp_ne_u32_e64 s[0:1], 1, v2
	s_andn2_b64 vcc, exec, s[18:19]
	v_cmp_le_u32_e64 s[2:3], s26, v0
	s_barrier
	s_cbranch_vccnz .LBB29_25
; %bb.24:
	v_subrev_u32_e32 v2, s26, v0
	v_mov_b32_e32 v3, 0
	v_lshlrev_b64 v[4:5], 3, v[2:3]
	v_mov_b32_e32 v2, s30
	v_add_co_u32_e32 v4, vcc, s29, v4
	v_addc_co_u32_e32 v2, vcc, v2, v5, vcc
	v_lshlrev_b32_e32 v20, 3, v0
	v_mov_b32_e32 v5, s28
	v_add_co_u32_e32 v21, vcc, s24, v20
	v_addc_co_u32_e32 v22, vcc, 0, v5, vcc
	v_cndmask_b32_e64 v5, v2, v22, s[4:5]
	v_cndmask_b32_e64 v4, v4, v21, s[4:5]
	v_or_b32_e32 v16, 0x100, v0
	s_movk_i32 s4, 0x800
	v_add_co_u32_e32 v17, vcc, s4, v21
	v_subrev_u32_e32 v2, s26, v16
	v_addc_co_u32_e32 v18, vcc, 0, v22, vcc
	v_lshlrev_b64 v[14:15], 3, v[2:3]
	v_mov_b32_e32 v2, s30
	v_add_co_u32_e32 v14, vcc, s29, v14
	v_addc_co_u32_e32 v2, vcc, v2, v15, vcc
	v_cmp_gt_u32_e32 vcc, s26, v16
	v_cndmask_b32_e32 v15, v2, v18, vcc
	v_or_b32_e32 v18, 0x200, v0
	s_movk_i32 s4, 0x1000
	v_cndmask_b32_e32 v14, v14, v17, vcc
	v_add_co_u32_e32 v19, vcc, s4, v21
	v_subrev_u32_e32 v2, s26, v18
	global_load_dwordx2 v[16:17], v[14:15], off
	v_addc_co_u32_e32 v23, vcc, 0, v22, vcc
	v_lshlrev_b64 v[14:15], 3, v[2:3]
	v_mov_b32_e32 v2, s30
	v_add_co_u32_e32 v14, vcc, s29, v14
	v_addc_co_u32_e32 v2, vcc, v2, v15, vcc
	v_cmp_gt_u32_e32 vcc, s26, v18
	global_load_dwordx2 v[4:5], v[4:5], off
	v_cndmask_b32_e32 v15, v2, v23, vcc
	v_cndmask_b32_e32 v14, v14, v19, vcc
	global_load_dwordx2 v[18:19], v[14:15], off
	v_or_b32_e32 v15, 0x300, v0
	s_movk_i32 s4, 0x1800
	v_add_co_u32_e32 v21, vcc, s4, v21
	v_subrev_u32_e32 v2, s26, v15
	v_addc_co_u32_e32 v22, vcc, 0, v22, vcc
	v_lshlrev_b64 v[2:3], 3, v[2:3]
	v_mov_b32_e32 v23, s30
	v_add_co_u32_e32 v2, vcc, s29, v2
	v_addc_co_u32_e32 v3, vcc, v23, v3, vcc
	v_cmp_gt_u32_e32 vcc, s26, v15
	v_or_b32_e32 v14, 0x1800, v20
	v_cndmask_b32_e32 v3, v3, v22, vcc
	v_cndmask_b32_e32 v2, v2, v21, vcc
	s_mov_b64 s[4:5], -1
	s_waitcnt vmcnt(1)
	ds_write2st64_b64 v20, v[4:5], v[16:17] offset1:4
	s_waitcnt vmcnt(0)
	ds_write_b64 v20, v[18:19] offset:4096
	s_cbranch_execz .LBB29_26
	s_branch .LBB29_47
.LBB29_25:
	s_mov_b64 s[4:5], 0
                                        ; implicit-def: $vgpr14
                                        ; implicit-def: $vgpr2_vgpr3
.LBB29_26:
	s_mov_b64 s[6:7], 0
                                        ; implicit-def: $vgpr2_vgpr3
	s_and_saveexec_b64 s[8:9], s[2:3]
	s_xor_b64 s[2:3], exec, s[8:9]
	s_cbranch_execz .LBB29_51
; %bb.27:
	v_subrev_u32_e32 v4, s26, v0
	v_cmp_gt_u32_e32 vcc, s27, v4
                                        ; implicit-def: $vgpr2_vgpr3
	s_and_saveexec_b64 s[8:9], vcc
	s_xor_b64 s[8:9], exec, s[8:9]
; %bb.28:
	v_mov_b32_e32 v5, 0
	v_lshlrev_b64 v[2:3], 3, v[4:5]
	v_mov_b32_e32 v4, s30
	v_add_co_u32_e32 v2, vcc, s29, v2
	s_mov_b64 s[6:7], exec
	v_addc_co_u32_e32 v3, vcc, v4, v3, vcc
; %bb.29:
	s_or_b64 exec, exec, s[8:9]
	s_and_b64 s[6:7], s[6:7], exec
	s_andn2_saveexec_b64 s[2:3], s[2:3]
	s_cbranch_execnz .LBB29_52
.LBB29_30:
	s_or_b64 exec, exec, s[2:3]
	v_mad_u32_u24 v14, v0, 7, v0
	s_and_saveexec_b64 s[2:3], s[6:7]
	s_cbranch_execz .LBB29_32
.LBB29_31:
	global_load_dwordx2 v[2:3], v[2:3], off
	s_waitcnt vmcnt(0)
	ds_write_b64 v14, v[2:3]
.LBB29_32:
	s_or_b64 exec, exec, s[2:3]
	v_or_b32_e32 v2, 0x100, v0
	v_cmp_le_u32_e32 vcc, s26, v2
	s_mov_b64 s[6:7], -1
	v_pk_mov_b32 v[4:5], s[20:21], s[20:21] op_sel:[0,1]
	s_and_saveexec_b64 s[2:3], vcc
; %bb.33:
	v_subrev_u32_e32 v2, s26, v2
	v_cmp_gt_u32_e32 vcc, s27, v2
	v_pk_mov_b32 v[4:5], s[22:23], s[22:23] op_sel:[0,1]
	s_orn2_b64 s[6:7], vcc, exec
; %bb.34:
	s_or_b64 exec, exec, s[2:3]
	s_and_saveexec_b64 s[2:3], s[6:7]
	s_cbranch_execz .LBB29_36
; %bb.35:
	v_lshlrev_b64 v[4:5], 3, v[4:5]
	v_mov_b32_e32 v3, s13
	v_add_co_u32_e32 v4, vcc, s12, v4
	v_addc_co_u32_e32 v5, vcc, v3, v5, vcc
	v_mov_b32_e32 v3, 0
	v_lshlrev_b64 v[2:3], 3, v[2:3]
	v_add_co_u32_e32 v2, vcc, v4, v2
	v_addc_co_u32_e32 v3, vcc, v5, v3, vcc
	global_load_dwordx2 v[2:3], v[2:3], off
	s_waitcnt vmcnt(0)
	ds_write_b64 v14, v[2:3] offset:2048
.LBB29_36:
	s_or_b64 exec, exec, s[2:3]
	v_or_b32_e32 v2, 0x200, v0
	v_cmp_le_u32_e32 vcc, s26, v2
	s_mov_b64 s[6:7], -1
	v_pk_mov_b32 v[4:5], s[20:21], s[20:21] op_sel:[0,1]
	s_and_saveexec_b64 s[2:3], vcc
; %bb.37:
	v_subrev_u32_e32 v2, s26, v2
	v_cmp_gt_u32_e32 vcc, s27, v2
	v_pk_mov_b32 v[4:5], s[22:23], s[22:23] op_sel:[0,1]
	s_orn2_b64 s[6:7], vcc, exec
; %bb.38:
	s_or_b64 exec, exec, s[2:3]
	s_and_saveexec_b64 s[2:3], s[6:7]
	s_cbranch_execz .LBB29_40
; %bb.39:
	v_lshlrev_b64 v[4:5], 3, v[4:5]
	v_mov_b32_e32 v3, s13
	v_add_co_u32_e32 v4, vcc, s12, v4
	v_addc_co_u32_e32 v5, vcc, v3, v5, vcc
	v_mov_b32_e32 v3, 0
	v_lshlrev_b64 v[2:3], 3, v[2:3]
	v_add_co_u32_e32 v2, vcc, v4, v2
	v_addc_co_u32_e32 v3, vcc, v5, v3, vcc
	global_load_dwordx2 v[2:3], v[2:3], off
	s_waitcnt vmcnt(0)
	ds_write_b64 v14, v[2:3] offset:4096
.LBB29_40:
	s_or_b64 exec, exec, s[2:3]
	v_or_b32_e32 v4, 0x300, v0
	v_cmp_le_u32_e32 vcc, s26, v4
                                        ; implicit-def: $vgpr14
                                        ; implicit-def: $vgpr2_vgpr3
	s_and_saveexec_b64 s[2:3], vcc
	s_xor_b64 s[2:3], exec, s[2:3]
	s_cbranch_execz .LBB29_44
; %bb.41:
	v_subrev_u32_e32 v4, s26, v4
	v_cmp_gt_u32_e32 vcc, s27, v4
	s_mov_b64 s[8:9], s[4:5]
                                        ; implicit-def: $vgpr14
                                        ; implicit-def: $vgpr2_vgpr3
	s_and_saveexec_b64 s[6:7], vcc
; %bb.42:
	v_mul_u32_u24_e32 v2, 7, v0
	s_movk_i32 s8, 0x1800
	v_mov_b32_e32 v5, 0
	v_add3_u32 v14, v0, v2, s8
	v_lshlrev_b64 v[2:3], 3, v[4:5]
	v_mov_b32_e32 v4, s30
	v_add_co_u32_e32 v2, vcc, s29, v2
	v_addc_co_u32_e32 v3, vcc, v4, v3, vcc
	s_or_b64 s[8:9], s[4:5], exec
; %bb.43:
	s_or_b64 exec, exec, s[6:7]
	s_andn2_b64 s[4:5], s[4:5], exec
	s_and_b64 s[6:7], s[8:9], exec
	s_or_b64 s[4:5], s[4:5], s[6:7]
                                        ; implicit-def: $vgpr4
.LBB29_44:
	s_andn2_saveexec_b64 s[2:3], s[2:3]
; %bb.45:
	v_lshlrev_b32_e32 v2, 3, v4
	v_mov_b32_e32 v3, s28
	v_add_co_u32_e32 v2, vcc, s24, v2
	v_mul_u32_u24_e32 v4, 7, v0
	s_movk_i32 s6, 0x1800
	v_addc_co_u32_e32 v3, vcc, 0, v3, vcc
	v_add3_u32 v14, v0, v4, s6
	s_or_b64 s[4:5], s[4:5], exec
; %bb.46:
	s_or_b64 exec, exec, s[2:3]
.LBB29_47:
	s_and_saveexec_b64 s[2:3], s[4:5]
	s_cbranch_execz .LBB29_49
; %bb.48:
	global_load_dwordx2 v[2:3], v[2:3], off
	s_waitcnt vmcnt(0)
	ds_write_b64 v14, v[2:3]
.LBB29_49:
	s_or_b64 exec, exec, s[2:3]
	s_and_b64 vcc, exec, s[0:1]
	v_add_u32_e32 v2, s25, v8
	s_waitcnt lgkmcnt(0)
	s_barrier
	s_cbranch_vccnz .LBB29_53
; %bb.50:
	v_lshlrev_b32_e32 v14, 3, v13
	v_lshlrev_b32_e32 v16, 3, v12
	;; [unrolled: 1-line block ×3, first 2 shown]
	ds_read_b64 v[14:15], v14
	ds_read_b64 v[16:17], v16
	;; [unrolled: 1-line block ×3, first 2 shown]
	v_mov_b32_e32 v3, 0
	v_lshlrev_b64 v[4:5], 3, v[2:3]
	v_mov_b32_e32 v20, s15
	v_add_co_u32_e32 v4, vcc, s14, v4
	v_addc_co_u32_e32 v5, vcc, v20, v5, vcc
	s_mov_b64 s[0:1], -1
	s_waitcnt lgkmcnt(1)
	global_store_dwordx4 v[4:5], v[14:17], off
	s_waitcnt lgkmcnt(0)
	global_store_dwordx2 v[4:5], v[18:19], off offset:16
	s_cbranch_execz .LBB29_54
	s_branch .LBB29_63
.LBB29_51:
	s_andn2_saveexec_b64 s[2:3], s[2:3]
	s_cbranch_execz .LBB29_30
.LBB29_52:
	v_lshlrev_b32_e32 v2, 3, v0
	v_mov_b32_e32 v3, s28
	v_add_co_u32_e32 v2, vcc, s24, v2
	v_addc_co_u32_e32 v3, vcc, 0, v3, vcc
	s_or_b64 s[6:7], s[6:7], exec
	s_or_b64 exec, exec, s[2:3]
	v_mad_u32_u24 v14, v0, 7, v0
	s_and_saveexec_b64 s[2:3], s[6:7]
	s_cbranch_execnz .LBB29_31
	s_branch .LBB29_32
.LBB29_53:
	s_mov_b64 s[0:1], 0
.LBB29_54:
	v_cmp_gt_u32_e32 vcc, s17, v8
	s_and_saveexec_b64 s[2:3], vcc
	s_cbranch_execz .LBB29_56
; %bb.55:
	v_lshlrev_b32_e32 v13, 3, v13
	ds_read_b64 v[14:15], v13
	v_mov_b32_e32 v3, 0
	v_lshlrev_b64 v[4:5], 3, v[2:3]
	v_mov_b32_e32 v3, s15
	v_add_co_u32_e32 v4, vcc, s14, v4
	v_addc_co_u32_e32 v5, vcc, v3, v5, vcc
	s_waitcnt lgkmcnt(0)
	global_store_dwordx2 v[4:5], v[14:15], off
.LBB29_56:
	s_or_b64 exec, exec, s[2:3]
	v_or_b32_e32 v3, 1, v8
	v_cmp_gt_u32_e32 vcc, s17, v3
	s_and_saveexec_b64 s[2:3], vcc
	s_cbranch_execz .LBB29_58
; %bb.57:
	v_lshlrev_b32_e32 v12, 3, v12
	ds_read_b64 v[12:13], v12
	v_mov_b32_e32 v3, 0
	v_lshlrev_b64 v[4:5], 3, v[2:3]
	v_mov_b32_e32 v3, s15
	v_add_co_u32_e32 v4, vcc, s14, v4
	v_addc_co_u32_e32 v5, vcc, v3, v5, vcc
	s_waitcnt lgkmcnt(0)
	global_store_dwordx2 v[4:5], v[12:13], off offset:8
.LBB29_58:
	s_or_b64 exec, exec, s[2:3]
	v_or_b32_e32 v3, 2, v8
	v_cmp_gt_u32_e32 vcc, s17, v3
	s_and_saveexec_b64 s[2:3], vcc
	s_cbranch_execz .LBB29_60
; %bb.59:
	v_lshlrev_b32_e32 v11, 3, v11
	ds_read_b64 v[12:13], v11
	v_mov_b32_e32 v3, 0
	v_lshlrev_b64 v[4:5], 3, v[2:3]
	v_mov_b32_e32 v3, s15
	v_add_co_u32_e32 v4, vcc, s14, v4
	v_addc_co_u32_e32 v5, vcc, v3, v5, vcc
	s_waitcnt lgkmcnt(0)
	global_store_dwordx2 v[4:5], v[12:13], off offset:16
.LBB29_60:
	s_or_b64 exec, exec, s[2:3]
	v_or_b32_e32 v3, 3, v8
	v_cmp_gt_u32_e32 vcc, s17, v3
	s_and_saveexec_b64 s[2:3], vcc
; %bb.61:
	v_mov_b32_e32 v3, 0
	s_or_b64 s[0:1], s[0:1], exec
; %bb.62:
	s_or_b64 exec, exec, s[2:3]
.LBB29_63:
	s_and_saveexec_b64 s[2:3], s[0:1]
	s_cbranch_execz .LBB29_65
; %bb.64:
	v_lshlrev_b32_e32 v4, 3, v10
	ds_read_b64 v[4:5], v4
	v_lshlrev_b64 v[2:3], 3, v[2:3]
	v_mov_b32_e32 v11, s15
	v_add_co_u32_e32 v2, vcc, s14, v2
	v_addc_co_u32_e32 v3, vcc, v11, v3, vcc
	s_waitcnt lgkmcnt(0)
	global_store_dwordx2 v[2:3], v[4:5], off offset:24
.LBB29_65:
	s_or_b64 exec, exec, s[2:3]
	v_lshlrev_b16_e32 v3, 8, v6
	v_lshrrev_b32_e32 v2, 3, v0
	v_or_b32_sdwa v1, v1, v3 dst_sel:DWORD dst_unused:UNUSED_PAD src0_sel:BYTE_0 src1_sel:DWORD
	v_lshlrev_b16_e32 v3, 8, v9
	v_and_b32_e32 v2, 28, v2
	v_or_b32_sdwa v3, v7, v3 dst_sel:WORD_1 dst_unused:UNUSED_PAD src0_sel:BYTE_0 src1_sel:DWORD
	v_add_u32_e32 v2, v2, v8
	v_or_b32_sdwa v1, v1, v3 dst_sel:DWORD dst_unused:UNUSED_PAD src0_sel:WORD_0 src1_sel:DWORD
	s_barrier
	s_barrier
	ds_write_b32 v2, v1
	v_lshrrev_b32_e32 v1, 5, v0
	v_or_b32_e32 v5, 0x100, v0
	v_and_b32_e32 v6, 4, v1
	v_lshrrev_b32_e32 v1, 5, v5
	v_or_b32_e32 v4, 0x200, v0
	v_and_b32_e32 v7, 12, v1
	v_lshrrev_b32_e32 v1, 5, v4
	s_add_u32 s0, s10, s25
	v_and_b32_e32 v9, 20, v1
	v_or_b32_e32 v1, 0x300, v0
	s_addc_u32 s1, s11, 0
	v_lshrrev_b32_e32 v2, 5, v1
	v_and_b32_e32 v10, 28, v2
	v_mov_b32_e32 v3, s1
	v_add_co_u32_e32 v2, vcc, s0, v0
	v_addc_co_u32_e32 v3, vcc, 0, v3, vcc
	s_and_b64 vcc, exec, s[18:19]
	v_add_u32_e32 v8, v0, v7
	v_add_u32_e32 v9, v0, v9
	v_add_u32_e32 v10, v0, v10
	s_waitcnt lgkmcnt(0)
	s_cbranch_vccz .LBB29_67
; %bb.66:
	v_add_u32_e32 v7, v0, v6
	s_barrier
	ds_read_u8 v11, v7
	ds_read_u8 v12, v8 offset:256
	ds_read_u8 v13, v9 offset:512
	;; [unrolled: 1-line block ×3, first 2 shown]
	s_waitcnt lgkmcnt(3)
	global_store_byte v[2:3], v11, off
	s_waitcnt lgkmcnt(2)
	global_store_byte v[2:3], v12, off offset:256
	s_waitcnt lgkmcnt(1)
	global_store_byte v[2:3], v13, off offset:512
	s_mov_b64 s[0:1], -1
	s_cbranch_execz .LBB29_68
	s_branch .LBB29_73
.LBB29_67:
	s_mov_b64 s[0:1], 0
                                        ; implicit-def: $vgpr7
.LBB29_68:
	s_barrier
	s_waitcnt lgkmcnt(0)
	ds_read_u8 v11, v8 offset:256
	ds_read_u8 v8, v9 offset:512
	ds_read_u8 v7, v10 offset:768
	s_sub_i32 s2, s16, s25
	v_cmp_gt_u32_e32 vcc, s2, v0
	s_and_saveexec_b64 s[0:1], vcc
	s_cbranch_execz .LBB29_76
; %bb.69:
	v_add_u32_e32 v0, v0, v6
	ds_read_u8 v0, v0
	s_waitcnt lgkmcnt(0)
	global_store_byte v[2:3], v0, off
	s_or_b64 exec, exec, s[0:1]
	v_cmp_gt_u32_e32 vcc, s2, v5
	s_and_saveexec_b64 s[0:1], vcc
	s_cbranch_execnz .LBB29_77
.LBB29_70:
	s_or_b64 exec, exec, s[0:1]
	v_cmp_gt_u32_e32 vcc, s2, v4
	s_and_saveexec_b64 s[0:1], vcc
	s_cbranch_execz .LBB29_72
.LBB29_71:
	s_waitcnt lgkmcnt(1)
	global_store_byte v[2:3], v8, off offset:512
.LBB29_72:
	s_or_b64 exec, exec, s[0:1]
	v_cmp_gt_u32_e64 s[0:1], s2, v1
.LBB29_73:
	s_and_saveexec_b64 s[2:3], s[0:1]
	s_cbranch_execz .LBB29_75
; %bb.74:
	s_waitcnt lgkmcnt(0)
	global_store_byte v[2:3], v7, off offset:768
.LBB29_75:
	s_endpgm
.LBB29_76:
	s_or_b64 exec, exec, s[0:1]
	v_cmp_gt_u32_e32 vcc, s2, v5
	s_and_saveexec_b64 s[0:1], vcc
	s_cbranch_execz .LBB29_70
.LBB29_77:
	s_waitcnt lgkmcnt(2)
	global_store_byte v[2:3], v11, off offset:256
	s_or_b64 exec, exec, s[0:1]
	v_cmp_gt_u32_e32 vcc, s2, v4
	s_and_saveexec_b64 s[0:1], vcc
	s_cbranch_execnz .LBB29_71
	s_branch .LBB29_72
	.section	.rodata,"a",@progbits
	.p2align	6, 0x0
	.amdhsa_kernel _ZN7rocprim17ROCPRIM_304000_NS6detail35device_block_merge_mergepath_kernelINS1_37wrapped_merge_sort_block_merge_configINS0_14default_configEaN2at4cuda3cub6detail10OpaqueTypeILi8EEEEEPaSC_PSA_SD_jNS1_19radix_merge_compareILb1ELb0EaNS0_19identity_decomposerEEEEEvT0_T1_T2_T3_T4_SL_jT5_PKSL_NS1_7vsmem_tE
		.amdhsa_group_segment_fixed_size 8208
		.amdhsa_private_segment_fixed_size 0
		.amdhsa_kernarg_size 320
		.amdhsa_user_sgpr_count 6
		.amdhsa_user_sgpr_private_segment_buffer 1
		.amdhsa_user_sgpr_dispatch_ptr 0
		.amdhsa_user_sgpr_queue_ptr 0
		.amdhsa_user_sgpr_kernarg_segment_ptr 1
		.amdhsa_user_sgpr_dispatch_id 0
		.amdhsa_user_sgpr_flat_scratch_init 0
		.amdhsa_user_sgpr_kernarg_preload_length 0
		.amdhsa_user_sgpr_kernarg_preload_offset 0
		.amdhsa_user_sgpr_private_segment_size 0
		.amdhsa_uses_dynamic_stack 0
		.amdhsa_system_sgpr_private_segment_wavefront_offset 0
		.amdhsa_system_sgpr_workgroup_id_x 1
		.amdhsa_system_sgpr_workgroup_id_y 1
		.amdhsa_system_sgpr_workgroup_id_z 1
		.amdhsa_system_sgpr_workgroup_info 0
		.amdhsa_system_vgpr_workitem_id 0
		.amdhsa_next_free_vgpr 24
		.amdhsa_next_free_sgpr 31
		.amdhsa_accum_offset 24
		.amdhsa_reserve_vcc 1
		.amdhsa_reserve_flat_scratch 0
		.amdhsa_float_round_mode_32 0
		.amdhsa_float_round_mode_16_64 0
		.amdhsa_float_denorm_mode_32 3
		.amdhsa_float_denorm_mode_16_64 3
		.amdhsa_dx10_clamp 1
		.amdhsa_ieee_mode 1
		.amdhsa_fp16_overflow 0
		.amdhsa_tg_split 0
		.amdhsa_exception_fp_ieee_invalid_op 0
		.amdhsa_exception_fp_denorm_src 0
		.amdhsa_exception_fp_ieee_div_zero 0
		.amdhsa_exception_fp_ieee_overflow 0
		.amdhsa_exception_fp_ieee_underflow 0
		.amdhsa_exception_fp_ieee_inexact 0
		.amdhsa_exception_int_div_zero 0
	.end_amdhsa_kernel
	.section	.text._ZN7rocprim17ROCPRIM_304000_NS6detail35device_block_merge_mergepath_kernelINS1_37wrapped_merge_sort_block_merge_configINS0_14default_configEaN2at4cuda3cub6detail10OpaqueTypeILi8EEEEEPaSC_PSA_SD_jNS1_19radix_merge_compareILb1ELb0EaNS0_19identity_decomposerEEEEEvT0_T1_T2_T3_T4_SL_jT5_PKSL_NS1_7vsmem_tE,"axG",@progbits,_ZN7rocprim17ROCPRIM_304000_NS6detail35device_block_merge_mergepath_kernelINS1_37wrapped_merge_sort_block_merge_configINS0_14default_configEaN2at4cuda3cub6detail10OpaqueTypeILi8EEEEEPaSC_PSA_SD_jNS1_19radix_merge_compareILb1ELb0EaNS0_19identity_decomposerEEEEEvT0_T1_T2_T3_T4_SL_jT5_PKSL_NS1_7vsmem_tE,comdat
.Lfunc_end29:
	.size	_ZN7rocprim17ROCPRIM_304000_NS6detail35device_block_merge_mergepath_kernelINS1_37wrapped_merge_sort_block_merge_configINS0_14default_configEaN2at4cuda3cub6detail10OpaqueTypeILi8EEEEEPaSC_PSA_SD_jNS1_19radix_merge_compareILb1ELb0EaNS0_19identity_decomposerEEEEEvT0_T1_T2_T3_T4_SL_jT5_PKSL_NS1_7vsmem_tE, .Lfunc_end29-_ZN7rocprim17ROCPRIM_304000_NS6detail35device_block_merge_mergepath_kernelINS1_37wrapped_merge_sort_block_merge_configINS0_14default_configEaN2at4cuda3cub6detail10OpaqueTypeILi8EEEEEPaSC_PSA_SD_jNS1_19radix_merge_compareILb1ELb0EaNS0_19identity_decomposerEEEEEvT0_T1_T2_T3_T4_SL_jT5_PKSL_NS1_7vsmem_tE
                                        ; -- End function
	.section	.AMDGPU.csdata,"",@progbits
; Kernel info:
; codeLenInByte = 3252
; NumSgprs: 35
; NumVgprs: 24
; NumAgprs: 0
; TotalNumVgprs: 24
; ScratchSize: 0
; MemoryBound: 1
; FloatMode: 240
; IeeeMode: 1
; LDSByteSize: 8208 bytes/workgroup (compile time only)
; SGPRBlocks: 4
; VGPRBlocks: 2
; NumSGPRsForWavesPerEU: 35
; NumVGPRsForWavesPerEU: 24
; AccumOffset: 24
; Occupancy: 7
; WaveLimiterHint : 1
; COMPUTE_PGM_RSRC2:SCRATCH_EN: 0
; COMPUTE_PGM_RSRC2:USER_SGPR: 6
; COMPUTE_PGM_RSRC2:TRAP_HANDLER: 0
; COMPUTE_PGM_RSRC2:TGID_X_EN: 1
; COMPUTE_PGM_RSRC2:TGID_Y_EN: 1
; COMPUTE_PGM_RSRC2:TGID_Z_EN: 1
; COMPUTE_PGM_RSRC2:TIDIG_COMP_CNT: 0
; COMPUTE_PGM_RSRC3_GFX90A:ACCUM_OFFSET: 5
; COMPUTE_PGM_RSRC3_GFX90A:TG_SPLIT: 0
	.section	.text._ZN7rocprim17ROCPRIM_304000_NS6detail33device_block_merge_oddeven_kernelINS1_37wrapped_merge_sort_block_merge_configINS0_14default_configEaN2at4cuda3cub6detail10OpaqueTypeILi8EEEEEPaSC_PSA_SD_jNS1_19radix_merge_compareILb1ELb0EaNS0_19identity_decomposerEEEEEvT0_T1_T2_T3_T4_SL_T5_,"axG",@progbits,_ZN7rocprim17ROCPRIM_304000_NS6detail33device_block_merge_oddeven_kernelINS1_37wrapped_merge_sort_block_merge_configINS0_14default_configEaN2at4cuda3cub6detail10OpaqueTypeILi8EEEEEPaSC_PSA_SD_jNS1_19radix_merge_compareILb1ELb0EaNS0_19identity_decomposerEEEEEvT0_T1_T2_T3_T4_SL_T5_,comdat
	.protected	_ZN7rocprim17ROCPRIM_304000_NS6detail33device_block_merge_oddeven_kernelINS1_37wrapped_merge_sort_block_merge_configINS0_14default_configEaN2at4cuda3cub6detail10OpaqueTypeILi8EEEEEPaSC_PSA_SD_jNS1_19radix_merge_compareILb1ELb0EaNS0_19identity_decomposerEEEEEvT0_T1_T2_T3_T4_SL_T5_ ; -- Begin function _ZN7rocprim17ROCPRIM_304000_NS6detail33device_block_merge_oddeven_kernelINS1_37wrapped_merge_sort_block_merge_configINS0_14default_configEaN2at4cuda3cub6detail10OpaqueTypeILi8EEEEEPaSC_PSA_SD_jNS1_19radix_merge_compareILb1ELb0EaNS0_19identity_decomposerEEEEEvT0_T1_T2_T3_T4_SL_T5_
	.globl	_ZN7rocprim17ROCPRIM_304000_NS6detail33device_block_merge_oddeven_kernelINS1_37wrapped_merge_sort_block_merge_configINS0_14default_configEaN2at4cuda3cub6detail10OpaqueTypeILi8EEEEEPaSC_PSA_SD_jNS1_19radix_merge_compareILb1ELb0EaNS0_19identity_decomposerEEEEEvT0_T1_T2_T3_T4_SL_T5_
	.p2align	8
	.type	_ZN7rocprim17ROCPRIM_304000_NS6detail33device_block_merge_oddeven_kernelINS1_37wrapped_merge_sort_block_merge_configINS0_14default_configEaN2at4cuda3cub6detail10OpaqueTypeILi8EEEEEPaSC_PSA_SD_jNS1_19radix_merge_compareILb1ELb0EaNS0_19identity_decomposerEEEEEvT0_T1_T2_T3_T4_SL_T5_,@function
_ZN7rocprim17ROCPRIM_304000_NS6detail33device_block_merge_oddeven_kernelINS1_37wrapped_merge_sort_block_merge_configINS0_14default_configEaN2at4cuda3cub6detail10OpaqueTypeILi8EEEEEPaSC_PSA_SD_jNS1_19radix_merge_compareILb1ELb0EaNS0_19identity_decomposerEEEEEvT0_T1_T2_T3_T4_SL_T5_: ; @_ZN7rocprim17ROCPRIM_304000_NS6detail33device_block_merge_oddeven_kernelINS1_37wrapped_merge_sort_block_merge_configINS0_14default_configEaN2at4cuda3cub6detail10OpaqueTypeILi8EEEEEPaSC_PSA_SD_jNS1_19radix_merge_compareILb1ELb0EaNS0_19identity_decomposerEEEEEvT0_T1_T2_T3_T4_SL_T5_
; %bb.0:
	s_load_dwordx2 s[16:17], s[4:5], 0x20
	s_waitcnt lgkmcnt(0)
	s_lshr_b32 s2, s16, 8
	s_cmp_lg_u32 s6, s2
	s_cselect_b64 s[0:1], -1, 0
	s_cmp_eq_u32 s6, s2
	s_cselect_b64 s[18:19], -1, 0
	s_lshl_b32 s20, s6, 8
	s_sub_i32 s2, s16, s20
	v_cmp_gt_u32_e64 s[2:3], s2, v0
	s_or_b64 s[0:1], s[0:1], s[2:3]
	s_and_saveexec_b64 s[8:9], s[0:1]
	s_cbranch_execz .LBB30_26
; %bb.1:
	s_load_dwordx8 s[8:15], s[4:5], 0x0
	s_mov_b32 s21, 0
	v_lshlrev_b32_e32 v1, 3, v0
	v_add_u32_e32 v4, s20, v0
	s_waitcnt lgkmcnt(0)
	s_add_u32 s0, s8, s20
	s_addc_u32 s1, s9, 0
	s_lshl_b64 s[4:5], s[20:21], 3
	s_add_u32 s4, s12, s4
	s_addc_u32 s5, s13, s5
	global_load_dwordx2 v[2:3], v1, s[4:5]
	global_load_sbyte v6, v0, s[0:1]
	s_lshr_b32 s0, s17, 8
	s_sub_i32 s1, 0, s0
	s_and_b32 s1, s6, s1
	s_and_b32 s0, s1, s0
	s_lshl_b32 s22, s1, 8
	s_sub_i32 s6, 0, s17
	s_cmp_eq_u32 s0, 0
	s_cselect_b64 s[0:1], -1, 0
	s_and_b64 s[4:5], s[0:1], exec
	s_cselect_b32 s21, s17, s6
	s_add_i32 s21, s21, s22
	s_cmp_lt_u32 s21, s16
	s_cbranch_scc1 .LBB30_6
; %bb.2:
	s_and_b64 vcc, exec, s[18:19]
	s_cbranch_vccz .LBB30_7
; %bb.3:
	v_cmp_gt_u32_e32 vcc, s16, v4
	s_mov_b64 s[6:7], 0
	s_mov_b64 s[4:5], 0
                                        ; implicit-def: $vgpr0_vgpr1
	s_and_saveexec_b64 s[12:13], vcc
	s_cbranch_execz .LBB30_5
; %bb.4:
	v_mov_b32_e32 v5, 0
	v_lshlrev_b64 v[0:1], 3, v[4:5]
	v_mov_b32_e32 v5, s15
	v_add_co_u32_e32 v0, vcc, s14, v0
	s_mov_b64 s[4:5], exec
	v_addc_co_u32_e32 v1, vcc, v5, v1, vcc
	s_waitcnt vmcnt(0)
	global_store_byte v4, v6, s[10:11]
.LBB30_5:
	s_or_b64 exec, exec, s[12:13]
	s_and_b64 vcc, exec, s[6:7]
	s_cbranch_vccnz .LBB30_8
	s_branch .LBB30_9
.LBB30_6:
	s_mov_b64 s[4:5], 0
                                        ; implicit-def: $vgpr0_vgpr1
	s_cbranch_execnz .LBB30_10
	s_branch .LBB30_24
.LBB30_7:
	s_mov_b64 s[4:5], 0
                                        ; implicit-def: $vgpr0_vgpr1
	s_cbranch_execz .LBB30_9
.LBB30_8:
	v_mov_b32_e32 v5, 0
	v_lshlrev_b64 v[0:1], 3, v[4:5]
	v_mov_b32_e32 v5, s15
	v_add_co_u32_e32 v0, vcc, s14, v0
	v_addc_co_u32_e32 v1, vcc, v5, v1, vcc
	s_or_b64 s[4:5], s[4:5], exec
	s_waitcnt vmcnt(0)
	global_store_byte v4, v6, s[10:11]
.LBB30_9:
	s_branch .LBB30_24
.LBB30_10:
	s_min_u32 s12, s21, s16
	s_add_i32 s6, s12, s17
	s_min_u32 s13, s6, s16
	s_min_u32 s6, s22, s12
	s_add_i32 s22, s22, s12
	v_subrev_u32_e32 v0, s22, v4
	v_add_u32_e32 v4, s6, v0
	s_and_b64 vcc, exec, s[18:19]
	s_cbranch_vccz .LBB30_18
; %bb.11:
                                        ; implicit-def: $vgpr0_vgpr1
	s_and_saveexec_b64 s[6:7], s[2:3]
	s_cbranch_execz .LBB30_17
; %bb.12:
	s_cmp_ge_u32 s21, s13
	v_mov_b32_e32 v0, s12
	s_cbranch_scc1 .LBB30_16
; %bb.13:
	s_mov_b64 s[2:3], 0
	v_mov_b32_e32 v1, s13
	v_mov_b32_e32 v0, s12
.LBB30_14:                              ; =>This Inner Loop Header: Depth=1
	v_add_u32_e32 v5, v0, v1
	v_lshrrev_b32_e32 v5, 1, v5
	global_load_sbyte v7, v5, s[8:9]
	v_add_u32_e32 v8, 1, v5
	s_waitcnt vmcnt(0)
	v_cmp_gt_i16_e32 vcc, v7, v6
	v_cndmask_b32_e64 v9, 0, 1, vcc
	v_cmp_le_i16_e32 vcc, v6, v7
	v_cndmask_b32_e64 v7, 0, 1, vcc
	v_cndmask_b32_e64 v7, v7, v9, s[0:1]
	v_and_b32_e32 v7, 1, v7
	v_cmp_eq_u32_e32 vcc, 1, v7
	v_cndmask_b32_e32 v1, v5, v1, vcc
	v_cndmask_b32_e32 v0, v0, v8, vcc
	v_cmp_ge_u32_e32 vcc, v0, v1
	s_or_b64 s[2:3], vcc, s[2:3]
	s_andn2_b64 exec, exec, s[2:3]
	s_cbranch_execnz .LBB30_14
; %bb.15:
	s_or_b64 exec, exec, s[2:3]
.LBB30_16:
	v_add_u32_e32 v0, v0, v4
	v_mov_b32_e32 v1, 0
	s_waitcnt vmcnt(0)
	global_store_byte v0, v6, s[10:11]
	v_lshlrev_b64 v[0:1], 3, v[0:1]
	v_mov_b32_e32 v5, s15
	v_add_co_u32_e32 v0, vcc, s14, v0
	v_addc_co_u32_e32 v1, vcc, v5, v1, vcc
	s_or_b64 s[4:5], s[4:5], exec
.LBB30_17:
	s_or_b64 exec, exec, s[6:7]
	s_branch .LBB30_24
.LBB30_18:
                                        ; implicit-def: $vgpr0_vgpr1
	s_cbranch_execz .LBB30_24
; %bb.19:
	s_cmp_ge_u32 s21, s13
	v_mov_b32_e32 v0, s12
	s_cbranch_scc1 .LBB30_23
; %bb.20:
	s_mov_b64 s[2:3], 0
	v_mov_b32_e32 v1, s13
	v_mov_b32_e32 v0, s12
.LBB30_21:                              ; =>This Inner Loop Header: Depth=1
	v_add_u32_e32 v5, v0, v1
	v_lshrrev_b32_e32 v5, 1, v5
	global_load_sbyte v7, v5, s[8:9]
	v_add_u32_e32 v8, 1, v5
	s_waitcnt vmcnt(0)
	v_cmp_gt_i16_e32 vcc, v7, v6
	v_cndmask_b32_e64 v9, 0, 1, vcc
	v_cmp_le_i16_e32 vcc, v6, v7
	v_cndmask_b32_e64 v7, 0, 1, vcc
	v_cndmask_b32_e64 v7, v7, v9, s[0:1]
	v_and_b32_e32 v7, 1, v7
	v_cmp_eq_u32_e32 vcc, 1, v7
	v_cndmask_b32_e32 v1, v5, v1, vcc
	v_cndmask_b32_e32 v0, v0, v8, vcc
	v_cmp_ge_u32_e32 vcc, v0, v1
	s_or_b64 s[2:3], vcc, s[2:3]
	s_andn2_b64 exec, exec, s[2:3]
	s_cbranch_execnz .LBB30_21
; %bb.22:
	s_or_b64 exec, exec, s[2:3]
.LBB30_23:
	v_add_u32_e32 v0, v0, v4
	v_mov_b32_e32 v1, 0
	s_waitcnt vmcnt(0)
	global_store_byte v0, v6, s[10:11]
	v_lshlrev_b64 v[0:1], 3, v[0:1]
	v_mov_b32_e32 v4, s15
	v_add_co_u32_e32 v0, vcc, s14, v0
	v_addc_co_u32_e32 v1, vcc, v4, v1, vcc
	s_mov_b64 s[4:5], -1
.LBB30_24:
	s_and_b64 exec, exec, s[4:5]
	s_cbranch_execz .LBB30_26
; %bb.25:
	s_waitcnt vmcnt(1)
	global_store_dwordx2 v[0:1], v[2:3], off
.LBB30_26:
	s_endpgm
	.section	.rodata,"a",@progbits
	.p2align	6, 0x0
	.amdhsa_kernel _ZN7rocprim17ROCPRIM_304000_NS6detail33device_block_merge_oddeven_kernelINS1_37wrapped_merge_sort_block_merge_configINS0_14default_configEaN2at4cuda3cub6detail10OpaqueTypeILi8EEEEEPaSC_PSA_SD_jNS1_19radix_merge_compareILb1ELb0EaNS0_19identity_decomposerEEEEEvT0_T1_T2_T3_T4_SL_T5_
		.amdhsa_group_segment_fixed_size 0
		.amdhsa_private_segment_fixed_size 0
		.amdhsa_kernarg_size 44
		.amdhsa_user_sgpr_count 6
		.amdhsa_user_sgpr_private_segment_buffer 1
		.amdhsa_user_sgpr_dispatch_ptr 0
		.amdhsa_user_sgpr_queue_ptr 0
		.amdhsa_user_sgpr_kernarg_segment_ptr 1
		.amdhsa_user_sgpr_dispatch_id 0
		.amdhsa_user_sgpr_flat_scratch_init 0
		.amdhsa_user_sgpr_kernarg_preload_length 0
		.amdhsa_user_sgpr_kernarg_preload_offset 0
		.amdhsa_user_sgpr_private_segment_size 0
		.amdhsa_uses_dynamic_stack 0
		.amdhsa_system_sgpr_private_segment_wavefront_offset 0
		.amdhsa_system_sgpr_workgroup_id_x 1
		.amdhsa_system_sgpr_workgroup_id_y 0
		.amdhsa_system_sgpr_workgroup_id_z 0
		.amdhsa_system_sgpr_workgroup_info 0
		.amdhsa_system_vgpr_workitem_id 0
		.amdhsa_next_free_vgpr 10
		.amdhsa_next_free_sgpr 23
		.amdhsa_accum_offset 12
		.amdhsa_reserve_vcc 1
		.amdhsa_reserve_flat_scratch 0
		.amdhsa_float_round_mode_32 0
		.amdhsa_float_round_mode_16_64 0
		.amdhsa_float_denorm_mode_32 3
		.amdhsa_float_denorm_mode_16_64 3
		.amdhsa_dx10_clamp 1
		.amdhsa_ieee_mode 1
		.amdhsa_fp16_overflow 0
		.amdhsa_tg_split 0
		.amdhsa_exception_fp_ieee_invalid_op 0
		.amdhsa_exception_fp_denorm_src 0
		.amdhsa_exception_fp_ieee_div_zero 0
		.amdhsa_exception_fp_ieee_overflow 0
		.amdhsa_exception_fp_ieee_underflow 0
		.amdhsa_exception_fp_ieee_inexact 0
		.amdhsa_exception_int_div_zero 0
	.end_amdhsa_kernel
	.section	.text._ZN7rocprim17ROCPRIM_304000_NS6detail33device_block_merge_oddeven_kernelINS1_37wrapped_merge_sort_block_merge_configINS0_14default_configEaN2at4cuda3cub6detail10OpaqueTypeILi8EEEEEPaSC_PSA_SD_jNS1_19radix_merge_compareILb1ELb0EaNS0_19identity_decomposerEEEEEvT0_T1_T2_T3_T4_SL_T5_,"axG",@progbits,_ZN7rocprim17ROCPRIM_304000_NS6detail33device_block_merge_oddeven_kernelINS1_37wrapped_merge_sort_block_merge_configINS0_14default_configEaN2at4cuda3cub6detail10OpaqueTypeILi8EEEEEPaSC_PSA_SD_jNS1_19radix_merge_compareILb1ELb0EaNS0_19identity_decomposerEEEEEvT0_T1_T2_T3_T4_SL_T5_,comdat
.Lfunc_end30:
	.size	_ZN7rocprim17ROCPRIM_304000_NS6detail33device_block_merge_oddeven_kernelINS1_37wrapped_merge_sort_block_merge_configINS0_14default_configEaN2at4cuda3cub6detail10OpaqueTypeILi8EEEEEPaSC_PSA_SD_jNS1_19radix_merge_compareILb1ELb0EaNS0_19identity_decomposerEEEEEvT0_T1_T2_T3_T4_SL_T5_, .Lfunc_end30-_ZN7rocprim17ROCPRIM_304000_NS6detail33device_block_merge_oddeven_kernelINS1_37wrapped_merge_sort_block_merge_configINS0_14default_configEaN2at4cuda3cub6detail10OpaqueTypeILi8EEEEEPaSC_PSA_SD_jNS1_19radix_merge_compareILb1ELb0EaNS0_19identity_decomposerEEEEEvT0_T1_T2_T3_T4_SL_T5_
                                        ; -- End function
	.section	.AMDGPU.csdata,"",@progbits
; Kernel info:
; codeLenInByte = 720
; NumSgprs: 27
; NumVgprs: 10
; NumAgprs: 0
; TotalNumVgprs: 10
; ScratchSize: 0
; MemoryBound: 0
; FloatMode: 240
; IeeeMode: 1
; LDSByteSize: 0 bytes/workgroup (compile time only)
; SGPRBlocks: 3
; VGPRBlocks: 1
; NumSGPRsForWavesPerEU: 27
; NumVGPRsForWavesPerEU: 10
; AccumOffset: 12
; Occupancy: 8
; WaveLimiterHint : 0
; COMPUTE_PGM_RSRC2:SCRATCH_EN: 0
; COMPUTE_PGM_RSRC2:USER_SGPR: 6
; COMPUTE_PGM_RSRC2:TRAP_HANDLER: 0
; COMPUTE_PGM_RSRC2:TGID_X_EN: 1
; COMPUTE_PGM_RSRC2:TGID_Y_EN: 0
; COMPUTE_PGM_RSRC2:TGID_Z_EN: 0
; COMPUTE_PGM_RSRC2:TIDIG_COMP_CNT: 0
; COMPUTE_PGM_RSRC3_GFX90A:ACCUM_OFFSET: 2
; COMPUTE_PGM_RSRC3_GFX90A:TG_SPLIT: 0
	.section	.text._ZN7rocprim17ROCPRIM_304000_NS6detail16transform_kernelINS1_24wrapped_transform_configINS0_14default_configEaEEaPaS6_NS0_8identityIaEEEEvT1_mT2_T3_,"axG",@progbits,_ZN7rocprim17ROCPRIM_304000_NS6detail16transform_kernelINS1_24wrapped_transform_configINS0_14default_configEaEEaPaS6_NS0_8identityIaEEEEvT1_mT2_T3_,comdat
	.protected	_ZN7rocprim17ROCPRIM_304000_NS6detail16transform_kernelINS1_24wrapped_transform_configINS0_14default_configEaEEaPaS6_NS0_8identityIaEEEEvT1_mT2_T3_ ; -- Begin function _ZN7rocprim17ROCPRIM_304000_NS6detail16transform_kernelINS1_24wrapped_transform_configINS0_14default_configEaEEaPaS6_NS0_8identityIaEEEEvT1_mT2_T3_
	.globl	_ZN7rocprim17ROCPRIM_304000_NS6detail16transform_kernelINS1_24wrapped_transform_configINS0_14default_configEaEEaPaS6_NS0_8identityIaEEEEvT1_mT2_T3_
	.p2align	8
	.type	_ZN7rocprim17ROCPRIM_304000_NS6detail16transform_kernelINS1_24wrapped_transform_configINS0_14default_configEaEEaPaS6_NS0_8identityIaEEEEvT1_mT2_T3_,@function
_ZN7rocprim17ROCPRIM_304000_NS6detail16transform_kernelINS1_24wrapped_transform_configINS0_14default_configEaEEaPaS6_NS0_8identityIaEEEEvT1_mT2_T3_: ; @_ZN7rocprim17ROCPRIM_304000_NS6detail16transform_kernelINS1_24wrapped_transform_configINS0_14default_configEaEEaPaS6_NS0_8identityIaEEEEvT1_mT2_T3_
; %bb.0:
	s_load_dword s7, s[4:5], 0x20
	s_load_dwordx4 s[0:3], s[4:5], 0x0
	s_load_dwordx2 s[34:35], s[4:5], 0x10
	s_lshl_b32 s33, s6, 10
	s_waitcnt lgkmcnt(0)
	s_add_i32 s7, s7, -1
	s_add_u32 s0, s0, s33
	s_addc_u32 s1, s1, 0
	v_mov_b32_e32 v1, s1
	v_add_co_u32_e32 v2, vcc, s0, v0
	s_cmp_lg_u32 s6, s7
	v_addc_co_u32_e32 v3, vcc, 0, v1, vcc
	s_cbranch_scc0 .LBB31_2
; %bb.1:
	global_load_ubyte v1, v[2:3], off
	global_load_ubyte v5, v[2:3], off offset:64
	global_load_ubyte v8, v[2:3], off offset:128
	;; [unrolled: 1-line block ×15, first 2 shown]
	s_add_u32 s3, s34, s33
	s_addc_u32 s4, s35, 0
	v_mov_b32_e32 v7, s4
	v_add_co_u32_e32 v6, vcc, s3, v0
	v_addc_co_u32_e32 v7, vcc, 0, v7, vcc
	s_mov_b64 s[36:37], -1
	s_waitcnt vmcnt(15)
	global_store_byte v[6:7], v1, off
	s_waitcnt vmcnt(15)
	global_store_byte v[6:7], v5, off offset:64
	s_waitcnt vmcnt(15)
	global_store_byte v[6:7], v8, off offset:128
	;; [unrolled: 2-line block ×14, first 2 shown]
	s_cbranch_execz .LBB31_3
	s_branch .LBB31_68
.LBB31_2:
	s_mov_b64 s[36:37], 0
                                        ; implicit-def: $vgpr4
.LBB31_3:
	s_sub_i32 s30, s2, s33
	v_cmp_gt_u32_e32 vcc, s30, v0
                                        ; implicit-def: $vgpr1
	s_and_saveexec_b64 s[0:1], vcc
	s_cbranch_execz .LBB31_5
; %bb.4:
	global_load_ubyte v1, v[2:3], off
.LBB31_5:
	s_or_b64 exec, exec, s[0:1]
	s_waitcnt vmcnt(15)
	v_or_b32_e32 v4, 64, v0
	v_cmp_gt_u32_e64 s[0:1], s30, v4
                                        ; implicit-def: $vgpr4
	s_and_saveexec_b64 s[2:3], s[0:1]
	s_cbranch_execz .LBB31_7
; %bb.6:
	global_load_ubyte v4, v[2:3], off offset:64
.LBB31_7:
	s_or_b64 exec, exec, s[2:3]
	v_or_b32_e32 v5, 0x80, v0
	v_cmp_gt_u32_e64 s[2:3], s30, v5
                                        ; implicit-def: $vgpr5
	s_and_saveexec_b64 s[4:5], s[2:3]
	s_cbranch_execz .LBB31_9
; %bb.8:
	global_load_ubyte v5, v[2:3], off offset:128
.LBB31_9:
	s_or_b64 exec, exec, s[4:5]
	v_or_b32_e32 v6, 0xc0, v0
	v_cmp_gt_u32_e64 s[4:5], s30, v6
                                        ; implicit-def: $vgpr6
	s_and_saveexec_b64 s[6:7], s[4:5]
	s_cbranch_execz .LBB31_11
; %bb.10:
	global_load_ubyte v6, v[2:3], off offset:192
.LBB31_11:
	s_or_b64 exec, exec, s[6:7]
	v_or_b32_e32 v7, 0x100, v0
	v_cmp_gt_u32_e64 s[6:7], s30, v7
                                        ; implicit-def: $vgpr7
	s_and_saveexec_b64 s[8:9], s[6:7]
	s_cbranch_execz .LBB31_13
; %bb.12:
	global_load_ubyte v7, v[2:3], off offset:256
.LBB31_13:
	s_or_b64 exec, exec, s[8:9]
	v_or_b32_e32 v8, 0x140, v0
	v_cmp_gt_u32_e64 s[8:9], s30, v8
                                        ; implicit-def: $vgpr8
	s_and_saveexec_b64 s[10:11], s[8:9]
	s_cbranch_execz .LBB31_15
; %bb.14:
	global_load_ubyte v8, v[2:3], off offset:320
.LBB31_15:
	s_or_b64 exec, exec, s[10:11]
	v_or_b32_e32 v9, 0x180, v0
	v_cmp_gt_u32_e64 s[10:11], s30, v9
                                        ; implicit-def: $vgpr9
	s_and_saveexec_b64 s[12:13], s[10:11]
	s_cbranch_execz .LBB31_17
; %bb.16:
	global_load_ubyte v9, v[2:3], off offset:384
.LBB31_17:
	s_or_b64 exec, exec, s[12:13]
	v_or_b32_e32 v10, 0x1c0, v0
	v_cmp_gt_u32_e64 s[12:13], s30, v10
                                        ; implicit-def: $vgpr10
	s_and_saveexec_b64 s[14:15], s[12:13]
	s_cbranch_execz .LBB31_19
; %bb.18:
	global_load_ubyte v10, v[2:3], off offset:448
.LBB31_19:
	s_or_b64 exec, exec, s[14:15]
	v_or_b32_e32 v11, 0x200, v0
	v_cmp_gt_u32_e64 s[14:15], s30, v11
                                        ; implicit-def: $vgpr11
	s_and_saveexec_b64 s[16:17], s[14:15]
	s_cbranch_execz .LBB31_21
; %bb.20:
	global_load_ubyte v11, v[2:3], off offset:512
.LBB31_21:
	s_or_b64 exec, exec, s[16:17]
	v_or_b32_e32 v12, 0x240, v0
	v_cmp_gt_u32_e64 s[16:17], s30, v12
                                        ; implicit-def: $vgpr12
	s_and_saveexec_b64 s[18:19], s[16:17]
	s_cbranch_execz .LBB31_23
; %bb.22:
	global_load_ubyte v12, v[2:3], off offset:576
.LBB31_23:
	s_or_b64 exec, exec, s[18:19]
	v_or_b32_e32 v13, 0x280, v0
	v_cmp_gt_u32_e64 s[18:19], s30, v13
                                        ; implicit-def: $vgpr13
	s_and_saveexec_b64 s[20:21], s[18:19]
	s_cbranch_execz .LBB31_25
; %bb.24:
	global_load_ubyte v13, v[2:3], off offset:640
.LBB31_25:
	s_or_b64 exec, exec, s[20:21]
	v_or_b32_e32 v14, 0x2c0, v0
	v_cmp_gt_u32_e64 s[20:21], s30, v14
                                        ; implicit-def: $vgpr14
	s_and_saveexec_b64 s[22:23], s[20:21]
	s_cbranch_execz .LBB31_27
; %bb.26:
	global_load_ubyte v14, v[2:3], off offset:704
.LBB31_27:
	s_or_b64 exec, exec, s[22:23]
	v_or_b32_e32 v15, 0x300, v0
	v_cmp_gt_u32_e64 s[22:23], s30, v15
                                        ; implicit-def: $vgpr15
	s_and_saveexec_b64 s[24:25], s[22:23]
	s_cbranch_execz .LBB31_29
; %bb.28:
	global_load_ubyte v15, v[2:3], off offset:768
.LBB31_29:
	s_or_b64 exec, exec, s[24:25]
	v_or_b32_e32 v16, 0x340, v0
	v_cmp_gt_u32_e64 s[24:25], s30, v16
                                        ; implicit-def: $vgpr16
	s_and_saveexec_b64 s[26:27], s[24:25]
	s_cbranch_execz .LBB31_31
; %bb.30:
	global_load_ubyte v16, v[2:3], off offset:832
.LBB31_31:
	s_or_b64 exec, exec, s[26:27]
	v_or_b32_e32 v17, 0x380, v0
	v_cmp_gt_u32_e64 s[26:27], s30, v17
                                        ; implicit-def: $vgpr17
	s_and_saveexec_b64 s[28:29], s[26:27]
	s_cbranch_execz .LBB31_33
; %bb.32:
	global_load_ubyte v17, v[2:3], off offset:896
.LBB31_33:
	s_or_b64 exec, exec, s[28:29]
	v_or_b32_e32 v18, 0x3c0, v0
	v_cmp_gt_u32_e64 s[28:29], s30, v18
                                        ; implicit-def: $vgpr18
	s_and_saveexec_b64 s[30:31], s[28:29]
	s_cbranch_execz .LBB31_35
; %bb.34:
	global_load_ubyte v18, v[2:3], off offset:960
.LBB31_35:
	s_or_b64 exec, exec, s[30:31]
	s_waitcnt vmcnt(0)
	v_lshlrev_b16_e32 v2, 8, v4
	v_or_b32_sdwa v1, v1, v2 dst_sel:DWORD dst_unused:UNUSED_PAD src0_sel:BYTE_0 src1_sel:DWORD
	v_lshlrev_b16_e32 v2, 8, v6
	v_or_b32_sdwa v2, v5, v2 dst_sel:WORD_1 dst_unused:UNUSED_PAD src0_sel:BYTE_0 src1_sel:DWORD
	v_or_b32_sdwa v6, v1, v2 dst_sel:DWORD dst_unused:UNUSED_PAD src0_sel:WORD_0 src1_sel:DWORD
	v_lshlrev_b16_e32 v1, 8, v8
	v_lshlrev_b16_e32 v2, 8, v10
	v_or_b32_sdwa v1, v7, v1 dst_sel:DWORD dst_unused:UNUSED_PAD src0_sel:BYTE_0 src1_sel:DWORD
	v_or_b32_sdwa v2, v9, v2 dst_sel:WORD_1 dst_unused:UNUSED_PAD src0_sel:BYTE_0 src1_sel:DWORD
	v_or_b32_sdwa v5, v1, v2 dst_sel:DWORD dst_unused:UNUSED_PAD src0_sel:WORD_0 src1_sel:DWORD
	v_lshlrev_b16_e32 v1, 8, v12
	v_lshlrev_b16_e32 v2, 8, v14
	v_or_b32_sdwa v1, v11, v1 dst_sel:DWORD dst_unused:UNUSED_PAD src0_sel:BYTE_0 src1_sel:DWORD
	v_or_b32_sdwa v2, v13, v2 dst_sel:WORD_1 dst_unused:UNUSED_PAD src0_sel:BYTE_0 src1_sel:DWORD
	v_or_b32_sdwa v4, v1, v2 dst_sel:DWORD dst_unused:UNUSED_PAD src0_sel:WORD_0 src1_sel:DWORD
	v_lshlrev_b16_e32 v1, 8, v16
	v_lshlrev_b16_e32 v2, 8, v18
	s_add_u32 s30, s34, s33
	v_or_b32_sdwa v1, v15, v1 dst_sel:DWORD dst_unused:UNUSED_PAD src0_sel:BYTE_0 src1_sel:DWORD
	v_or_b32_sdwa v2, v17, v2 dst_sel:WORD_1 dst_unused:UNUSED_PAD src0_sel:BYTE_0 src1_sel:DWORD
	s_addc_u32 s31, s35, 0
	v_or_b32_sdwa v1, v1, v2 dst_sel:DWORD dst_unused:UNUSED_PAD src0_sel:WORD_0 src1_sel:DWORD
	v_mov_b32_e32 v3, s31
	v_add_co_u32_e64 v2, s[30:31], s30, v0
	v_addc_co_u32_e64 v3, s[30:31], 0, v3, s[30:31]
	s_and_saveexec_b64 s[30:31], vcc
	s_cbranch_execz .LBB31_37
; %bb.36:
	global_store_byte v[2:3], v6, off
.LBB31_37:
	s_or_b64 exec, exec, s[30:31]
	s_and_saveexec_b64 s[30:31], s[0:1]
	s_cbranch_execz .LBB31_39
; %bb.38:
	v_lshrrev_b32_e32 v7, 8, v6
	global_store_byte v[2:3], v7, off offset:64
.LBB31_39:
	s_or_b64 exec, exec, s[30:31]
	s_mov_b32 s0, 0x7060104
	v_perm_b32 v7, v6, v6, s0
	v_cndmask_b32_e64 v8, v7, v6, s[2:3]
	s_and_saveexec_b64 s[0:1], s[2:3]
	s_cbranch_execz .LBB31_41
; %bb.40:
	global_store_byte_d16_hi v[2:3], v8, off offset:128
.LBB31_41:
	s_or_b64 exec, exec, s[0:1]
	s_mov_b32 s0, 0x7020504
	v_perm_b32 v7, v7, v8, s0
	v_cndmask_b32_e64 v6, v7, v6, s[4:5]
	s_and_saveexec_b64 s[0:1], s[4:5]
	s_cbranch_execz .LBB31_43
; %bb.42:
	v_lshrrev_b32_e32 v6, 24, v6
	global_store_byte v[2:3], v6, off offset:192
.LBB31_43:
	s_or_b64 exec, exec, s[0:1]
	s_and_saveexec_b64 s[0:1], s[6:7]
	s_cbranch_execz .LBB31_45
; %bb.44:
	global_store_byte v[2:3], v5, off offset:256
.LBB31_45:
	s_or_b64 exec, exec, s[0:1]
	s_mov_b32 s0, 0x3020104
	v_perm_b32 v6, v5, v5, s0
	v_cndmask_b32_e64 v7, v6, v5, s[8:9]
	s_and_saveexec_b64 s[0:1], s[8:9]
	s_cbranch_execz .LBB31_47
; %bb.46:
	v_lshrrev_b32_e32 v8, 8, v7
	global_store_byte v[2:3], v8, off offset:320
.LBB31_47:
	s_or_b64 exec, exec, s[0:1]
	s_mov_b32 s0, 0x7060104
	v_perm_b32 v6, v6, v7, s0
	v_cndmask_b32_e64 v7, v6, v5, s[10:11]
	s_and_saveexec_b64 s[0:1], s[10:11]
	s_cbranch_execz .LBB31_49
; %bb.48:
	global_store_byte_d16_hi v[2:3], v7, off offset:384
.LBB31_49:
	s_or_b64 exec, exec, s[0:1]
	s_mov_b32 s0, 0x7020504
	v_perm_b32 v6, v6, v7, s0
	v_cndmask_b32_e64 v5, v6, v5, s[12:13]
	s_and_saveexec_b64 s[0:1], s[12:13]
	s_cbranch_execz .LBB31_51
; %bb.50:
	v_lshrrev_b32_e32 v5, 24, v5
	global_store_byte v[2:3], v5, off offset:448
.LBB31_51:
	s_or_b64 exec, exec, s[0:1]
	s_and_saveexec_b64 s[0:1], s[14:15]
	s_cbranch_execz .LBB31_53
; %bb.52:
	global_store_byte v[2:3], v4, off offset:512
.LBB31_53:
	s_or_b64 exec, exec, s[0:1]
	s_mov_b32 s0, 0x3020104
	v_perm_b32 v5, v4, v4, s0
	v_cndmask_b32_e64 v6, v5, v4, s[16:17]
	;; [unrolled: 35-line block ×3, first 2 shown]
	s_and_saveexec_b64 s[0:1], s[24:25]
	s_cbranch_execz .LBB31_63
; %bb.62:
	v_lshrrev_b32_e32 v6, 8, v5
	global_store_byte v[2:3], v6, off offset:832
.LBB31_63:
	s_or_b64 exec, exec, s[0:1]
	s_mov_b32 s0, 0x7060104
	v_perm_b32 v5, v4, v5, s0
	s_and_saveexec_b64 s[0:1], s[26:27]
	s_cbranch_execz .LBB31_65
; %bb.64:
	v_cndmask_b32_e64 v4, v5, v1, s[26:27]
	global_store_byte_d16_hi v[2:3], v4, off offset:896
.LBB31_65:
	s_or_b64 exec, exec, s[0:1]
                                        ; implicit-def: $vgpr4
	s_and_saveexec_b64 s[0:1], s[28:29]
; %bb.66:
	v_cndmask_b32_e64 v1, v5, v1, s[28:29]
	v_lshrrev_b32_e32 v4, 24, v1
	s_or_b64 s[36:37], s[36:37], exec
; %bb.67:
	s_or_b64 exec, exec, s[0:1]
.LBB31_68:
	s_and_saveexec_b64 s[0:1], s[36:37]
	s_cbranch_execnz .LBB31_70
; %bb.69:
	s_endpgm
.LBB31_70:
	s_add_u32 s0, s34, s33
	s_addc_u32 s1, s35, 0
	v_mov_b32_e32 v1, s1
	v_add_co_u32_e32 v0, vcc, s0, v0
	v_addc_co_u32_e32 v1, vcc, 0, v1, vcc
	s_waitcnt vmcnt(15)
	global_store_byte v[0:1], v4, off offset:960
	s_endpgm
	.section	.rodata,"a",@progbits
	.p2align	6, 0x0
	.amdhsa_kernel _ZN7rocprim17ROCPRIM_304000_NS6detail16transform_kernelINS1_24wrapped_transform_configINS0_14default_configEaEEaPaS6_NS0_8identityIaEEEEvT1_mT2_T3_
		.amdhsa_group_segment_fixed_size 0
		.amdhsa_private_segment_fixed_size 0
		.amdhsa_kernarg_size 288
		.amdhsa_user_sgpr_count 6
		.amdhsa_user_sgpr_private_segment_buffer 1
		.amdhsa_user_sgpr_dispatch_ptr 0
		.amdhsa_user_sgpr_queue_ptr 0
		.amdhsa_user_sgpr_kernarg_segment_ptr 1
		.amdhsa_user_sgpr_dispatch_id 0
		.amdhsa_user_sgpr_flat_scratch_init 0
		.amdhsa_user_sgpr_kernarg_preload_length 0
		.amdhsa_user_sgpr_kernarg_preload_offset 0
		.amdhsa_user_sgpr_private_segment_size 0
		.amdhsa_uses_dynamic_stack 0
		.amdhsa_system_sgpr_private_segment_wavefront_offset 0
		.amdhsa_system_sgpr_workgroup_id_x 1
		.amdhsa_system_sgpr_workgroup_id_y 0
		.amdhsa_system_sgpr_workgroup_id_z 0
		.amdhsa_system_sgpr_workgroup_info 0
		.amdhsa_system_vgpr_workitem_id 0
		.amdhsa_next_free_vgpr 21
		.amdhsa_next_free_sgpr 38
		.amdhsa_accum_offset 24
		.amdhsa_reserve_vcc 1
		.amdhsa_reserve_flat_scratch 0
		.amdhsa_float_round_mode_32 0
		.amdhsa_float_round_mode_16_64 0
		.amdhsa_float_denorm_mode_32 3
		.amdhsa_float_denorm_mode_16_64 3
		.amdhsa_dx10_clamp 1
		.amdhsa_ieee_mode 1
		.amdhsa_fp16_overflow 0
		.amdhsa_tg_split 0
		.amdhsa_exception_fp_ieee_invalid_op 0
		.amdhsa_exception_fp_denorm_src 0
		.amdhsa_exception_fp_ieee_div_zero 0
		.amdhsa_exception_fp_ieee_overflow 0
		.amdhsa_exception_fp_ieee_underflow 0
		.amdhsa_exception_fp_ieee_inexact 0
		.amdhsa_exception_int_div_zero 0
	.end_amdhsa_kernel
	.section	.text._ZN7rocprim17ROCPRIM_304000_NS6detail16transform_kernelINS1_24wrapped_transform_configINS0_14default_configEaEEaPaS6_NS0_8identityIaEEEEvT1_mT2_T3_,"axG",@progbits,_ZN7rocprim17ROCPRIM_304000_NS6detail16transform_kernelINS1_24wrapped_transform_configINS0_14default_configEaEEaPaS6_NS0_8identityIaEEEEvT1_mT2_T3_,comdat
.Lfunc_end31:
	.size	_ZN7rocprim17ROCPRIM_304000_NS6detail16transform_kernelINS1_24wrapped_transform_configINS0_14default_configEaEEaPaS6_NS0_8identityIaEEEEvT1_mT2_T3_, .Lfunc_end31-_ZN7rocprim17ROCPRIM_304000_NS6detail16transform_kernelINS1_24wrapped_transform_configINS0_14default_configEaEEaPaS6_NS0_8identityIaEEEEvT1_mT2_T3_
                                        ; -- End function
	.section	.AMDGPU.csdata,"",@progbits
; Kernel info:
; codeLenInByte = 1776
; NumSgprs: 42
; NumVgprs: 21
; NumAgprs: 0
; TotalNumVgprs: 21
; ScratchSize: 0
; MemoryBound: 0
; FloatMode: 240
; IeeeMode: 1
; LDSByteSize: 0 bytes/workgroup (compile time only)
; SGPRBlocks: 5
; VGPRBlocks: 2
; NumSGPRsForWavesPerEU: 42
; NumVGPRsForWavesPerEU: 21
; AccumOffset: 24
; Occupancy: 8
; WaveLimiterHint : 0
; COMPUTE_PGM_RSRC2:SCRATCH_EN: 0
; COMPUTE_PGM_RSRC2:USER_SGPR: 6
; COMPUTE_PGM_RSRC2:TRAP_HANDLER: 0
; COMPUTE_PGM_RSRC2:TGID_X_EN: 1
; COMPUTE_PGM_RSRC2:TGID_Y_EN: 0
; COMPUTE_PGM_RSRC2:TGID_Z_EN: 0
; COMPUTE_PGM_RSRC2:TIDIG_COMP_CNT: 0
; COMPUTE_PGM_RSRC3_GFX90A:ACCUM_OFFSET: 5
; COMPUTE_PGM_RSRC3_GFX90A:TG_SPLIT: 0
	.section	.text._ZN7rocprim17ROCPRIM_304000_NS6detail45device_block_merge_mergepath_partition_kernelINS1_37wrapped_merge_sort_block_merge_configINS0_14default_configEaN2at4cuda3cub6detail10OpaqueTypeILi8EEEEEPajNS1_19radix_merge_compareILb1ELb1EaNS0_19identity_decomposerEEEEEvT0_T1_jPSH_T2_SH_,"axG",@progbits,_ZN7rocprim17ROCPRIM_304000_NS6detail45device_block_merge_mergepath_partition_kernelINS1_37wrapped_merge_sort_block_merge_configINS0_14default_configEaN2at4cuda3cub6detail10OpaqueTypeILi8EEEEEPajNS1_19radix_merge_compareILb1ELb1EaNS0_19identity_decomposerEEEEEvT0_T1_jPSH_T2_SH_,comdat
	.protected	_ZN7rocprim17ROCPRIM_304000_NS6detail45device_block_merge_mergepath_partition_kernelINS1_37wrapped_merge_sort_block_merge_configINS0_14default_configEaN2at4cuda3cub6detail10OpaqueTypeILi8EEEEEPajNS1_19radix_merge_compareILb1ELb1EaNS0_19identity_decomposerEEEEEvT0_T1_jPSH_T2_SH_ ; -- Begin function _ZN7rocprim17ROCPRIM_304000_NS6detail45device_block_merge_mergepath_partition_kernelINS1_37wrapped_merge_sort_block_merge_configINS0_14default_configEaN2at4cuda3cub6detail10OpaqueTypeILi8EEEEEPajNS1_19radix_merge_compareILb1ELb1EaNS0_19identity_decomposerEEEEEvT0_T1_jPSH_T2_SH_
	.globl	_ZN7rocprim17ROCPRIM_304000_NS6detail45device_block_merge_mergepath_partition_kernelINS1_37wrapped_merge_sort_block_merge_configINS0_14default_configEaN2at4cuda3cub6detail10OpaqueTypeILi8EEEEEPajNS1_19radix_merge_compareILb1ELb1EaNS0_19identity_decomposerEEEEEvT0_T1_jPSH_T2_SH_
	.p2align	8
	.type	_ZN7rocprim17ROCPRIM_304000_NS6detail45device_block_merge_mergepath_partition_kernelINS1_37wrapped_merge_sort_block_merge_configINS0_14default_configEaN2at4cuda3cub6detail10OpaqueTypeILi8EEEEEPajNS1_19radix_merge_compareILb1ELb1EaNS0_19identity_decomposerEEEEEvT0_T1_jPSH_T2_SH_,@function
_ZN7rocprim17ROCPRIM_304000_NS6detail45device_block_merge_mergepath_partition_kernelINS1_37wrapped_merge_sort_block_merge_configINS0_14default_configEaN2at4cuda3cub6detail10OpaqueTypeILi8EEEEEPajNS1_19radix_merge_compareILb1ELb1EaNS0_19identity_decomposerEEEEEvT0_T1_jPSH_T2_SH_: ; @_ZN7rocprim17ROCPRIM_304000_NS6detail45device_block_merge_mergepath_partition_kernelINS1_37wrapped_merge_sort_block_merge_configINS0_14default_configEaN2at4cuda3cub6detail10OpaqueTypeILi8EEEEEPajNS1_19radix_merge_compareILb1ELb1EaNS0_19identity_decomposerEEEEEvT0_T1_jPSH_T2_SH_
; %bb.0:
	s_load_dwordx2 s[2:3], s[4:5], 0x8
	v_lshl_or_b32 v0, s6, 7, v0
	s_waitcnt lgkmcnt(0)
	v_cmp_gt_u32_e32 vcc, s3, v0
	s_and_saveexec_b64 s[0:1], vcc
	s_cbranch_execz .LBB32_6
; %bb.1:
	s_load_dwordx2 s[0:1], s[4:5], 0x18
	s_waitcnt lgkmcnt(0)
	s_lshr_b32 s3, s1, 9
	s_and_b32 s3, s3, 0x7ffffe
	s_add_i32 s6, s3, -1
	s_sub_i32 s3, 0, s3
	v_and_b32_e32 v1, s3, v0
	v_lshlrev_b32_e32 v3, 10, v1
	v_min_u32_e32 v1, s2, v3
	v_add_u32_e32 v3, s1, v3
	v_min_u32_e32 v7, s2, v3
	v_add_u32_e32 v3, s1, v7
	v_and_b32_e32 v2, s6, v0
	v_min_u32_e32 v4, s2, v3
	v_lshlrev_b32_e32 v2, 10, v2
	v_sub_u32_e32 v3, v4, v1
	v_min_u32_e32 v3, v3, v2
	v_sub_u32_e32 v5, v7, v1
	v_sub_u32_e32 v2, v4, v7
	v_sub_u32_e64 v2, v3, v2 clamp
	v_min_u32_e32 v4, v3, v5
	v_cmp_lt_u32_e32 vcc, v2, v4
	s_and_saveexec_b64 s[2:3], vcc
	s_cbranch_execz .LBB32_5
; %bb.2:
	s_load_dwordx2 s[6:7], s[4:5], 0x0
	s_waitcnt lgkmcnt(0)
	v_mov_b32_e32 v8, s7
	v_add_co_u32_e32 v5, vcc, s6, v1
	v_addc_co_u32_e32 v6, vcc, 0, v8, vcc
	v_add_co_u32_e32 v7, vcc, s6, v7
	v_addc_co_u32_e32 v8, vcc, 0, v8, vcc
	s_mov_b64 s[6:7], 0
.LBB32_3:                               ; =>This Inner Loop Header: Depth=1
	v_add_u32_e32 v9, v4, v2
	v_lshrrev_b32_e32 v9, 1, v9
	v_add_co_u32_e32 v10, vcc, v5, v9
	v_xad_u32 v12, v9, -1, v3
	v_addc_co_u32_e32 v11, vcc, 0, v6, vcc
	v_add_co_u32_e32 v12, vcc, v7, v12
	v_addc_co_u32_e32 v13, vcc, 0, v8, vcc
	global_load_ubyte v14, v[10:11], off
	global_load_ubyte v15, v[12:13], off
	v_add_u32_e32 v10, 1, v9
	s_waitcnt vmcnt(1)
	v_and_b32_e32 v11, s0, v14
	s_waitcnt vmcnt(0)
	v_and_b32_e32 v12, s0, v15
	v_cmp_gt_i16_sdwa vcc, sext(v12), sext(v11) src0_sel:BYTE_0 src1_sel:BYTE_0
	v_cndmask_b32_e32 v4, v4, v9, vcc
	v_cndmask_b32_e32 v2, v10, v2, vcc
	v_cmp_ge_u32_e32 vcc, v2, v4
	s_or_b64 s[6:7], vcc, s[6:7]
	s_andn2_b64 exec, exec, s[6:7]
	s_cbranch_execnz .LBB32_3
; %bb.4:
	s_or_b64 exec, exec, s[6:7]
.LBB32_5:
	s_or_b64 exec, exec, s[2:3]
	s_load_dwordx2 s[0:1], s[4:5], 0x10
	v_add_u32_e32 v2, v2, v1
	v_mov_b32_e32 v1, 0
	v_lshlrev_b64 v[0:1], 2, v[0:1]
	s_waitcnt lgkmcnt(0)
	v_mov_b32_e32 v3, s1
	v_add_co_u32_e32 v0, vcc, s0, v0
	v_addc_co_u32_e32 v1, vcc, v3, v1, vcc
	global_store_dword v[0:1], v2, off
.LBB32_6:
	s_endpgm
	.section	.rodata,"a",@progbits
	.p2align	6, 0x0
	.amdhsa_kernel _ZN7rocprim17ROCPRIM_304000_NS6detail45device_block_merge_mergepath_partition_kernelINS1_37wrapped_merge_sort_block_merge_configINS0_14default_configEaN2at4cuda3cub6detail10OpaqueTypeILi8EEEEEPajNS1_19radix_merge_compareILb1ELb1EaNS0_19identity_decomposerEEEEEvT0_T1_jPSH_T2_SH_
		.amdhsa_group_segment_fixed_size 0
		.amdhsa_private_segment_fixed_size 0
		.amdhsa_kernarg_size 32
		.amdhsa_user_sgpr_count 6
		.amdhsa_user_sgpr_private_segment_buffer 1
		.amdhsa_user_sgpr_dispatch_ptr 0
		.amdhsa_user_sgpr_queue_ptr 0
		.amdhsa_user_sgpr_kernarg_segment_ptr 1
		.amdhsa_user_sgpr_dispatch_id 0
		.amdhsa_user_sgpr_flat_scratch_init 0
		.amdhsa_user_sgpr_kernarg_preload_length 0
		.amdhsa_user_sgpr_kernarg_preload_offset 0
		.amdhsa_user_sgpr_private_segment_size 0
		.amdhsa_uses_dynamic_stack 0
		.amdhsa_system_sgpr_private_segment_wavefront_offset 0
		.amdhsa_system_sgpr_workgroup_id_x 1
		.amdhsa_system_sgpr_workgroup_id_y 0
		.amdhsa_system_sgpr_workgroup_id_z 0
		.amdhsa_system_sgpr_workgroup_info 0
		.amdhsa_system_vgpr_workitem_id 0
		.amdhsa_next_free_vgpr 16
		.amdhsa_next_free_sgpr 8
		.amdhsa_accum_offset 16
		.amdhsa_reserve_vcc 1
		.amdhsa_reserve_flat_scratch 0
		.amdhsa_float_round_mode_32 0
		.amdhsa_float_round_mode_16_64 0
		.amdhsa_float_denorm_mode_32 3
		.amdhsa_float_denorm_mode_16_64 3
		.amdhsa_dx10_clamp 1
		.amdhsa_ieee_mode 1
		.amdhsa_fp16_overflow 0
		.amdhsa_tg_split 0
		.amdhsa_exception_fp_ieee_invalid_op 0
		.amdhsa_exception_fp_denorm_src 0
		.amdhsa_exception_fp_ieee_div_zero 0
		.amdhsa_exception_fp_ieee_overflow 0
		.amdhsa_exception_fp_ieee_underflow 0
		.amdhsa_exception_fp_ieee_inexact 0
		.amdhsa_exception_int_div_zero 0
	.end_amdhsa_kernel
	.section	.text._ZN7rocprim17ROCPRIM_304000_NS6detail45device_block_merge_mergepath_partition_kernelINS1_37wrapped_merge_sort_block_merge_configINS0_14default_configEaN2at4cuda3cub6detail10OpaqueTypeILi8EEEEEPajNS1_19radix_merge_compareILb1ELb1EaNS0_19identity_decomposerEEEEEvT0_T1_jPSH_T2_SH_,"axG",@progbits,_ZN7rocprim17ROCPRIM_304000_NS6detail45device_block_merge_mergepath_partition_kernelINS1_37wrapped_merge_sort_block_merge_configINS0_14default_configEaN2at4cuda3cub6detail10OpaqueTypeILi8EEEEEPajNS1_19radix_merge_compareILb1ELb1EaNS0_19identity_decomposerEEEEEvT0_T1_jPSH_T2_SH_,comdat
.Lfunc_end32:
	.size	_ZN7rocprim17ROCPRIM_304000_NS6detail45device_block_merge_mergepath_partition_kernelINS1_37wrapped_merge_sort_block_merge_configINS0_14default_configEaN2at4cuda3cub6detail10OpaqueTypeILi8EEEEEPajNS1_19radix_merge_compareILb1ELb1EaNS0_19identity_decomposerEEEEEvT0_T1_jPSH_T2_SH_, .Lfunc_end32-_ZN7rocprim17ROCPRIM_304000_NS6detail45device_block_merge_mergepath_partition_kernelINS1_37wrapped_merge_sort_block_merge_configINS0_14default_configEaN2at4cuda3cub6detail10OpaqueTypeILi8EEEEEPajNS1_19radix_merge_compareILb1ELb1EaNS0_19identity_decomposerEEEEEvT0_T1_jPSH_T2_SH_
                                        ; -- End function
	.section	.AMDGPU.csdata,"",@progbits
; Kernel info:
; codeLenInByte = 336
; NumSgprs: 12
; NumVgprs: 16
; NumAgprs: 0
; TotalNumVgprs: 16
; ScratchSize: 0
; MemoryBound: 0
; FloatMode: 240
; IeeeMode: 1
; LDSByteSize: 0 bytes/workgroup (compile time only)
; SGPRBlocks: 1
; VGPRBlocks: 1
; NumSGPRsForWavesPerEU: 12
; NumVGPRsForWavesPerEU: 16
; AccumOffset: 16
; Occupancy: 8
; WaveLimiterHint : 0
; COMPUTE_PGM_RSRC2:SCRATCH_EN: 0
; COMPUTE_PGM_RSRC2:USER_SGPR: 6
; COMPUTE_PGM_RSRC2:TRAP_HANDLER: 0
; COMPUTE_PGM_RSRC2:TGID_X_EN: 1
; COMPUTE_PGM_RSRC2:TGID_Y_EN: 0
; COMPUTE_PGM_RSRC2:TGID_Z_EN: 0
; COMPUTE_PGM_RSRC2:TIDIG_COMP_CNT: 0
; COMPUTE_PGM_RSRC3_GFX90A:ACCUM_OFFSET: 3
; COMPUTE_PGM_RSRC3_GFX90A:TG_SPLIT: 0
	.section	.text._ZN7rocprim17ROCPRIM_304000_NS6detail35device_block_merge_mergepath_kernelINS1_37wrapped_merge_sort_block_merge_configINS0_14default_configEaN2at4cuda3cub6detail10OpaqueTypeILi8EEEEEPaSC_PSA_SD_jNS1_19radix_merge_compareILb1ELb1EaNS0_19identity_decomposerEEEEEvT0_T1_T2_T3_T4_SL_jT5_PKSL_NS1_7vsmem_tE,"axG",@progbits,_ZN7rocprim17ROCPRIM_304000_NS6detail35device_block_merge_mergepath_kernelINS1_37wrapped_merge_sort_block_merge_configINS0_14default_configEaN2at4cuda3cub6detail10OpaqueTypeILi8EEEEEPaSC_PSA_SD_jNS1_19radix_merge_compareILb1ELb1EaNS0_19identity_decomposerEEEEEvT0_T1_T2_T3_T4_SL_jT5_PKSL_NS1_7vsmem_tE,comdat
	.protected	_ZN7rocprim17ROCPRIM_304000_NS6detail35device_block_merge_mergepath_kernelINS1_37wrapped_merge_sort_block_merge_configINS0_14default_configEaN2at4cuda3cub6detail10OpaqueTypeILi8EEEEEPaSC_PSA_SD_jNS1_19radix_merge_compareILb1ELb1EaNS0_19identity_decomposerEEEEEvT0_T1_T2_T3_T4_SL_jT5_PKSL_NS1_7vsmem_tE ; -- Begin function _ZN7rocprim17ROCPRIM_304000_NS6detail35device_block_merge_mergepath_kernelINS1_37wrapped_merge_sort_block_merge_configINS0_14default_configEaN2at4cuda3cub6detail10OpaqueTypeILi8EEEEEPaSC_PSA_SD_jNS1_19radix_merge_compareILb1ELb1EaNS0_19identity_decomposerEEEEEvT0_T1_T2_T3_T4_SL_jT5_PKSL_NS1_7vsmem_tE
	.globl	_ZN7rocprim17ROCPRIM_304000_NS6detail35device_block_merge_mergepath_kernelINS1_37wrapped_merge_sort_block_merge_configINS0_14default_configEaN2at4cuda3cub6detail10OpaqueTypeILi8EEEEEPaSC_PSA_SD_jNS1_19radix_merge_compareILb1ELb1EaNS0_19identity_decomposerEEEEEvT0_T1_T2_T3_T4_SL_jT5_PKSL_NS1_7vsmem_tE
	.p2align	8
	.type	_ZN7rocprim17ROCPRIM_304000_NS6detail35device_block_merge_mergepath_kernelINS1_37wrapped_merge_sort_block_merge_configINS0_14default_configEaN2at4cuda3cub6detail10OpaqueTypeILi8EEEEEPaSC_PSA_SD_jNS1_19radix_merge_compareILb1ELb1EaNS0_19identity_decomposerEEEEEvT0_T1_T2_T3_T4_SL_jT5_PKSL_NS1_7vsmem_tE,@function
_ZN7rocprim17ROCPRIM_304000_NS6detail35device_block_merge_mergepath_kernelINS1_37wrapped_merge_sort_block_merge_configINS0_14default_configEaN2at4cuda3cub6detail10OpaqueTypeILi8EEEEEPaSC_PSA_SD_jNS1_19radix_merge_compareILb1ELb1EaNS0_19identity_decomposerEEEEEvT0_T1_T2_T3_T4_SL_jT5_PKSL_NS1_7vsmem_tE: ; @_ZN7rocprim17ROCPRIM_304000_NS6detail35device_block_merge_mergepath_kernelINS1_37wrapped_merge_sort_block_merge_configINS0_14default_configEaN2at4cuda3cub6detail10OpaqueTypeILi8EEEEEPaSC_PSA_SD_jNS1_19radix_merge_compareILb1ELb1EaNS0_19identity_decomposerEEEEEvT0_T1_T2_T3_T4_SL_jT5_PKSL_NS1_7vsmem_tE
; %bb.0:
	s_load_dwordx2 s[26:27], s[4:5], 0x40
	s_load_dwordx4 s[16:19], s[4:5], 0x20
	s_add_u32 s2, s4, 64
	s_addc_u32 s3, s5, 0
	s_waitcnt lgkmcnt(0)
	s_mul_i32 s0, s27, s8
	s_add_i32 s0, s0, s7
	s_mul_i32 s0, s0, s26
	s_add_i32 s0, s0, s6
	s_cmp_ge_u32 s0, s18
	s_cbranch_scc1 .LBB33_75
; %bb.1:
	s_load_dwordx8 s[8:15], s[4:5], 0x0
	s_load_dwordx2 s[22:23], s[4:5], 0x30
	s_lshr_b32 s30, s16, 10
	s_cmp_lg_u32 s0, s30
	s_mov_b32 s1, 0
	s_cselect_b64 s[20:21], -1, 0
	s_lshl_b64 s[4:5], s[0:1], 2
	s_waitcnt lgkmcnt(0)
	s_add_u32 s4, s22, s4
	s_addc_u32 s5, s23, s5
	s_load_dwordx2 s[22:23], s[4:5], 0x0
	s_lshr_b32 s4, s17, 9
	s_and_b32 s4, s4, 0x7ffffe
	s_sub_i32 s4, 0, s4
	s_and_b32 s5, s0, s4
	s_lshl_b32 s7, s5, 10
	s_lshl_b32 s18, s0, 10
	;; [unrolled: 1-line block ×3, first 2 shown]
	s_sub_i32 s24, s18, s7
	s_add_i32 s5, s5, s17
	s_add_i32 s25, s5, s24
	s_waitcnt lgkmcnt(0)
	s_sub_i32 s24, s25, s22
	s_sub_i32 s25, s25, s23
	;; [unrolled: 1-line block ×3, first 2 shown]
	s_min_u32 s24, s16, s24
	s_addk_i32 s25, 0x400
	s_or_b32 s4, s0, s4
	s_min_u32 s7, s16, s5
	s_add_i32 s5, s5, s17
	s_cmp_eq_u32 s4, -1
	s_cselect_b32 s4, s5, s25
	s_cselect_b32 s5, s7, s23
	s_min_u32 s4, s4, s16
	s_sub_i32 s27, s5, s22
	s_sub_i32 s28, s4, s24
	s_add_u32 s5, s8, s22
	s_addc_u32 s29, s9, 0
	s_add_u32 s4, s8, s24
	s_addc_u32 s7, s9, 0
	s_cmp_lt_u32 s6, s26
	v_mov_b32_e32 v1, 0
	s_cselect_b32 s6, 12, 18
	global_load_dword v2, v1, s[2:3] offset:14
	s_add_u32 s2, s2, s6
	s_addc_u32 s3, s3, 0
	global_load_ushort v1, v1, s[2:3]
	s_mov_b32 s25, s1
	s_mov_b32 s23, s1
	s_cmp_eq_u32 s0, s30
	v_cmp_gt_u32_e32 vcc, s27, v0
	s_waitcnt vmcnt(1)
	v_lshrrev_b32_e32 v3, 16, v2
	v_and_b32_e32 v2, 0xffff, v2
	v_mul_lo_u32 v2, v2, v3
	s_waitcnt vmcnt(0)
	v_mul_lo_u32 v2, v2, v1
	v_add_u32_e32 v4, v2, v0
	v_add_u32_e32 v3, v4, v2
	s_cbranch_scc1 .LBB33_3
; %bb.2:
	v_mov_b32_e32 v1, s29
	v_add_co_u32_e64 v5, s[0:1], s5, v0
	v_addc_co_u32_e64 v1, s[0:1], 0, v1, s[0:1]
	v_subrev_u32_e32 v6, s27, v0
	v_mov_b32_e32 v7, s7
	v_add_co_u32_e64 v6, s[0:1], s4, v6
	v_addc_co_u32_e64 v7, s[0:1], 0, v7, s[0:1]
	v_cndmask_b32_e32 v11, v7, v1, vcc
	v_cndmask_b32_e32 v10, v6, v5, vcc
	v_mov_b32_e32 v1, s29
	v_add_co_u32_e32 v5, vcc, s5, v4
	v_addc_co_u32_e32 v1, vcc, 0, v1, vcc
	v_subrev_u32_e32 v6, s27, v4
	v_mov_b32_e32 v7, s7
	v_add_co_u32_e32 v6, vcc, s4, v6
	v_addc_co_u32_e32 v7, vcc, 0, v7, vcc
	v_cmp_gt_u32_e32 vcc, s27, v4
	v_cndmask_b32_e32 v13, v7, v1, vcc
	v_cndmask_b32_e32 v12, v6, v5, vcc
	v_mov_b32_e32 v1, s29
	v_add_co_u32_e32 v5, vcc, s5, v3
	v_addc_co_u32_e32 v1, vcc, 0, v1, vcc
	v_subrev_u32_e32 v6, s27, v3
	v_mov_b32_e32 v7, s7
	v_add_co_u32_e32 v6, vcc, s4, v6
	v_addc_co_u32_e32 v7, vcc, 0, v7, vcc
	v_cmp_gt_u32_e32 vcc, s27, v3
	v_cndmask_b32_e32 v15, v7, v1, vcc
	v_add_u32_e32 v1, v3, v2
	v_cndmask_b32_e32 v14, v6, v5, vcc
	v_mov_b32_e32 v5, s29
	v_add_co_u32_e32 v6, vcc, s5, v1
	v_addc_co_u32_e32 v5, vcc, 0, v5, vcc
	v_subrev_u32_e32 v7, s27, v1
	v_mov_b32_e32 v8, s7
	v_add_co_u32_e32 v7, vcc, s4, v7
	v_addc_co_u32_e32 v8, vcc, 0, v8, vcc
	v_cmp_gt_u32_e32 vcc, s27, v1
	v_cndmask_b32_e32 v17, v8, v5, vcc
	v_cndmask_b32_e32 v16, v7, v6, vcc
	global_load_ubyte v1, v[10:11], off
	global_load_ubyte v6, v[12:13], off
	;; [unrolled: 1-line block ×4, first 2 shown]
	s_add_i32 s17, s28, s27
	s_cbranch_execz .LBB33_4
	s_branch .LBB33_13
.LBB33_3:
                                        ; implicit-def: $vgpr1
                                        ; implicit-def: $vgpr6
                                        ; implicit-def: $vgpr7
                                        ; implicit-def: $vgpr9
                                        ; implicit-def: $sgpr17
.LBB33_4:
	s_add_i32 s17, s28, s27
	v_cmp_gt_u32_e32 vcc, s17, v0
                                        ; implicit-def: $vgpr1
	s_and_saveexec_b64 s[0:1], vcc
	s_cbranch_execz .LBB33_6
; %bb.5:
	s_waitcnt vmcnt(3)
	v_mov_b32_e32 v1, s29
	v_add_co_u32_e32 v5, vcc, s5, v0
	v_addc_co_u32_e32 v1, vcc, 0, v1, vcc
	s_waitcnt vmcnt(2)
	v_subrev_u32_e32 v6, s27, v0
	s_waitcnt vmcnt(1)
	v_mov_b32_e32 v7, s7
	v_add_co_u32_e32 v6, vcc, s4, v6
	v_addc_co_u32_e32 v7, vcc, 0, v7, vcc
	v_cmp_gt_u32_e32 vcc, s27, v0
	v_cndmask_b32_e32 v7, v7, v1, vcc
	v_cndmask_b32_e32 v6, v6, v5, vcc
	global_load_ubyte v1, v[6:7], off
.LBB33_6:
	s_or_b64 exec, exec, s[0:1]
	v_cmp_gt_u32_e32 vcc, s17, v4
                                        ; implicit-def: $vgpr6
	s_and_saveexec_b64 s[0:1], vcc
	s_cbranch_execz .LBB33_8
; %bb.7:
	v_mov_b32_e32 v5, s29
	s_waitcnt vmcnt(2)
	v_add_co_u32_e32 v6, vcc, s5, v4
	v_addc_co_u32_e32 v5, vcc, 0, v5, vcc
	s_waitcnt vmcnt(1)
	v_subrev_u32_e32 v7, s27, v4
	v_mov_b32_e32 v8, s7
	v_add_co_u32_e32 v7, vcc, s4, v7
	v_addc_co_u32_e32 v8, vcc, 0, v8, vcc
	v_cmp_gt_u32_e32 vcc, s27, v4
	v_cndmask_b32_e32 v5, v8, v5, vcc
	v_cndmask_b32_e32 v4, v7, v6, vcc
	global_load_ubyte v6, v[4:5], off
.LBB33_8:
	s_or_b64 exec, exec, s[0:1]
	v_cmp_gt_u32_e32 vcc, s17, v3
                                        ; implicit-def: $vgpr7
	s_and_saveexec_b64 s[0:1], vcc
	s_cbranch_execz .LBB33_10
; %bb.9:
	v_mov_b32_e32 v4, s29
	s_waitcnt vmcnt(1)
	v_add_co_u32_e32 v7, vcc, s5, v3
	v_addc_co_u32_e32 v4, vcc, 0, v4, vcc
	v_subrev_u32_e32 v5, s27, v3
	v_mov_b32_e32 v8, s7
	s_waitcnt vmcnt(0)
	v_add_co_u32_e32 v9, vcc, s4, v5
	v_addc_co_u32_e32 v5, vcc, 0, v8, vcc
	v_cmp_gt_u32_e32 vcc, s27, v3
	v_cndmask_b32_e32 v5, v5, v4, vcc
	v_cndmask_b32_e32 v4, v9, v7, vcc
	global_load_ubyte v7, v[4:5], off
.LBB33_10:
	s_or_b64 exec, exec, s[0:1]
	v_add_u32_e32 v2, v3, v2
	v_cmp_gt_u32_e32 vcc, s17, v2
                                        ; implicit-def: $vgpr9
	s_and_saveexec_b64 s[0:1], vcc
	s_cbranch_execz .LBB33_12
; %bb.11:
	v_mov_b32_e32 v3, s29
	v_add_co_u32_e32 v4, vcc, s5, v2
	v_addc_co_u32_e32 v3, vcc, 0, v3, vcc
	v_subrev_u32_e32 v5, s27, v2
	v_mov_b32_e32 v8, s7
	v_add_co_u32_e32 v5, vcc, s4, v5
	v_addc_co_u32_e32 v8, vcc, 0, v8, vcc
	v_cmp_gt_u32_e32 vcc, s27, v2
	v_cndmask_b32_e32 v3, v8, v3, vcc
	v_cndmask_b32_e32 v2, v5, v4, vcc
	global_load_ubyte v9, v[2:3], off
.LBB33_12:
	s_or_b64 exec, exec, s[0:1]
.LBB33_13:
	v_lshlrev_b32_e32 v8, 2, v0
	v_min_u32_e32 v3, s17, v8
	v_sub_u32_e64 v2, v3, s28 clamp
	v_min_u32_e32 v4, s27, v3
	v_cmp_lt_u32_e32 vcc, v2, v4
	s_waitcnt vmcnt(0)
	ds_write_b8 v0, v1
	ds_write_b8 v0, v6 offset:256
	ds_write_b8 v0, v7 offset:512
	;; [unrolled: 1-line block ×3, first 2 shown]
	s_waitcnt lgkmcnt(0)
	s_barrier
	s_and_saveexec_b64 s[0:1], vcc
	s_cbranch_execz .LBB33_17
; %bb.14:
	v_add_u32_e32 v5, s27, v3
	s_mov_b64 s[2:3], 0
.LBB33_15:                              ; =>This Inner Loop Header: Depth=1
	v_add_u32_e32 v10, v4, v2
	v_lshrrev_b32_e32 v10, 1, v10
	v_xad_u32 v11, v10, -1, v5
	ds_read_u8 v12, v10
	ds_read_u8 v11, v11
	v_add_u32_e32 v13, 1, v10
	s_waitcnt lgkmcnt(1)
	v_and_b32_e32 v12, s19, v12
	s_waitcnt lgkmcnt(0)
	v_and_b32_e32 v11, s19, v11
	v_cmp_gt_i16_sdwa vcc, sext(v11), sext(v12) src0_sel:BYTE_0 src1_sel:BYTE_0
	v_cndmask_b32_e32 v4, v4, v10, vcc
	v_cndmask_b32_e32 v2, v13, v2, vcc
	v_cmp_ge_u32_e32 vcc, v2, v4
	s_or_b64 s[2:3], vcc, s[2:3]
	s_andn2_b64 exec, exec, s[2:3]
	s_cbranch_execnz .LBB33_15
; %bb.16:
	s_or_b64 exec, exec, s[2:3]
.LBB33_17:
	s_or_b64 exec, exec, s[0:1]
	v_sub_u32_e32 v3, v3, v2
	v_add_u32_e32 v3, s27, v3
	v_cmp_ge_u32_e32 vcc, s27, v2
	v_cmp_ge_u32_e64 s[0:1], s17, v3
	s_or_b64 s[0:1], vcc, s[0:1]
                                        ; implicit-def: $vgpr10
                                        ; implicit-def: $vgpr11
                                        ; implicit-def: $vgpr12
                                        ; implicit-def: $vgpr13
	s_and_saveexec_b64 s[6:7], s[0:1]
	s_cbranch_execz .LBB33_23
; %bb.18:
	v_cmp_gt_u32_e32 vcc, s27, v2
                                        ; implicit-def: $vgpr1
	s_and_saveexec_b64 s[0:1], vcc
	s_cbranch_execz .LBB33_20
; %bb.19:
	ds_read_u8 v1, v2
.LBB33_20:
	s_or_b64 exec, exec, s[0:1]
	v_cmp_le_u32_e64 s[0:1], s17, v3
	v_cmp_gt_u32_e64 s[2:3], s17, v3
                                        ; implicit-def: $vgpr4
	s_and_saveexec_b64 s[4:5], s[2:3]
	s_cbranch_execz .LBB33_22
; %bb.21:
	ds_read_u8 v4, v3
.LBB33_22:
	s_or_b64 exec, exec, s[4:5]
	s_waitcnt lgkmcnt(0)
	v_and_b32_e32 v5, s19, v4
	v_and_b32_e32 v6, s19, v1
	v_cmp_le_i16_sdwa s[2:3], sext(v5), sext(v6) src0_sel:BYTE_0 src1_sel:BYTE_0
	s_and_b64 s[2:3], vcc, s[2:3]
	s_or_b64 vcc, s[0:1], s[2:3]
	v_mov_b32_e32 v5, s17
	v_mov_b32_e32 v6, s27
	v_cndmask_b32_e32 v13, v3, v2, vcc
	v_cndmask_b32_e32 v7, v5, v6, vcc
	v_add_u32_e32 v9, 1, v13
	v_add_u32_e32 v7, -1, v7
	v_min_u32_e32 v7, v9, v7
	ds_read_u8 v7, v7
	v_cndmask_b32_e32 v3, v9, v3, vcc
	v_cndmask_b32_e32 v2, v2, v9, vcc
	v_cmp_gt_u32_e64 s[2:3], s27, v2
	v_cmp_le_u32_e64 s[0:1], s17, v3
	s_waitcnt lgkmcnt(0)
	v_cndmask_b32_e32 v10, v7, v4, vcc
	v_cndmask_b32_e32 v7, v1, v7, vcc
	v_and_b32_e32 v9, s19, v10
	v_and_b32_e32 v11, s19, v7
	v_cmp_le_i16_sdwa s[4:5], sext(v9), sext(v11) src0_sel:BYTE_0 src1_sel:BYTE_0
	s_and_b64 s[2:3], s[2:3], s[4:5]
	s_or_b64 s[0:1], s[0:1], s[2:3]
	v_cndmask_b32_e64 v12, v3, v2, s[0:1]
	v_cndmask_b32_e64 v9, v5, v6, s[0:1]
	v_add_u32_e32 v11, 1, v12
	v_add_u32_e32 v9, -1, v9
	v_min_u32_e32 v9, v11, v9
	ds_read_u8 v9, v9
	v_cndmask_b32_e64 v3, v11, v3, s[0:1]
	v_cndmask_b32_e64 v2, v2, v11, s[0:1]
	v_cmp_gt_u32_e64 s[4:5], s27, v2
	v_cmp_le_u32_e64 s[2:3], s17, v3
	s_waitcnt lgkmcnt(0)
	v_cndmask_b32_e64 v14, v9, v10, s[0:1]
	v_cndmask_b32_e64 v9, v7, v9, s[0:1]
	v_and_b32_e32 v11, s19, v14
	v_and_b32_e32 v15, s19, v9
	v_cmp_le_i16_sdwa s[8:9], sext(v11), sext(v15) src0_sel:BYTE_0 src1_sel:BYTE_0
	s_and_b64 s[4:5], s[4:5], s[8:9]
	s_or_b64 s[2:3], s[2:3], s[4:5]
	v_cndmask_b32_e64 v11, v3, v2, s[2:3]
	v_cndmask_b32_e64 v5, v5, v6, s[2:3]
	v_add_u32_e32 v15, 1, v11
	v_add_u32_e32 v5, -1, v5
	v_min_u32_e32 v5, v15, v5
	ds_read_u8 v5, v5
	v_cndmask_b32_e32 v1, v4, v1, vcc
	v_cndmask_b32_e64 v6, v10, v7, s[0:1]
	v_cndmask_b32_e64 v7, v14, v9, s[2:3]
	;; [unrolled: 1-line block ×3, first 2 shown]
	s_waitcnt lgkmcnt(0)
	v_cndmask_b32_e64 v4, v5, v14, s[2:3]
	v_cndmask_b32_e64 v5, v9, v5, s[2:3]
	v_and_b32_e32 v9, s19, v4
	v_and_b32_e32 v10, s19, v5
	v_cndmask_b32_e64 v3, v15, v3, s[2:3]
	v_cmp_gt_u32_e64 s[0:1], s27, v2
	v_cmp_le_i16_sdwa s[2:3], sext(v9), sext(v10) src0_sel:BYTE_0 src1_sel:BYTE_0
	v_cmp_le_u32_e32 vcc, s17, v3
	s_and_b64 s[0:1], s[0:1], s[2:3]
	s_or_b64 vcc, vcc, s[0:1]
	v_cndmask_b32_e32 v10, v3, v2, vcc
	v_cndmask_b32_e32 v9, v4, v5, vcc
.LBB33_23:
	s_or_b64 exec, exec, s[6:7]
	s_lshl_b64 s[0:1], s[22:23], 3
	s_add_u32 s19, s12, s0
	s_addc_u32 s26, s13, s1
	s_lshl_b64 s[0:1], s[24:25], 3
	s_add_u32 s29, s12, s0
	v_cndmask_b32_e64 v2, 0, 1, s[20:21]
	s_addc_u32 s30, s13, s1
	v_cmp_gt_u32_e64 s[4:5], s27, v0
	v_cmp_ne_u32_e64 s[0:1], 1, v2
	s_andn2_b64 vcc, exec, s[20:21]
	v_cmp_le_u32_e64 s[2:3], s27, v0
	s_barrier
	s_cbranch_vccnz .LBB33_25
; %bb.24:
	v_subrev_u32_e32 v2, s27, v0
	v_mov_b32_e32 v3, 0
	v_lshlrev_b64 v[4:5], 3, v[2:3]
	v_mov_b32_e32 v2, s30
	v_add_co_u32_e32 v4, vcc, s29, v4
	v_addc_co_u32_e32 v2, vcc, v2, v5, vcc
	v_lshlrev_b32_e32 v20, 3, v0
	v_mov_b32_e32 v5, s26
	v_add_co_u32_e32 v21, vcc, s19, v20
	v_addc_co_u32_e32 v22, vcc, 0, v5, vcc
	v_cndmask_b32_e64 v5, v2, v22, s[4:5]
	v_cndmask_b32_e64 v4, v4, v21, s[4:5]
	v_or_b32_e32 v16, 0x100, v0
	s_movk_i32 s4, 0x800
	v_add_co_u32_e32 v17, vcc, s4, v21
	v_subrev_u32_e32 v2, s27, v16
	v_addc_co_u32_e32 v18, vcc, 0, v22, vcc
	v_lshlrev_b64 v[14:15], 3, v[2:3]
	v_mov_b32_e32 v2, s30
	v_add_co_u32_e32 v14, vcc, s29, v14
	v_addc_co_u32_e32 v2, vcc, v2, v15, vcc
	v_cmp_gt_u32_e32 vcc, s27, v16
	v_cndmask_b32_e32 v15, v2, v18, vcc
	v_or_b32_e32 v18, 0x200, v0
	s_movk_i32 s4, 0x1000
	v_cndmask_b32_e32 v14, v14, v17, vcc
	v_add_co_u32_e32 v19, vcc, s4, v21
	v_subrev_u32_e32 v2, s27, v18
	global_load_dwordx2 v[16:17], v[14:15], off
	v_addc_co_u32_e32 v23, vcc, 0, v22, vcc
	v_lshlrev_b64 v[14:15], 3, v[2:3]
	v_mov_b32_e32 v2, s30
	v_add_co_u32_e32 v14, vcc, s29, v14
	v_addc_co_u32_e32 v2, vcc, v2, v15, vcc
	v_cmp_gt_u32_e32 vcc, s27, v18
	global_load_dwordx2 v[4:5], v[4:5], off
	v_cndmask_b32_e32 v15, v2, v23, vcc
	v_cndmask_b32_e32 v14, v14, v19, vcc
	global_load_dwordx2 v[18:19], v[14:15], off
	v_or_b32_e32 v15, 0x300, v0
	s_movk_i32 s4, 0x1800
	v_add_co_u32_e32 v21, vcc, s4, v21
	v_subrev_u32_e32 v2, s27, v15
	v_addc_co_u32_e32 v22, vcc, 0, v22, vcc
	v_lshlrev_b64 v[2:3], 3, v[2:3]
	v_mov_b32_e32 v23, s30
	v_add_co_u32_e32 v2, vcc, s29, v2
	v_addc_co_u32_e32 v3, vcc, v23, v3, vcc
	v_cmp_gt_u32_e32 vcc, s27, v15
	v_or_b32_e32 v14, 0x1800, v20
	v_cndmask_b32_e32 v3, v3, v22, vcc
	v_cndmask_b32_e32 v2, v2, v21, vcc
	s_mov_b64 s[4:5], -1
	s_waitcnt vmcnt(1)
	ds_write2st64_b64 v20, v[4:5], v[16:17] offset1:4
	s_waitcnt vmcnt(0)
	ds_write_b64 v20, v[18:19] offset:4096
	s_cbranch_execz .LBB33_26
	s_branch .LBB33_47
.LBB33_25:
	s_mov_b64 s[4:5], 0
                                        ; implicit-def: $vgpr14
                                        ; implicit-def: $vgpr2_vgpr3
.LBB33_26:
	s_mov_b64 s[6:7], 0
                                        ; implicit-def: $vgpr2_vgpr3
	s_and_saveexec_b64 s[8:9], s[2:3]
	s_xor_b64 s[2:3], exec, s[8:9]
	s_cbranch_execz .LBB33_51
; %bb.27:
	v_subrev_u32_e32 v4, s27, v0
	v_cmp_gt_u32_e32 vcc, s28, v4
                                        ; implicit-def: $vgpr2_vgpr3
	s_and_saveexec_b64 s[8:9], vcc
	s_xor_b64 s[8:9], exec, s[8:9]
; %bb.28:
	v_mov_b32_e32 v5, 0
	v_lshlrev_b64 v[2:3], 3, v[4:5]
	v_mov_b32_e32 v4, s30
	v_add_co_u32_e32 v2, vcc, s29, v2
	s_mov_b64 s[6:7], exec
	v_addc_co_u32_e32 v3, vcc, v4, v3, vcc
; %bb.29:
	s_or_b64 exec, exec, s[8:9]
	s_and_b64 s[6:7], s[6:7], exec
	s_andn2_saveexec_b64 s[2:3], s[2:3]
	s_cbranch_execnz .LBB33_52
.LBB33_30:
	s_or_b64 exec, exec, s[2:3]
	v_mad_u32_u24 v14, v0, 7, v0
	s_and_saveexec_b64 s[2:3], s[6:7]
	s_cbranch_execz .LBB33_32
.LBB33_31:
	global_load_dwordx2 v[2:3], v[2:3], off
	s_waitcnt vmcnt(0)
	ds_write_b64 v14, v[2:3]
.LBB33_32:
	s_or_b64 exec, exec, s[2:3]
	v_or_b32_e32 v2, 0x100, v0
	v_cmp_le_u32_e32 vcc, s27, v2
	s_mov_b64 s[6:7], -1
	v_pk_mov_b32 v[4:5], s[22:23], s[22:23] op_sel:[0,1]
	s_and_saveexec_b64 s[2:3], vcc
; %bb.33:
	v_subrev_u32_e32 v2, s27, v2
	v_cmp_gt_u32_e32 vcc, s28, v2
	v_pk_mov_b32 v[4:5], s[24:25], s[24:25] op_sel:[0,1]
	s_orn2_b64 s[6:7], vcc, exec
; %bb.34:
	s_or_b64 exec, exec, s[2:3]
	s_and_saveexec_b64 s[2:3], s[6:7]
	s_cbranch_execz .LBB33_36
; %bb.35:
	v_lshlrev_b64 v[4:5], 3, v[4:5]
	v_mov_b32_e32 v3, s13
	v_add_co_u32_e32 v4, vcc, s12, v4
	v_addc_co_u32_e32 v5, vcc, v3, v5, vcc
	v_mov_b32_e32 v3, 0
	v_lshlrev_b64 v[2:3], 3, v[2:3]
	v_add_co_u32_e32 v2, vcc, v4, v2
	v_addc_co_u32_e32 v3, vcc, v5, v3, vcc
	global_load_dwordx2 v[2:3], v[2:3], off
	s_waitcnt vmcnt(0)
	ds_write_b64 v14, v[2:3] offset:2048
.LBB33_36:
	s_or_b64 exec, exec, s[2:3]
	v_or_b32_e32 v2, 0x200, v0
	v_cmp_le_u32_e32 vcc, s27, v2
	s_mov_b64 s[6:7], -1
	v_pk_mov_b32 v[4:5], s[22:23], s[22:23] op_sel:[0,1]
	s_and_saveexec_b64 s[2:3], vcc
; %bb.37:
	v_subrev_u32_e32 v2, s27, v2
	v_cmp_gt_u32_e32 vcc, s28, v2
	v_pk_mov_b32 v[4:5], s[24:25], s[24:25] op_sel:[0,1]
	s_orn2_b64 s[6:7], vcc, exec
; %bb.38:
	s_or_b64 exec, exec, s[2:3]
	s_and_saveexec_b64 s[2:3], s[6:7]
	s_cbranch_execz .LBB33_40
; %bb.39:
	v_lshlrev_b64 v[4:5], 3, v[4:5]
	v_mov_b32_e32 v3, s13
	v_add_co_u32_e32 v4, vcc, s12, v4
	v_addc_co_u32_e32 v5, vcc, v3, v5, vcc
	v_mov_b32_e32 v3, 0
	v_lshlrev_b64 v[2:3], 3, v[2:3]
	v_add_co_u32_e32 v2, vcc, v4, v2
	v_addc_co_u32_e32 v3, vcc, v5, v3, vcc
	global_load_dwordx2 v[2:3], v[2:3], off
	s_waitcnt vmcnt(0)
	ds_write_b64 v14, v[2:3] offset:4096
.LBB33_40:
	s_or_b64 exec, exec, s[2:3]
	v_or_b32_e32 v4, 0x300, v0
	v_cmp_le_u32_e32 vcc, s27, v4
                                        ; implicit-def: $vgpr14
                                        ; implicit-def: $vgpr2_vgpr3
	s_and_saveexec_b64 s[2:3], vcc
	s_xor_b64 s[2:3], exec, s[2:3]
	s_cbranch_execz .LBB33_44
; %bb.41:
	v_subrev_u32_e32 v4, s27, v4
	v_cmp_gt_u32_e32 vcc, s28, v4
	s_mov_b64 s[8:9], s[4:5]
                                        ; implicit-def: $vgpr14
                                        ; implicit-def: $vgpr2_vgpr3
	s_and_saveexec_b64 s[6:7], vcc
; %bb.42:
	v_mul_u32_u24_e32 v2, 7, v0
	s_movk_i32 s8, 0x1800
	v_mov_b32_e32 v5, 0
	v_add3_u32 v14, v0, v2, s8
	v_lshlrev_b64 v[2:3], 3, v[4:5]
	v_mov_b32_e32 v4, s30
	v_add_co_u32_e32 v2, vcc, s29, v2
	v_addc_co_u32_e32 v3, vcc, v4, v3, vcc
	s_or_b64 s[8:9], s[4:5], exec
; %bb.43:
	s_or_b64 exec, exec, s[6:7]
	s_andn2_b64 s[4:5], s[4:5], exec
	s_and_b64 s[6:7], s[8:9], exec
	s_or_b64 s[4:5], s[4:5], s[6:7]
                                        ; implicit-def: $vgpr4
.LBB33_44:
	s_andn2_saveexec_b64 s[2:3], s[2:3]
; %bb.45:
	v_lshlrev_b32_e32 v2, 3, v4
	v_mov_b32_e32 v3, s26
	v_add_co_u32_e32 v2, vcc, s19, v2
	v_mul_u32_u24_e32 v4, 7, v0
	s_movk_i32 s6, 0x1800
	v_addc_co_u32_e32 v3, vcc, 0, v3, vcc
	v_add3_u32 v14, v0, v4, s6
	s_or_b64 s[4:5], s[4:5], exec
; %bb.46:
	s_or_b64 exec, exec, s[2:3]
.LBB33_47:
	s_and_saveexec_b64 s[2:3], s[4:5]
	s_cbranch_execz .LBB33_49
; %bb.48:
	global_load_dwordx2 v[2:3], v[2:3], off
	s_waitcnt vmcnt(0)
	ds_write_b64 v14, v[2:3]
.LBB33_49:
	s_or_b64 exec, exec, s[2:3]
	s_and_b64 vcc, exec, s[0:1]
	v_add_u32_e32 v2, s18, v8
	s_waitcnt lgkmcnt(0)
	s_barrier
	s_cbranch_vccnz .LBB33_53
; %bb.50:
	v_lshlrev_b32_e32 v14, 3, v13
	v_lshlrev_b32_e32 v16, 3, v12
	;; [unrolled: 1-line block ×3, first 2 shown]
	ds_read_b64 v[14:15], v14
	ds_read_b64 v[16:17], v16
	;; [unrolled: 1-line block ×3, first 2 shown]
	v_mov_b32_e32 v3, 0
	v_lshlrev_b64 v[4:5], 3, v[2:3]
	v_mov_b32_e32 v20, s15
	v_add_co_u32_e32 v4, vcc, s14, v4
	v_addc_co_u32_e32 v5, vcc, v20, v5, vcc
	s_mov_b64 s[0:1], -1
	s_waitcnt lgkmcnt(1)
	global_store_dwordx4 v[4:5], v[14:17], off
	s_waitcnt lgkmcnt(0)
	global_store_dwordx2 v[4:5], v[18:19], off offset:16
	s_cbranch_execz .LBB33_54
	s_branch .LBB33_63
.LBB33_51:
	s_andn2_saveexec_b64 s[2:3], s[2:3]
	s_cbranch_execz .LBB33_30
.LBB33_52:
	v_lshlrev_b32_e32 v2, 3, v0
	v_mov_b32_e32 v3, s26
	v_add_co_u32_e32 v2, vcc, s19, v2
	v_addc_co_u32_e32 v3, vcc, 0, v3, vcc
	s_or_b64 s[6:7], s[6:7], exec
	s_or_b64 exec, exec, s[2:3]
	v_mad_u32_u24 v14, v0, 7, v0
	s_and_saveexec_b64 s[2:3], s[6:7]
	s_cbranch_execnz .LBB33_31
	s_branch .LBB33_32
.LBB33_53:
	s_mov_b64 s[0:1], 0
.LBB33_54:
	v_cmp_gt_u32_e32 vcc, s17, v8
	s_and_saveexec_b64 s[2:3], vcc
	s_cbranch_execz .LBB33_56
; %bb.55:
	v_lshlrev_b32_e32 v13, 3, v13
	ds_read_b64 v[14:15], v13
	v_mov_b32_e32 v3, 0
	v_lshlrev_b64 v[4:5], 3, v[2:3]
	v_mov_b32_e32 v3, s15
	v_add_co_u32_e32 v4, vcc, s14, v4
	v_addc_co_u32_e32 v5, vcc, v3, v5, vcc
	s_waitcnt lgkmcnt(0)
	global_store_dwordx2 v[4:5], v[14:15], off
.LBB33_56:
	s_or_b64 exec, exec, s[2:3]
	v_or_b32_e32 v3, 1, v8
	v_cmp_gt_u32_e32 vcc, s17, v3
	s_and_saveexec_b64 s[2:3], vcc
	s_cbranch_execz .LBB33_58
; %bb.57:
	v_lshlrev_b32_e32 v12, 3, v12
	ds_read_b64 v[12:13], v12
	v_mov_b32_e32 v3, 0
	v_lshlrev_b64 v[4:5], 3, v[2:3]
	v_mov_b32_e32 v3, s15
	v_add_co_u32_e32 v4, vcc, s14, v4
	v_addc_co_u32_e32 v5, vcc, v3, v5, vcc
	s_waitcnt lgkmcnt(0)
	global_store_dwordx2 v[4:5], v[12:13], off offset:8
.LBB33_58:
	s_or_b64 exec, exec, s[2:3]
	v_or_b32_e32 v3, 2, v8
	v_cmp_gt_u32_e32 vcc, s17, v3
	s_and_saveexec_b64 s[2:3], vcc
	s_cbranch_execz .LBB33_60
; %bb.59:
	v_lshlrev_b32_e32 v11, 3, v11
	ds_read_b64 v[12:13], v11
	v_mov_b32_e32 v3, 0
	v_lshlrev_b64 v[4:5], 3, v[2:3]
	v_mov_b32_e32 v3, s15
	v_add_co_u32_e32 v4, vcc, s14, v4
	v_addc_co_u32_e32 v5, vcc, v3, v5, vcc
	s_waitcnt lgkmcnt(0)
	global_store_dwordx2 v[4:5], v[12:13], off offset:16
.LBB33_60:
	s_or_b64 exec, exec, s[2:3]
	v_or_b32_e32 v3, 3, v8
	v_cmp_gt_u32_e32 vcc, s17, v3
	s_and_saveexec_b64 s[2:3], vcc
; %bb.61:
	v_mov_b32_e32 v3, 0
	s_or_b64 s[0:1], s[0:1], exec
; %bb.62:
	s_or_b64 exec, exec, s[2:3]
.LBB33_63:
	s_and_saveexec_b64 s[2:3], s[0:1]
	s_cbranch_execz .LBB33_65
; %bb.64:
	v_lshlrev_b32_e32 v4, 3, v10
	ds_read_b64 v[4:5], v4
	v_lshlrev_b64 v[2:3], 3, v[2:3]
	v_mov_b32_e32 v11, s15
	v_add_co_u32_e32 v2, vcc, s14, v2
	v_addc_co_u32_e32 v3, vcc, v11, v3, vcc
	s_waitcnt lgkmcnt(0)
	global_store_dwordx2 v[2:3], v[4:5], off offset:24
.LBB33_65:
	s_or_b64 exec, exec, s[2:3]
	v_lshlrev_b16_e32 v3, 8, v6
	v_lshrrev_b32_e32 v2, 3, v0
	v_or_b32_sdwa v1, v1, v3 dst_sel:DWORD dst_unused:UNUSED_PAD src0_sel:BYTE_0 src1_sel:DWORD
	v_lshlrev_b16_e32 v3, 8, v9
	v_and_b32_e32 v2, 28, v2
	v_or_b32_sdwa v3, v7, v3 dst_sel:WORD_1 dst_unused:UNUSED_PAD src0_sel:BYTE_0 src1_sel:DWORD
	v_add_u32_e32 v2, v2, v8
	v_or_b32_sdwa v1, v1, v3 dst_sel:DWORD dst_unused:UNUSED_PAD src0_sel:WORD_0 src1_sel:DWORD
	s_barrier
	s_barrier
	ds_write_b32 v2, v1
	v_lshrrev_b32_e32 v1, 5, v0
	v_or_b32_e32 v5, 0x100, v0
	v_and_b32_e32 v6, 4, v1
	v_lshrrev_b32_e32 v1, 5, v5
	v_or_b32_e32 v4, 0x200, v0
	v_and_b32_e32 v7, 12, v1
	v_lshrrev_b32_e32 v1, 5, v4
	s_add_u32 s0, s10, s18
	v_and_b32_e32 v9, 20, v1
	v_or_b32_e32 v1, 0x300, v0
	s_addc_u32 s1, s11, 0
	v_lshrrev_b32_e32 v2, 5, v1
	v_and_b32_e32 v10, 28, v2
	v_mov_b32_e32 v3, s1
	v_add_co_u32_e32 v2, vcc, s0, v0
	v_addc_co_u32_e32 v3, vcc, 0, v3, vcc
	s_and_b64 vcc, exec, s[20:21]
	v_add_u32_e32 v8, v0, v7
	v_add_u32_e32 v9, v0, v9
	;; [unrolled: 1-line block ×3, first 2 shown]
	s_waitcnt lgkmcnt(0)
	s_cbranch_vccz .LBB33_67
; %bb.66:
	v_add_u32_e32 v7, v0, v6
	s_barrier
	ds_read_u8 v11, v7
	ds_read_u8 v12, v8 offset:256
	ds_read_u8 v13, v9 offset:512
	;; [unrolled: 1-line block ×3, first 2 shown]
	s_waitcnt lgkmcnt(3)
	global_store_byte v[2:3], v11, off
	s_waitcnt lgkmcnt(2)
	global_store_byte v[2:3], v12, off offset:256
	s_waitcnt lgkmcnt(1)
	global_store_byte v[2:3], v13, off offset:512
	s_mov_b64 s[0:1], -1
	s_cbranch_execz .LBB33_68
	s_branch .LBB33_73
.LBB33_67:
	s_mov_b64 s[0:1], 0
                                        ; implicit-def: $vgpr7
.LBB33_68:
	s_barrier
	s_waitcnt lgkmcnt(0)
	ds_read_u8 v11, v8 offset:256
	ds_read_u8 v8, v9 offset:512
	;; [unrolled: 1-line block ×3, first 2 shown]
	s_sub_i32 s2, s16, s18
	v_cmp_gt_u32_e32 vcc, s2, v0
	s_and_saveexec_b64 s[0:1], vcc
	s_cbranch_execz .LBB33_76
; %bb.69:
	v_add_u32_e32 v0, v0, v6
	ds_read_u8 v0, v0
	s_waitcnt lgkmcnt(0)
	global_store_byte v[2:3], v0, off
	s_or_b64 exec, exec, s[0:1]
	v_cmp_gt_u32_e32 vcc, s2, v5
	s_and_saveexec_b64 s[0:1], vcc
	s_cbranch_execnz .LBB33_77
.LBB33_70:
	s_or_b64 exec, exec, s[0:1]
	v_cmp_gt_u32_e32 vcc, s2, v4
	s_and_saveexec_b64 s[0:1], vcc
	s_cbranch_execz .LBB33_72
.LBB33_71:
	s_waitcnt lgkmcnt(1)
	global_store_byte v[2:3], v8, off offset:512
.LBB33_72:
	s_or_b64 exec, exec, s[0:1]
	v_cmp_gt_u32_e64 s[0:1], s2, v1
.LBB33_73:
	s_and_saveexec_b64 s[2:3], s[0:1]
	s_cbranch_execz .LBB33_75
; %bb.74:
	s_waitcnt lgkmcnt(0)
	global_store_byte v[2:3], v7, off offset:768
.LBB33_75:
	s_endpgm
.LBB33_76:
	s_or_b64 exec, exec, s[0:1]
	v_cmp_gt_u32_e32 vcc, s2, v5
	s_and_saveexec_b64 s[0:1], vcc
	s_cbranch_execz .LBB33_70
.LBB33_77:
	s_waitcnt lgkmcnt(2)
	global_store_byte v[2:3], v11, off offset:256
	s_or_b64 exec, exec, s[0:1]
	v_cmp_gt_u32_e32 vcc, s2, v4
	s_and_saveexec_b64 s[0:1], vcc
	s_cbranch_execnz .LBB33_71
	s_branch .LBB33_72
	.section	.rodata,"a",@progbits
	.p2align	6, 0x0
	.amdhsa_kernel _ZN7rocprim17ROCPRIM_304000_NS6detail35device_block_merge_mergepath_kernelINS1_37wrapped_merge_sort_block_merge_configINS0_14default_configEaN2at4cuda3cub6detail10OpaqueTypeILi8EEEEEPaSC_PSA_SD_jNS1_19radix_merge_compareILb1ELb1EaNS0_19identity_decomposerEEEEEvT0_T1_T2_T3_T4_SL_jT5_PKSL_NS1_7vsmem_tE
		.amdhsa_group_segment_fixed_size 8208
		.amdhsa_private_segment_fixed_size 0
		.amdhsa_kernarg_size 320
		.amdhsa_user_sgpr_count 6
		.amdhsa_user_sgpr_private_segment_buffer 1
		.amdhsa_user_sgpr_dispatch_ptr 0
		.amdhsa_user_sgpr_queue_ptr 0
		.amdhsa_user_sgpr_kernarg_segment_ptr 1
		.amdhsa_user_sgpr_dispatch_id 0
		.amdhsa_user_sgpr_flat_scratch_init 0
		.amdhsa_user_sgpr_kernarg_preload_length 0
		.amdhsa_user_sgpr_kernarg_preload_offset 0
		.amdhsa_user_sgpr_private_segment_size 0
		.amdhsa_uses_dynamic_stack 0
		.amdhsa_system_sgpr_private_segment_wavefront_offset 0
		.amdhsa_system_sgpr_workgroup_id_x 1
		.amdhsa_system_sgpr_workgroup_id_y 1
		.amdhsa_system_sgpr_workgroup_id_z 1
		.amdhsa_system_sgpr_workgroup_info 0
		.amdhsa_system_vgpr_workitem_id 0
		.amdhsa_next_free_vgpr 24
		.amdhsa_next_free_sgpr 31
		.amdhsa_accum_offset 24
		.amdhsa_reserve_vcc 1
		.amdhsa_reserve_flat_scratch 0
		.amdhsa_float_round_mode_32 0
		.amdhsa_float_round_mode_16_64 0
		.amdhsa_float_denorm_mode_32 3
		.amdhsa_float_denorm_mode_16_64 3
		.amdhsa_dx10_clamp 1
		.amdhsa_ieee_mode 1
		.amdhsa_fp16_overflow 0
		.amdhsa_tg_split 0
		.amdhsa_exception_fp_ieee_invalid_op 0
		.amdhsa_exception_fp_denorm_src 0
		.amdhsa_exception_fp_ieee_div_zero 0
		.amdhsa_exception_fp_ieee_overflow 0
		.amdhsa_exception_fp_ieee_underflow 0
		.amdhsa_exception_fp_ieee_inexact 0
		.amdhsa_exception_int_div_zero 0
	.end_amdhsa_kernel
	.section	.text._ZN7rocprim17ROCPRIM_304000_NS6detail35device_block_merge_mergepath_kernelINS1_37wrapped_merge_sort_block_merge_configINS0_14default_configEaN2at4cuda3cub6detail10OpaqueTypeILi8EEEEEPaSC_PSA_SD_jNS1_19radix_merge_compareILb1ELb1EaNS0_19identity_decomposerEEEEEvT0_T1_T2_T3_T4_SL_jT5_PKSL_NS1_7vsmem_tE,"axG",@progbits,_ZN7rocprim17ROCPRIM_304000_NS6detail35device_block_merge_mergepath_kernelINS1_37wrapped_merge_sort_block_merge_configINS0_14default_configEaN2at4cuda3cub6detail10OpaqueTypeILi8EEEEEPaSC_PSA_SD_jNS1_19radix_merge_compareILb1ELb1EaNS0_19identity_decomposerEEEEEvT0_T1_T2_T3_T4_SL_jT5_PKSL_NS1_7vsmem_tE,comdat
.Lfunc_end33:
	.size	_ZN7rocprim17ROCPRIM_304000_NS6detail35device_block_merge_mergepath_kernelINS1_37wrapped_merge_sort_block_merge_configINS0_14default_configEaN2at4cuda3cub6detail10OpaqueTypeILi8EEEEEPaSC_PSA_SD_jNS1_19radix_merge_compareILb1ELb1EaNS0_19identity_decomposerEEEEEvT0_T1_T2_T3_T4_SL_jT5_PKSL_NS1_7vsmem_tE, .Lfunc_end33-_ZN7rocprim17ROCPRIM_304000_NS6detail35device_block_merge_mergepath_kernelINS1_37wrapped_merge_sort_block_merge_configINS0_14default_configEaN2at4cuda3cub6detail10OpaqueTypeILi8EEEEEPaSC_PSA_SD_jNS1_19radix_merge_compareILb1ELb1EaNS0_19identity_decomposerEEEEEvT0_T1_T2_T3_T4_SL_jT5_PKSL_NS1_7vsmem_tE
                                        ; -- End function
	.section	.AMDGPU.csdata,"",@progbits
; Kernel info:
; codeLenInByte = 3300
; NumSgprs: 35
; NumVgprs: 24
; NumAgprs: 0
; TotalNumVgprs: 24
; ScratchSize: 0
; MemoryBound: 1
; FloatMode: 240
; IeeeMode: 1
; LDSByteSize: 8208 bytes/workgroup (compile time only)
; SGPRBlocks: 4
; VGPRBlocks: 2
; NumSGPRsForWavesPerEU: 35
; NumVGPRsForWavesPerEU: 24
; AccumOffset: 24
; Occupancy: 7
; WaveLimiterHint : 1
; COMPUTE_PGM_RSRC2:SCRATCH_EN: 0
; COMPUTE_PGM_RSRC2:USER_SGPR: 6
; COMPUTE_PGM_RSRC2:TRAP_HANDLER: 0
; COMPUTE_PGM_RSRC2:TGID_X_EN: 1
; COMPUTE_PGM_RSRC2:TGID_Y_EN: 1
; COMPUTE_PGM_RSRC2:TGID_Z_EN: 1
; COMPUTE_PGM_RSRC2:TIDIG_COMP_CNT: 0
; COMPUTE_PGM_RSRC3_GFX90A:ACCUM_OFFSET: 5
; COMPUTE_PGM_RSRC3_GFX90A:TG_SPLIT: 0
	.section	.text._ZN7rocprim17ROCPRIM_304000_NS6detail33device_block_merge_oddeven_kernelINS1_37wrapped_merge_sort_block_merge_configINS0_14default_configEaN2at4cuda3cub6detail10OpaqueTypeILi8EEEEEPaSC_PSA_SD_jNS1_19radix_merge_compareILb1ELb1EaNS0_19identity_decomposerEEEEEvT0_T1_T2_T3_T4_SL_T5_,"axG",@progbits,_ZN7rocprim17ROCPRIM_304000_NS6detail33device_block_merge_oddeven_kernelINS1_37wrapped_merge_sort_block_merge_configINS0_14default_configEaN2at4cuda3cub6detail10OpaqueTypeILi8EEEEEPaSC_PSA_SD_jNS1_19radix_merge_compareILb1ELb1EaNS0_19identity_decomposerEEEEEvT0_T1_T2_T3_T4_SL_T5_,comdat
	.protected	_ZN7rocprim17ROCPRIM_304000_NS6detail33device_block_merge_oddeven_kernelINS1_37wrapped_merge_sort_block_merge_configINS0_14default_configEaN2at4cuda3cub6detail10OpaqueTypeILi8EEEEEPaSC_PSA_SD_jNS1_19radix_merge_compareILb1ELb1EaNS0_19identity_decomposerEEEEEvT0_T1_T2_T3_T4_SL_T5_ ; -- Begin function _ZN7rocprim17ROCPRIM_304000_NS6detail33device_block_merge_oddeven_kernelINS1_37wrapped_merge_sort_block_merge_configINS0_14default_configEaN2at4cuda3cub6detail10OpaqueTypeILi8EEEEEPaSC_PSA_SD_jNS1_19radix_merge_compareILb1ELb1EaNS0_19identity_decomposerEEEEEvT0_T1_T2_T3_T4_SL_T5_
	.globl	_ZN7rocprim17ROCPRIM_304000_NS6detail33device_block_merge_oddeven_kernelINS1_37wrapped_merge_sort_block_merge_configINS0_14default_configEaN2at4cuda3cub6detail10OpaqueTypeILi8EEEEEPaSC_PSA_SD_jNS1_19radix_merge_compareILb1ELb1EaNS0_19identity_decomposerEEEEEvT0_T1_T2_T3_T4_SL_T5_
	.p2align	8
	.type	_ZN7rocprim17ROCPRIM_304000_NS6detail33device_block_merge_oddeven_kernelINS1_37wrapped_merge_sort_block_merge_configINS0_14default_configEaN2at4cuda3cub6detail10OpaqueTypeILi8EEEEEPaSC_PSA_SD_jNS1_19radix_merge_compareILb1ELb1EaNS0_19identity_decomposerEEEEEvT0_T1_T2_T3_T4_SL_T5_,@function
_ZN7rocprim17ROCPRIM_304000_NS6detail33device_block_merge_oddeven_kernelINS1_37wrapped_merge_sort_block_merge_configINS0_14default_configEaN2at4cuda3cub6detail10OpaqueTypeILi8EEEEEPaSC_PSA_SD_jNS1_19radix_merge_compareILb1ELb1EaNS0_19identity_decomposerEEEEEvT0_T1_T2_T3_T4_SL_T5_: ; @_ZN7rocprim17ROCPRIM_304000_NS6detail33device_block_merge_oddeven_kernelINS1_37wrapped_merge_sort_block_merge_configINS0_14default_configEaN2at4cuda3cub6detail10OpaqueTypeILi8EEEEEPaSC_PSA_SD_jNS1_19radix_merge_compareILb1ELb1EaNS0_19identity_decomposerEEEEEvT0_T1_T2_T3_T4_SL_T5_
; %bb.0:
	s_load_dwordx4 s[16:19], s[4:5], 0x20
	s_waitcnt lgkmcnt(0)
	s_lshr_b32 s2, s16, 8
	s_cmp_lg_u32 s6, s2
	s_cselect_b64 s[0:1], -1, 0
	s_cmp_eq_u32 s6, s2
	s_cselect_b64 s[20:21], -1, 0
	s_lshl_b32 s22, s6, 8
	s_sub_i32 s2, s16, s22
	v_cmp_gt_u32_e64 s[2:3], s2, v0
	s_or_b64 s[0:1], s[0:1], s[2:3]
	s_and_saveexec_b64 s[8:9], s[0:1]
	s_cbranch_execz .LBB34_26
; %bb.1:
	s_load_dwordx8 s[8:15], s[4:5], 0x0
	s_mov_b32 s23, 0
	v_lshlrev_b32_e32 v1, 3, v0
	v_add_u32_e32 v4, s22, v0
	s_waitcnt lgkmcnt(0)
	s_add_u32 s0, s8, s22
	s_addc_u32 s1, s9, 0
	s_lshl_b64 s[4:5], s[22:23], 3
	s_add_u32 s4, s12, s4
	s_addc_u32 s5, s13, s5
	global_load_dwordx2 v[2:3], v1, s[4:5]
	global_load_ubyte v6, v0, s[0:1]
	s_lshr_b32 s0, s17, 8
	s_sub_i32 s1, 0, s0
	s_and_b32 s1, s6, s1
	s_and_b32 s0, s1, s0
	s_lshl_b32 s23, s1, 8
	s_sub_i32 s6, 0, s17
	s_cmp_eq_u32 s0, 0
	s_cselect_b64 s[0:1], -1, 0
	s_and_b64 s[4:5], s[0:1], exec
	s_cselect_b32 s19, s17, s6
	s_add_i32 s19, s19, s23
	s_cmp_lt_u32 s19, s16
	s_cbranch_scc1 .LBB34_6
; %bb.2:
	s_and_b64 vcc, exec, s[20:21]
	s_cbranch_vccz .LBB34_7
; %bb.3:
	v_cmp_gt_u32_e32 vcc, s16, v4
	s_mov_b64 s[6:7], 0
	s_mov_b64 s[4:5], 0
                                        ; implicit-def: $vgpr0_vgpr1
	s_and_saveexec_b64 s[12:13], vcc
	s_cbranch_execz .LBB34_5
; %bb.4:
	v_mov_b32_e32 v5, 0
	v_lshlrev_b64 v[0:1], 3, v[4:5]
	v_mov_b32_e32 v5, s15
	v_add_co_u32_e32 v0, vcc, s14, v0
	s_mov_b64 s[4:5], exec
	v_addc_co_u32_e32 v1, vcc, v5, v1, vcc
	s_waitcnt vmcnt(0)
	global_store_byte v4, v6, s[10:11]
.LBB34_5:
	s_or_b64 exec, exec, s[12:13]
	s_and_b64 vcc, exec, s[6:7]
	s_cbranch_vccnz .LBB34_8
	s_branch .LBB34_9
.LBB34_6:
	s_mov_b64 s[4:5], 0
                                        ; implicit-def: $vgpr0_vgpr1
	s_cbranch_execnz .LBB34_10
	s_branch .LBB34_24
.LBB34_7:
	s_mov_b64 s[4:5], 0
                                        ; implicit-def: $vgpr0_vgpr1
	s_cbranch_execz .LBB34_9
.LBB34_8:
	v_mov_b32_e32 v5, 0
	v_lshlrev_b64 v[0:1], 3, v[4:5]
	v_mov_b32_e32 v5, s15
	v_add_co_u32_e32 v0, vcc, s14, v0
	v_addc_co_u32_e32 v1, vcc, v5, v1, vcc
	s_or_b64 s[4:5], s[4:5], exec
	s_waitcnt vmcnt(0)
	global_store_byte v4, v6, s[10:11]
.LBB34_9:
	s_branch .LBB34_24
.LBB34_10:
	s_min_u32 s12, s19, s16
	s_add_i32 s6, s12, s17
	s_min_u32 s13, s6, s16
	s_min_u32 s6, s23, s12
	s_add_i32 s23, s23, s12
	v_subrev_u32_e32 v0, s23, v4
	v_add_u32_e32 v4, s6, v0
	s_and_b64 vcc, exec, s[20:21]
	s_cbranch_vccz .LBB34_18
; %bb.11:
                                        ; implicit-def: $vgpr0_vgpr1
	s_and_saveexec_b64 s[6:7], s[2:3]
	s_cbranch_execz .LBB34_17
; %bb.12:
	s_cmp_ge_u32 s19, s13
	v_mov_b32_e32 v0, s12
	s_cbranch_scc1 .LBB34_16
; %bb.13:
	s_waitcnt vmcnt(0)
	v_and_b32_e32 v1, s18, v6
	s_mov_b64 s[2:3], 0
	v_mov_b32_e32 v5, s13
	v_mov_b32_e32 v0, s12
.LBB34_14:                              ; =>This Inner Loop Header: Depth=1
	v_add_u32_e32 v7, v0, v5
	v_lshrrev_b32_e32 v7, 1, v7
	global_load_ubyte v8, v7, s[8:9]
	v_add_u32_e32 v9, 1, v7
	s_waitcnt vmcnt(0)
	v_and_b32_e32 v8, s18, v8
	v_bfe_i32 v8, v8, 0, 8
	v_cmp_gt_i16_sdwa s[16:17], v8, sext(v1) src0_sel:DWORD src1_sel:BYTE_0
	v_cndmask_b32_e64 v10, 0, 1, s[16:17]
	v_cmp_le_i16_sdwa s[16:17], sext(v1), v8 src0_sel:BYTE_0 src1_sel:DWORD
	v_cndmask_b32_e64 v8, 0, 1, s[16:17]
	v_cndmask_b32_e64 v8, v8, v10, s[0:1]
	v_and_b32_e32 v8, 1, v8
	v_cmp_eq_u32_e32 vcc, 1, v8
	v_cndmask_b32_e32 v5, v7, v5, vcc
	v_cndmask_b32_e32 v0, v0, v9, vcc
	v_cmp_ge_u32_e32 vcc, v0, v5
	s_or_b64 s[2:3], vcc, s[2:3]
	s_andn2_b64 exec, exec, s[2:3]
	s_cbranch_execnz .LBB34_14
; %bb.15:
	s_or_b64 exec, exec, s[2:3]
.LBB34_16:
	v_add_u32_e32 v0, v0, v4
	v_mov_b32_e32 v1, 0
	s_waitcnt vmcnt(0)
	global_store_byte v0, v6, s[10:11]
	v_lshlrev_b64 v[0:1], 3, v[0:1]
	v_mov_b32_e32 v5, s15
	v_add_co_u32_e32 v0, vcc, s14, v0
	v_addc_co_u32_e32 v1, vcc, v5, v1, vcc
	s_or_b64 s[4:5], s[4:5], exec
.LBB34_17:
	s_or_b64 exec, exec, s[6:7]
	s_branch .LBB34_24
.LBB34_18:
                                        ; implicit-def: $vgpr0_vgpr1
	s_cbranch_execz .LBB34_24
; %bb.19:
	s_cmp_ge_u32 s19, s13
	v_mov_b32_e32 v0, s12
	s_cbranch_scc1 .LBB34_23
; %bb.20:
	s_waitcnt vmcnt(0)
	v_and_b32_e32 v1, s18, v6
	s_mov_b64 s[2:3], 0
	v_mov_b32_e32 v5, s13
	v_mov_b32_e32 v0, s12
.LBB34_21:                              ; =>This Inner Loop Header: Depth=1
	v_add_u32_e32 v7, v0, v5
	v_lshrrev_b32_e32 v7, 1, v7
	global_load_ubyte v8, v7, s[8:9]
	v_add_u32_e32 v9, 1, v7
	s_waitcnt vmcnt(0)
	v_and_b32_e32 v8, s18, v8
	v_bfe_i32 v8, v8, 0, 8
	v_cmp_gt_i16_sdwa s[4:5], v8, sext(v1) src0_sel:DWORD src1_sel:BYTE_0
	v_cndmask_b32_e64 v10, 0, 1, s[4:5]
	v_cmp_le_i16_sdwa s[4:5], sext(v1), v8 src0_sel:BYTE_0 src1_sel:DWORD
	v_cndmask_b32_e64 v8, 0, 1, s[4:5]
	v_cndmask_b32_e64 v8, v8, v10, s[0:1]
	v_and_b32_e32 v8, 1, v8
	v_cmp_eq_u32_e32 vcc, 1, v8
	v_cndmask_b32_e32 v5, v7, v5, vcc
	v_cndmask_b32_e32 v0, v0, v9, vcc
	v_cmp_ge_u32_e32 vcc, v0, v5
	s_or_b64 s[2:3], vcc, s[2:3]
	s_andn2_b64 exec, exec, s[2:3]
	s_cbranch_execnz .LBB34_21
; %bb.22:
	s_or_b64 exec, exec, s[2:3]
.LBB34_23:
	v_add_u32_e32 v0, v0, v4
	v_mov_b32_e32 v1, 0
	s_waitcnt vmcnt(0)
	global_store_byte v0, v6, s[10:11]
	v_lshlrev_b64 v[0:1], 3, v[0:1]
	v_mov_b32_e32 v4, s15
	v_add_co_u32_e32 v0, vcc, s14, v0
	v_addc_co_u32_e32 v1, vcc, v4, v1, vcc
	s_mov_b64 s[4:5], -1
.LBB34_24:
	s_and_b64 exec, exec, s[4:5]
	s_cbranch_execz .LBB34_26
; %bb.25:
	s_waitcnt vmcnt(1)
	global_store_dwordx2 v[0:1], v[2:3], off
.LBB34_26:
	s_endpgm
	.section	.rodata,"a",@progbits
	.p2align	6, 0x0
	.amdhsa_kernel _ZN7rocprim17ROCPRIM_304000_NS6detail33device_block_merge_oddeven_kernelINS1_37wrapped_merge_sort_block_merge_configINS0_14default_configEaN2at4cuda3cub6detail10OpaqueTypeILi8EEEEEPaSC_PSA_SD_jNS1_19radix_merge_compareILb1ELb1EaNS0_19identity_decomposerEEEEEvT0_T1_T2_T3_T4_SL_T5_
		.amdhsa_group_segment_fixed_size 0
		.amdhsa_private_segment_fixed_size 0
		.amdhsa_kernarg_size 44
		.amdhsa_user_sgpr_count 6
		.amdhsa_user_sgpr_private_segment_buffer 1
		.amdhsa_user_sgpr_dispatch_ptr 0
		.amdhsa_user_sgpr_queue_ptr 0
		.amdhsa_user_sgpr_kernarg_segment_ptr 1
		.amdhsa_user_sgpr_dispatch_id 0
		.amdhsa_user_sgpr_flat_scratch_init 0
		.amdhsa_user_sgpr_kernarg_preload_length 0
		.amdhsa_user_sgpr_kernarg_preload_offset 0
		.amdhsa_user_sgpr_private_segment_size 0
		.amdhsa_uses_dynamic_stack 0
		.amdhsa_system_sgpr_private_segment_wavefront_offset 0
		.amdhsa_system_sgpr_workgroup_id_x 1
		.amdhsa_system_sgpr_workgroup_id_y 0
		.amdhsa_system_sgpr_workgroup_id_z 0
		.amdhsa_system_sgpr_workgroup_info 0
		.amdhsa_system_vgpr_workitem_id 0
		.amdhsa_next_free_vgpr 11
		.amdhsa_next_free_sgpr 24
		.amdhsa_accum_offset 12
		.amdhsa_reserve_vcc 1
		.amdhsa_reserve_flat_scratch 0
		.amdhsa_float_round_mode_32 0
		.amdhsa_float_round_mode_16_64 0
		.amdhsa_float_denorm_mode_32 3
		.amdhsa_float_denorm_mode_16_64 3
		.amdhsa_dx10_clamp 1
		.amdhsa_ieee_mode 1
		.amdhsa_fp16_overflow 0
		.amdhsa_tg_split 0
		.amdhsa_exception_fp_ieee_invalid_op 0
		.amdhsa_exception_fp_denorm_src 0
		.amdhsa_exception_fp_ieee_div_zero 0
		.amdhsa_exception_fp_ieee_overflow 0
		.amdhsa_exception_fp_ieee_underflow 0
		.amdhsa_exception_fp_ieee_inexact 0
		.amdhsa_exception_int_div_zero 0
	.end_amdhsa_kernel
	.section	.text._ZN7rocprim17ROCPRIM_304000_NS6detail33device_block_merge_oddeven_kernelINS1_37wrapped_merge_sort_block_merge_configINS0_14default_configEaN2at4cuda3cub6detail10OpaqueTypeILi8EEEEEPaSC_PSA_SD_jNS1_19radix_merge_compareILb1ELb1EaNS0_19identity_decomposerEEEEEvT0_T1_T2_T3_T4_SL_T5_,"axG",@progbits,_ZN7rocprim17ROCPRIM_304000_NS6detail33device_block_merge_oddeven_kernelINS1_37wrapped_merge_sort_block_merge_configINS0_14default_configEaN2at4cuda3cub6detail10OpaqueTypeILi8EEEEEPaSC_PSA_SD_jNS1_19radix_merge_compareILb1ELb1EaNS0_19identity_decomposerEEEEEvT0_T1_T2_T3_T4_SL_T5_,comdat
.Lfunc_end34:
	.size	_ZN7rocprim17ROCPRIM_304000_NS6detail33device_block_merge_oddeven_kernelINS1_37wrapped_merge_sort_block_merge_configINS0_14default_configEaN2at4cuda3cub6detail10OpaqueTypeILi8EEEEEPaSC_PSA_SD_jNS1_19radix_merge_compareILb1ELb1EaNS0_19identity_decomposerEEEEEvT0_T1_T2_T3_T4_SL_T5_, .Lfunc_end34-_ZN7rocprim17ROCPRIM_304000_NS6detail33device_block_merge_oddeven_kernelINS1_37wrapped_merge_sort_block_merge_configINS0_14default_configEaN2at4cuda3cub6detail10OpaqueTypeILi8EEEEEPaSC_PSA_SD_jNS1_19radix_merge_compareILb1ELb1EaNS0_19identity_decomposerEEEEEvT0_T1_T2_T3_T4_SL_T5_
                                        ; -- End function
	.section	.AMDGPU.csdata,"",@progbits
; Kernel info:
; codeLenInByte = 776
; NumSgprs: 28
; NumVgprs: 11
; NumAgprs: 0
; TotalNumVgprs: 11
; ScratchSize: 0
; MemoryBound: 0
; FloatMode: 240
; IeeeMode: 1
; LDSByteSize: 0 bytes/workgroup (compile time only)
; SGPRBlocks: 3
; VGPRBlocks: 1
; NumSGPRsForWavesPerEU: 28
; NumVGPRsForWavesPerEU: 11
; AccumOffset: 12
; Occupancy: 8
; WaveLimiterHint : 0
; COMPUTE_PGM_RSRC2:SCRATCH_EN: 0
; COMPUTE_PGM_RSRC2:USER_SGPR: 6
; COMPUTE_PGM_RSRC2:TRAP_HANDLER: 0
; COMPUTE_PGM_RSRC2:TGID_X_EN: 1
; COMPUTE_PGM_RSRC2:TGID_Y_EN: 0
; COMPUTE_PGM_RSRC2:TGID_Z_EN: 0
; COMPUTE_PGM_RSRC2:TIDIG_COMP_CNT: 0
; COMPUTE_PGM_RSRC3_GFX90A:ACCUM_OFFSET: 2
; COMPUTE_PGM_RSRC3_GFX90A:TG_SPLIT: 0
	.section	.text._ZN7rocprim17ROCPRIM_304000_NS6detail26onesweep_histograms_kernelINS1_34wrapped_radix_sort_onesweep_configINS0_14default_configEaN2at4cuda3cub6detail10OpaqueTypeILi8EEEEELb1EPKamNS0_19identity_decomposerEEEvT1_PT2_SG_SG_T3_jj,"axG",@progbits,_ZN7rocprim17ROCPRIM_304000_NS6detail26onesweep_histograms_kernelINS1_34wrapped_radix_sort_onesweep_configINS0_14default_configEaN2at4cuda3cub6detail10OpaqueTypeILi8EEEEELb1EPKamNS0_19identity_decomposerEEEvT1_PT2_SG_SG_T3_jj,comdat
	.protected	_ZN7rocprim17ROCPRIM_304000_NS6detail26onesweep_histograms_kernelINS1_34wrapped_radix_sort_onesweep_configINS0_14default_configEaN2at4cuda3cub6detail10OpaqueTypeILi8EEEEELb1EPKamNS0_19identity_decomposerEEEvT1_PT2_SG_SG_T3_jj ; -- Begin function _ZN7rocprim17ROCPRIM_304000_NS6detail26onesweep_histograms_kernelINS1_34wrapped_radix_sort_onesweep_configINS0_14default_configEaN2at4cuda3cub6detail10OpaqueTypeILi8EEEEELb1EPKamNS0_19identity_decomposerEEEvT1_PT2_SG_SG_T3_jj
	.globl	_ZN7rocprim17ROCPRIM_304000_NS6detail26onesweep_histograms_kernelINS1_34wrapped_radix_sort_onesweep_configINS0_14default_configEaN2at4cuda3cub6detail10OpaqueTypeILi8EEEEELb1EPKamNS0_19identity_decomposerEEEvT1_PT2_SG_SG_T3_jj
	.p2align	8
	.type	_ZN7rocprim17ROCPRIM_304000_NS6detail26onesweep_histograms_kernelINS1_34wrapped_radix_sort_onesweep_configINS0_14default_configEaN2at4cuda3cub6detail10OpaqueTypeILi8EEEEELb1EPKamNS0_19identity_decomposerEEEvT1_PT2_SG_SG_T3_jj,@function
_ZN7rocprim17ROCPRIM_304000_NS6detail26onesweep_histograms_kernelINS1_34wrapped_radix_sort_onesweep_configINS0_14default_configEaN2at4cuda3cub6detail10OpaqueTypeILi8EEEEELb1EPKamNS0_19identity_decomposerEEEvT1_PT2_SG_SG_T3_jj: ; @_ZN7rocprim17ROCPRIM_304000_NS6detail26onesweep_histograms_kernelINS1_34wrapped_radix_sort_onesweep_configINS0_14default_configEaN2at4cuda3cub6detail10OpaqueTypeILi8EEEEELb1EPKamNS0_19identity_decomposerEEEvT1_PT2_SG_SG_T3_jj
; %bb.0:
	s_load_dwordx8 s[8:15], s[4:5], 0x0
	s_load_dwordx2 s[16:17], s[4:5], 0x24
	s_mov_b32 s7, 0
	s_mul_i32 s1, s6, 0xc00
	s_mul_hi_u32 s0, s6, 0xc00
	s_waitcnt lgkmcnt(0)
	v_pk_mov_b32 v[2:3], s[14:15], s[14:15] op_sel:[0,1]
	v_cmp_ge_u64_e32 vcc, s[6:7], v[2:3]
	s_add_u32 s18, s8, s1
	s_addc_u32 s19, s9, s0
	s_mov_b64 s[0:1], -1
	s_cbranch_vccz .LBB35_50
; %bb.1:
	s_mulk_i32 s14, 0xf400
	s_add_i32 s14, s14, s12
	v_mov_b32_e32 v1, s19
	v_add_co_u32_e32 v2, vcc, s18, v0
	v_addc_co_u32_e32 v3, vcc, 0, v1, vcc
	v_cmp_gt_u32_e64 s[8:9], s14, v0
                                        ; implicit-def: $vgpr8
	s_and_saveexec_b64 s[0:1], s[8:9]
	s_cbranch_execz .LBB35_3
; %bb.2:
	global_load_ubyte v8, v[2:3], off
.LBB35_3:
	s_or_b64 exec, exec, s[0:1]
	v_or_b32_e32 v1, 0x200, v0
	v_cmp_gt_u32_e64 s[6:7], s14, v1
                                        ; implicit-def: $vgpr7
	s_and_saveexec_b64 s[0:1], s[6:7]
	s_cbranch_execz .LBB35_5
; %bb.4:
	global_load_ubyte v7, v[2:3], off offset:512
.LBB35_5:
	s_or_b64 exec, exec, s[0:1]
	v_or_b32_e32 v1, 0x400, v0
	v_cmp_gt_u32_e64 s[4:5], s14, v1
                                        ; implicit-def: $vgpr6
	s_and_saveexec_b64 s[0:1], s[4:5]
	s_cbranch_execz .LBB35_7
; %bb.6:
	global_load_ubyte v6, v[2:3], off offset:1024
.LBB35_7:
	s_or_b64 exec, exec, s[0:1]
	v_or_b32_e32 v1, 0x600, v0
	v_cmp_gt_u32_e64 s[2:3], s14, v1
                                        ; implicit-def: $vgpr5
	s_and_saveexec_b64 s[0:1], s[2:3]
	s_cbranch_execz .LBB35_9
; %bb.8:
	global_load_ubyte v5, v[2:3], off offset:1536
.LBB35_9:
	s_or_b64 exec, exec, s[0:1]
	v_or_b32_e32 v1, 0x800, v0
	v_cmp_gt_u32_e64 s[0:1], s14, v1
                                        ; implicit-def: $vgpr4
	s_and_saveexec_b64 s[12:13], s[0:1]
	s_cbranch_execz .LBB35_11
; %bb.10:
	global_load_ubyte v4, v[2:3], off offset:2048
.LBB35_11:
	s_or_b64 exec, exec, s[12:13]
	v_or_b32_e32 v1, 0xa00, v0
	v_cmp_gt_u32_e32 vcc, s14, v1
                                        ; implicit-def: $vgpr1
	s_and_saveexec_b64 s[12:13], vcc
	s_cbranch_execz .LBB35_13
; %bb.12:
	global_load_ubyte v1, v[2:3], off offset:2560
.LBB35_13:
	s_or_b64 exec, exec, s[12:13]
	v_lshlrev_b32_e32 v2, 2, v0
	s_mov_b32 s22, 0
	s_mov_b64 s[12:13], 0
	v_mov_b32_e32 v3, 0
	s_branch .LBB35_15
.LBB35_14:                              ;   in Loop: Header=BB35_15 Depth=1
	s_or_b64 exec, exec, s[20:21]
	s_add_i32 s22, s22, 2
	v_cmp_eq_u32_e64 s[14:15], 2, s22
	s_or_b64 s[12:13], s[14:15], s[12:13]
	v_add_u32_e32 v2, 0x1000, v2
	s_andn2_b64 exec, exec, s[12:13]
	s_cbranch_execz .LBB35_19
.LBB35_15:                              ; =>This Inner Loop Header: Depth=1
	s_or_b32 s14, s22, 1
	v_cmp_le_u32_e64 s[14:15], s14, 1
	v_cmp_le_u32_e64 s[24:25], s22, 1
	s_and_saveexec_b64 s[20:21], s[24:25]
	s_cbranch_execz .LBB35_17
; %bb.16:                               ;   in Loop: Header=BB35_15 Depth=1
	ds_write_b32 v2, v3
.LBB35_17:                              ;   in Loop: Header=BB35_15 Depth=1
	s_or_b64 exec, exec, s[20:21]
	s_and_saveexec_b64 s[20:21], s[14:15]
	s_cbranch_execz .LBB35_14
; %bb.18:                               ;   in Loop: Header=BB35_15 Depth=1
	ds_write_b32 v2, v3 offset:2048
	s_branch .LBB35_14
.LBB35_19:
	s_or_b64 exec, exec, s[12:13]
	s_cmp_gt_u32 s17, s16
	s_cselect_b64 s[12:13], -1, 0
	s_cmp_le_u32 s17, s16
	s_waitcnt lgkmcnt(0)
	s_barrier
	s_cbranch_scc1 .LBB35_44
; %bb.20:
	v_and_b32_e32 v2, 3, v0
	v_lshlrev_b32_e32 v2, 2, v2
	s_sub_i32 s20, s17, s16
	s_waitcnt vmcnt(0)
	v_xor_b32_e32 v3, 0x7f, v8
	v_mov_b32_e32 v8, 1
	s_mov_b32 s21, s20
	v_mov_b32_e32 v9, v2
	s_mov_b32 s22, s16
	s_branch .LBB35_22
.LBB35_21:                              ;   in Loop: Header=BB35_22 Depth=1
	s_or_b64 exec, exec, s[14:15]
	s_add_i32 s22, s22, 8
	s_add_i32 s21, s21, -8
	s_cmp_ge_u32 s22, s17
	v_add_u32_e32 v9, 0x1000, v9
	s_cbranch_scc1 .LBB35_24
.LBB35_22:                              ; =>This Inner Loop Header: Depth=1
	s_and_saveexec_b64 s[14:15], s[8:9]
	s_cbranch_execz .LBB35_21
; %bb.23:                               ;   in Loop: Header=BB35_22 Depth=1
	s_min_u32 s23, s21, 8
	v_lshrrev_b32_sdwa v10, s22, v3 dst_sel:DWORD dst_unused:UNUSED_PAD src0_sel:DWORD src1_sel:BYTE_0
	v_bfe_u32 v10, v10, 0, s23
	v_lshl_add_u32 v10, v10, 4, v9
	ds_add_u32 v10, v8
	s_branch .LBB35_21
.LBB35_24:
	v_xor_b32_e32 v3, 0x7f, v7
	v_mov_b32_e32 v7, 1
	s_mov_b32 s14, s20
	v_mov_b32_e32 v8, v2
	s_mov_b32 s15, s16
	s_branch .LBB35_26
.LBB35_25:                              ;   in Loop: Header=BB35_26 Depth=1
	s_or_b64 exec, exec, s[8:9]
	s_add_i32 s15, s15, 8
	s_add_i32 s14, s14, -8
	s_cmp_lt_u32 s15, s17
	v_add_u32_e32 v8, 0x1000, v8
	s_cbranch_scc0 .LBB35_28
.LBB35_26:                              ; =>This Inner Loop Header: Depth=1
	s_and_saveexec_b64 s[8:9], s[6:7]
	s_cbranch_execz .LBB35_25
; %bb.27:                               ;   in Loop: Header=BB35_26 Depth=1
	s_min_u32 s21, s14, 8
	v_lshrrev_b32_sdwa v9, s15, v3 dst_sel:DWORD dst_unused:UNUSED_PAD src0_sel:DWORD src1_sel:BYTE_0
	v_bfe_u32 v9, v9, 0, s21
	v_lshl_add_u32 v9, v9, 4, v8
	ds_add_u32 v9, v7
	s_branch .LBB35_25
.LBB35_28:
	v_xor_b32_e32 v3, 0x7f, v6
	v_mov_b32_e32 v6, 1
	s_mov_b32 s8, s20
	v_mov_b32_e32 v7, v2
	s_mov_b32 s9, s16
	s_branch .LBB35_30
.LBB35_29:                              ;   in Loop: Header=BB35_30 Depth=1
	s_or_b64 exec, exec, s[6:7]
	s_add_i32 s9, s9, 8
	s_add_i32 s8, s8, -8
	s_cmp_lt_u32 s9, s17
	v_add_u32_e32 v7, 0x1000, v7
	s_cbranch_scc0 .LBB35_32
.LBB35_30:                              ; =>This Inner Loop Header: Depth=1
	s_and_saveexec_b64 s[6:7], s[4:5]
	s_cbranch_execz .LBB35_29
; %bb.31:                               ;   in Loop: Header=BB35_30 Depth=1
	s_min_u32 s14, s8, 8
	v_lshrrev_b32_sdwa v8, s9, v3 dst_sel:DWORD dst_unused:UNUSED_PAD src0_sel:DWORD src1_sel:BYTE_0
	v_bfe_u32 v8, v8, 0, s14
	v_lshl_add_u32 v8, v8, 4, v7
	ds_add_u32 v8, v6
	s_branch .LBB35_29
.LBB35_32:
	;; [unrolled: 24-line block ×4, first 2 shown]
	v_xor_b32_e32 v1, 0x7f, v1
	v_mov_b32_e32 v3, 1
	s_mov_b32 s2, s16
	s_branch .LBB35_42
.LBB35_41:                              ;   in Loop: Header=BB35_42 Depth=1
	s_or_b64 exec, exec, s[0:1]
	s_add_i32 s2, s2, 8
	s_add_i32 s20, s20, -8
	s_cmp_lt_u32 s2, s17
	v_add_u32_e32 v2, 0x1000, v2
	s_cbranch_scc0 .LBB35_44
.LBB35_42:                              ; =>This Inner Loop Header: Depth=1
	s_and_saveexec_b64 s[0:1], vcc
	s_cbranch_execz .LBB35_41
; %bb.43:                               ;   in Loop: Header=BB35_42 Depth=1
	s_min_u32 s3, s20, 8
	v_lshrrev_b32_sdwa v4, s2, v1 dst_sel:DWORD dst_unused:UNUSED_PAD src0_sel:DWORD src1_sel:BYTE_0
	v_bfe_u32 v4, v4, 0, s3
	v_lshl_add_u32 v4, v4, 4, v2
	ds_add_u32 v4, v3
	s_branch .LBB35_41
.LBB35_44:
	s_and_b64 vcc, exec, s[12:13]
	s_waitcnt lgkmcnt(0)
	s_barrier
	s_cbranch_vccz .LBB35_49
; %bb.45:
	s_movk_i32 s0, 0x100
	v_cmp_gt_u32_e32 vcc, s0, v0
	s_waitcnt vmcnt(0)
	v_lshlrev_b32_e32 v1, 4, v0
	v_mov_b32_e32 v3, 0
	v_mov_b32_e32 v2, v0
	s_mov_b32 s4, s16
	s_branch .LBB35_47
.LBB35_46:                              ;   in Loop: Header=BB35_47 Depth=1
	s_or_b64 exec, exec, s[2:3]
	s_add_i32 s4, s4, 8
	v_add_u32_e32 v2, 0x100, v2
	s_cmp_lt_u32 s4, s17
	v_add_u32_e32 v1, 0x1000, v1
	s_cbranch_scc0 .LBB35_49
.LBB35_47:                              ; =>This Inner Loop Header: Depth=1
	s_and_saveexec_b64 s[2:3], vcc
	s_cbranch_execz .LBB35_46
; %bb.48:                               ;   in Loop: Header=BB35_47 Depth=1
	ds_read2_b32 v[4:5], v1 offset1:1
	ds_read2_b32 v[6:7], v1 offset0:2 offset1:3
	v_lshlrev_b64 v[8:9], 3, v[2:3]
	v_mov_b32_e32 v10, s11
	s_waitcnt lgkmcnt(1)
	v_add_u32_e32 v4, v5, v4
	s_waitcnt lgkmcnt(0)
	v_add3_u32 v4, v4, v6, v7
	v_add_co_u32_e64 v6, s[0:1], s10, v8
	v_addc_co_u32_e64 v7, s[0:1], v10, v9, s[0:1]
	v_mov_b32_e32 v5, v3
	global_atomic_add_x2 v[6:7], v[4:5], off
	s_branch .LBB35_46
.LBB35_49:
	s_mov_b64 s[0:1], 0
.LBB35_50:
	s_and_b64 vcc, exec, s[0:1]
	s_cbranch_vccz .LBB35_86
; %bb.51:
	global_load_ubyte v4, v0, s[18:19]
	global_load_ubyte v5, v0, s[18:19] offset:512
	global_load_ubyte v6, v0, s[18:19] offset:1024
	;; [unrolled: 1-line block ×5, first 2 shown]
	s_cmp_eq_u32 s16, 0
	s_cselect_b64 s[0:1], -1, 0
	s_cmp_eq_u32 s17, 8
	s_cselect_b64 s[2:3], -1, 0
	s_and_b64 s[2:3], s[0:1], s[2:3]
	s_mov_b32 s6, 0
	v_mov_b32_e32 v2, 0
	s_mov_b64 s[0:1], -1
	s_and_b64 vcc, exec, s[2:3]
	s_waitcnt vmcnt(6)
	v_lshlrev_b32_e32 v1, 2, v0
	s_cbranch_vccnz .LBB35_77
; %bb.52:
	v_lshlrev_b32_e32 v3, 2, v0
	s_mov_b64 s[0:1], 0
	s_branch .LBB35_54
.LBB35_53:                              ;   in Loop: Header=BB35_54 Depth=1
	s_or_b64 exec, exec, s[4:5]
	s_add_i32 s6, s6, 2
	v_cmp_eq_u32_e64 s[2:3], 2, s6
	s_or_b64 s[0:1], s[2:3], s[0:1]
	v_add_u32_e32 v3, 0x1000, v3
	s_andn2_b64 exec, exec, s[0:1]
	s_cbranch_execz .LBB35_58
.LBB35_54:                              ; =>This Inner Loop Header: Depth=1
	s_or_b32 s2, s6, 1
	v_cmp_le_u32_e64 s[2:3], s2, 1
	v_cmp_le_u32_e64 s[8:9], s6, 1
	s_and_saveexec_b64 s[4:5], s[8:9]
	s_cbranch_execz .LBB35_56
; %bb.55:                               ;   in Loop: Header=BB35_54 Depth=1
	ds_write_b32 v3, v2
.LBB35_56:                              ;   in Loop: Header=BB35_54 Depth=1
	s_or_b64 exec, exec, s[4:5]
	s_and_saveexec_b64 s[4:5], s[2:3]
	s_cbranch_execz .LBB35_53
; %bb.57:                               ;   in Loop: Header=BB35_54 Depth=1
	ds_write_b32 v3, v2 offset:2048
	s_branch .LBB35_53
.LBB35_58:
	s_or_b64 exec, exec, s[0:1]
	s_cmp_gt_u32 s17, s16
	s_cselect_b64 s[0:1], -1, 0
	s_cmp_le_u32 s17, s16
	s_waitcnt lgkmcnt(0)
	s_barrier
	s_cbranch_scc1 .LBB35_71
; %bb.59:
	v_and_b32_e32 v2, 3, v0
	v_lshlrev_b32_e32 v2, 2, v2
	s_sub_i32 s2, s17, s16
	s_waitcnt vmcnt(5)
	v_xor_b32_e32 v3, 0x7f, v4
	v_mov_b32_e32 v10, 1
	s_mov_b32 s3, s2
	v_mov_b32_e32 v11, v2
	s_mov_b32 s4, s16
.LBB35_60:                              ; =>This Inner Loop Header: Depth=1
	s_min_u32 s5, s3, 8
	v_lshrrev_b32_sdwa v12, s4, v3 dst_sel:DWORD dst_unused:UNUSED_PAD src0_sel:DWORD src1_sel:BYTE_0
	v_bfe_u32 v12, v12, 0, s5
	v_lshl_add_u32 v12, v12, 4, v11
	ds_add_u32 v12, v10
	s_add_i32 s4, s4, 8
	s_add_i32 s3, s3, -8
	s_cmp_ge_u32 s4, s17
	v_add_u32_e32 v11, 0x1000, v11
	s_cbranch_scc0 .LBB35_60
; %bb.61:
	s_waitcnt vmcnt(4)
	v_xor_b32_e32 v3, 0x7f, v5
	v_mov_b32_e32 v10, 1
	s_mov_b32 s3, s2
	v_mov_b32_e32 v11, v2
	s_mov_b32 s4, s16
.LBB35_62:                              ; =>This Inner Loop Header: Depth=1
	s_min_u32 s5, s3, 8
	v_lshrrev_b32_sdwa v12, s4, v3 dst_sel:DWORD dst_unused:UNUSED_PAD src0_sel:DWORD src1_sel:BYTE_0
	v_bfe_u32 v12, v12, 0, s5
	v_lshl_add_u32 v12, v12, 4, v11
	ds_add_u32 v12, v10
	s_add_i32 s4, s4, 8
	s_add_i32 s3, s3, -8
	s_cmp_lt_u32 s4, s17
	v_add_u32_e32 v11, 0x1000, v11
	s_cbranch_scc1 .LBB35_62
; %bb.63:
	s_waitcnt vmcnt(3)
	v_xor_b32_e32 v3, 0x7f, v6
	v_mov_b32_e32 v10, 1
	s_mov_b32 s3, s2
	v_mov_b32_e32 v11, v2
	s_mov_b32 s4, s16
.LBB35_64:                              ; =>This Inner Loop Header: Depth=1
	s_min_u32 s5, s3, 8
	v_lshrrev_b32_sdwa v12, s4, v3 dst_sel:DWORD dst_unused:UNUSED_PAD src0_sel:DWORD src1_sel:BYTE_0
	v_bfe_u32 v12, v12, 0, s5
	v_lshl_add_u32 v12, v12, 4, v11
	ds_add_u32 v12, v10
	s_add_i32 s4, s4, 8
	s_add_i32 s3, s3, -8
	s_cmp_lt_u32 s4, s17
	v_add_u32_e32 v11, 0x1000, v11
	s_cbranch_scc1 .LBB35_64
	;; [unrolled: 18-line block ×4, first 2 shown]
; %bb.69:
	s_waitcnt vmcnt(0)
	v_xor_b32_e32 v3, 0x7f, v9
	v_mov_b32_e32 v10, 1
	s_mov_b32 s3, s16
.LBB35_70:                              ; =>This Inner Loop Header: Depth=1
	s_min_u32 s4, s2, 8
	v_lshrrev_b32_sdwa v11, s3, v3 dst_sel:DWORD dst_unused:UNUSED_PAD src0_sel:DWORD src1_sel:BYTE_0
	v_bfe_u32 v11, v11, 0, s4
	v_lshl_add_u32 v11, v11, 4, v2
	ds_add_u32 v11, v10
	s_add_i32 s3, s3, 8
	s_add_i32 s2, s2, -8
	s_cmp_lt_u32 s3, s17
	v_add_u32_e32 v2, 0x1000, v2
	s_cbranch_scc1 .LBB35_70
.LBB35_71:
	s_and_b64 vcc, exec, s[0:1]
	s_waitcnt lgkmcnt(0)
	s_barrier
	s_cbranch_vccz .LBB35_76
; %bb.72:
	s_movk_i32 s0, 0x100
	v_cmp_gt_u32_e32 vcc, s0, v0
	v_lshlrev_b32_e32 v10, 4, v0
	v_mov_b32_e32 v3, 0
	v_mov_b32_e32 v2, v0
	s_branch .LBB35_74
.LBB35_73:                              ;   in Loop: Header=BB35_74 Depth=1
	s_or_b64 exec, exec, s[2:3]
	s_add_i32 s16, s16, 8
	v_add_u32_e32 v2, 0x100, v2
	s_cmp_ge_u32 s16, s17
	v_add_u32_e32 v10, 0x1000, v10
	s_cbranch_scc1 .LBB35_76
.LBB35_74:                              ; =>This Inner Loop Header: Depth=1
	s_and_saveexec_b64 s[2:3], vcc
	s_cbranch_execz .LBB35_73
; %bb.75:                               ;   in Loop: Header=BB35_74 Depth=1
	ds_read2_b32 v[12:13], v10 offset1:1
	ds_read2_b32 v[14:15], v10 offset0:2 offset1:3
	v_lshlrev_b64 v[16:17], 3, v[2:3]
	v_mov_b32_e32 v11, s11
	s_waitcnt lgkmcnt(1)
	v_add_u32_e32 v12, v13, v12
	s_waitcnt lgkmcnt(0)
	v_add3_u32 v12, v12, v14, v15
	v_add_co_u32_e64 v14, s[0:1], s10, v16
	v_addc_co_u32_e64 v15, s[0:1], v11, v17, s[0:1]
	v_mov_b32_e32 v13, v3
	global_atomic_add_x2 v[14:15], v[12:13], off
	s_branch .LBB35_73
.LBB35_76:
	s_mov_b64 s[0:1], 0
.LBB35_77:
	s_and_b64 vcc, exec, s[0:1]
	s_cbranch_vccz .LBB35_86
; %bb.78:
	s_mov_b32 s6, 0
	s_mov_b64 s[0:1], 0
	v_mov_b32_e32 v2, 0
	v_mov_b32_e32 v3, v1
	s_branch .LBB35_80
.LBB35_79:                              ;   in Loop: Header=BB35_80 Depth=1
	s_or_b64 exec, exec, s[4:5]
	s_add_i32 s6, s6, 2
	v_cmp_eq_u32_e64 s[2:3], 2, s6
	s_or_b64 s[0:1], s[2:3], s[0:1]
	v_add_u32_e32 v3, 0x1000, v3
	s_andn2_b64 exec, exec, s[0:1]
	s_cbranch_execz .LBB35_84
.LBB35_80:                              ; =>This Inner Loop Header: Depth=1
	s_or_b32 s2, s6, 1
	v_cmp_le_u32_e64 s[2:3], s2, 1
	v_cmp_le_u32_e64 s[8:9], s6, 1
	s_and_saveexec_b64 s[4:5], s[8:9]
	s_cbranch_execz .LBB35_82
; %bb.81:                               ;   in Loop: Header=BB35_80 Depth=1
	ds_write_b32 v3, v2
.LBB35_82:                              ;   in Loop: Header=BB35_80 Depth=1
	s_or_b64 exec, exec, s[4:5]
	s_and_saveexec_b64 s[4:5], s[2:3]
	s_cbranch_execz .LBB35_79
; %bb.83:                               ;   in Loop: Header=BB35_80 Depth=1
	ds_write_b32 v3, v2 offset:2048
	s_branch .LBB35_79
.LBB35_84:
	s_or_b64 exec, exec, s[0:1]
	s_waitcnt vmcnt(5)
	v_xor_b32_e32 v2, 0x7f, v4
	s_waitcnt vmcnt(3)
	v_xor_b32_e32 v4, 0x7f, v6
	s_waitcnt vmcnt(1)
	v_xor_b32_e32 v6, 0x7f, v8
	v_and_b32_e32 v8, 3, v0
	v_and_b32_e32 v2, 0xff, v2
	v_lshlrev_b32_e32 v8, 2, v8
	v_xor_b32_e32 v3, 0x7f, v5
	v_xor_b32_e32 v5, 0x7f, v7
	s_waitcnt vmcnt(0)
	v_xor_b32_e32 v7, 0x7f, v9
	v_lshl_or_b32 v2, v2, 4, v8
	v_mov_b32_e32 v9, 1
	s_waitcnt lgkmcnt(0)
	s_barrier
	ds_add_u32 v2, v9
	v_and_b32_e32 v2, 0xff, v3
	v_lshl_or_b32 v2, v2, 4, v8
	ds_add_u32 v2, v9
	v_and_b32_e32 v2, 0xff, v4
	v_lshl_or_b32 v2, v2, 4, v8
	;; [unrolled: 3-line block ×5, first 2 shown]
	ds_add_u32 v2, v9
	s_movk_i32 s0, 0x100
	v_cmp_gt_u32_e32 vcc, s0, v0
	s_waitcnt lgkmcnt(0)
	s_barrier
	s_and_saveexec_b64 s[0:1], vcc
	s_cbranch_execz .LBB35_86
; %bb.85:
	v_lshlrev_b32_e32 v1, 2, v1
	ds_read2_b32 v[2:3], v1 offset1:1
	ds_read2_b32 v[4:5], v1 offset0:2 offset1:3
	v_lshlrev_b32_e32 v6, 3, v0
	v_mov_b32_e32 v1, 0
	s_waitcnt lgkmcnt(1)
	v_add_u32_e32 v0, v3, v2
	s_waitcnt lgkmcnt(0)
	v_add3_u32 v0, v0, v4, v5
	global_atomic_add_x2 v6, v[0:1], s[10:11]
.LBB35_86:
	s_endpgm
	.section	.rodata,"a",@progbits
	.p2align	6, 0x0
	.amdhsa_kernel _ZN7rocprim17ROCPRIM_304000_NS6detail26onesweep_histograms_kernelINS1_34wrapped_radix_sort_onesweep_configINS0_14default_configEaN2at4cuda3cub6detail10OpaqueTypeILi8EEEEELb1EPKamNS0_19identity_decomposerEEEvT1_PT2_SG_SG_T3_jj
		.amdhsa_group_segment_fixed_size 4096
		.amdhsa_private_segment_fixed_size 0
		.amdhsa_kernarg_size 44
		.amdhsa_user_sgpr_count 6
		.amdhsa_user_sgpr_private_segment_buffer 1
		.amdhsa_user_sgpr_dispatch_ptr 0
		.amdhsa_user_sgpr_queue_ptr 0
		.amdhsa_user_sgpr_kernarg_segment_ptr 1
		.amdhsa_user_sgpr_dispatch_id 0
		.amdhsa_user_sgpr_flat_scratch_init 0
		.amdhsa_user_sgpr_kernarg_preload_length 0
		.amdhsa_user_sgpr_kernarg_preload_offset 0
		.amdhsa_user_sgpr_private_segment_size 0
		.amdhsa_uses_dynamic_stack 0
		.amdhsa_system_sgpr_private_segment_wavefront_offset 0
		.amdhsa_system_sgpr_workgroup_id_x 1
		.amdhsa_system_sgpr_workgroup_id_y 0
		.amdhsa_system_sgpr_workgroup_id_z 0
		.amdhsa_system_sgpr_workgroup_info 0
		.amdhsa_system_vgpr_workitem_id 0
		.amdhsa_next_free_vgpr 18
		.amdhsa_next_free_sgpr 26
		.amdhsa_accum_offset 20
		.amdhsa_reserve_vcc 1
		.amdhsa_reserve_flat_scratch 0
		.amdhsa_float_round_mode_32 0
		.amdhsa_float_round_mode_16_64 0
		.amdhsa_float_denorm_mode_32 3
		.amdhsa_float_denorm_mode_16_64 3
		.amdhsa_dx10_clamp 1
		.amdhsa_ieee_mode 1
		.amdhsa_fp16_overflow 0
		.amdhsa_tg_split 0
		.amdhsa_exception_fp_ieee_invalid_op 0
		.amdhsa_exception_fp_denorm_src 0
		.amdhsa_exception_fp_ieee_div_zero 0
		.amdhsa_exception_fp_ieee_overflow 0
		.amdhsa_exception_fp_ieee_underflow 0
		.amdhsa_exception_fp_ieee_inexact 0
		.amdhsa_exception_int_div_zero 0
	.end_amdhsa_kernel
	.section	.text._ZN7rocprim17ROCPRIM_304000_NS6detail26onesweep_histograms_kernelINS1_34wrapped_radix_sort_onesweep_configINS0_14default_configEaN2at4cuda3cub6detail10OpaqueTypeILi8EEEEELb1EPKamNS0_19identity_decomposerEEEvT1_PT2_SG_SG_T3_jj,"axG",@progbits,_ZN7rocprim17ROCPRIM_304000_NS6detail26onesweep_histograms_kernelINS1_34wrapped_radix_sort_onesweep_configINS0_14default_configEaN2at4cuda3cub6detail10OpaqueTypeILi8EEEEELb1EPKamNS0_19identity_decomposerEEEvT1_PT2_SG_SG_T3_jj,comdat
.Lfunc_end35:
	.size	_ZN7rocprim17ROCPRIM_304000_NS6detail26onesweep_histograms_kernelINS1_34wrapped_radix_sort_onesweep_configINS0_14default_configEaN2at4cuda3cub6detail10OpaqueTypeILi8EEEEELb1EPKamNS0_19identity_decomposerEEEvT1_PT2_SG_SG_T3_jj, .Lfunc_end35-_ZN7rocprim17ROCPRIM_304000_NS6detail26onesweep_histograms_kernelINS1_34wrapped_radix_sort_onesweep_configINS0_14default_configEaN2at4cuda3cub6detail10OpaqueTypeILi8EEEEELb1EPKamNS0_19identity_decomposerEEEvT1_PT2_SG_SG_T3_jj
                                        ; -- End function
	.section	.AMDGPU.csdata,"",@progbits
; Kernel info:
; codeLenInByte = 2616
; NumSgprs: 30
; NumVgprs: 18
; NumAgprs: 0
; TotalNumVgprs: 18
; ScratchSize: 0
; MemoryBound: 0
; FloatMode: 240
; IeeeMode: 1
; LDSByteSize: 4096 bytes/workgroup (compile time only)
; SGPRBlocks: 3
; VGPRBlocks: 2
; NumSGPRsForWavesPerEU: 30
; NumVGPRsForWavesPerEU: 18
; AccumOffset: 20
; Occupancy: 8
; WaveLimiterHint : 1
; COMPUTE_PGM_RSRC2:SCRATCH_EN: 0
; COMPUTE_PGM_RSRC2:USER_SGPR: 6
; COMPUTE_PGM_RSRC2:TRAP_HANDLER: 0
; COMPUTE_PGM_RSRC2:TGID_X_EN: 1
; COMPUTE_PGM_RSRC2:TGID_Y_EN: 0
; COMPUTE_PGM_RSRC2:TGID_Z_EN: 0
; COMPUTE_PGM_RSRC2:TIDIG_COMP_CNT: 0
; COMPUTE_PGM_RSRC3_GFX90A:ACCUM_OFFSET: 4
; COMPUTE_PGM_RSRC3_GFX90A:TG_SPLIT: 0
	.section	.text._ZN7rocprim17ROCPRIM_304000_NS6detail31onesweep_scan_histograms_kernelINS1_34wrapped_radix_sort_onesweep_configINS0_14default_configEaN2at4cuda3cub6detail10OpaqueTypeILi8EEEEEmEEvPT0_,"axG",@progbits,_ZN7rocprim17ROCPRIM_304000_NS6detail31onesweep_scan_histograms_kernelINS1_34wrapped_radix_sort_onesweep_configINS0_14default_configEaN2at4cuda3cub6detail10OpaqueTypeILi8EEEEEmEEvPT0_,comdat
	.protected	_ZN7rocprim17ROCPRIM_304000_NS6detail31onesweep_scan_histograms_kernelINS1_34wrapped_radix_sort_onesweep_configINS0_14default_configEaN2at4cuda3cub6detail10OpaqueTypeILi8EEEEEmEEvPT0_ ; -- Begin function _ZN7rocprim17ROCPRIM_304000_NS6detail31onesweep_scan_histograms_kernelINS1_34wrapped_radix_sort_onesweep_configINS0_14default_configEaN2at4cuda3cub6detail10OpaqueTypeILi8EEEEEmEEvPT0_
	.globl	_ZN7rocprim17ROCPRIM_304000_NS6detail31onesweep_scan_histograms_kernelINS1_34wrapped_radix_sort_onesweep_configINS0_14default_configEaN2at4cuda3cub6detail10OpaqueTypeILi8EEEEEmEEvPT0_
	.p2align	8
	.type	_ZN7rocprim17ROCPRIM_304000_NS6detail31onesweep_scan_histograms_kernelINS1_34wrapped_radix_sort_onesweep_configINS0_14default_configEaN2at4cuda3cub6detail10OpaqueTypeILi8EEEEEmEEvPT0_,@function
_ZN7rocprim17ROCPRIM_304000_NS6detail31onesweep_scan_histograms_kernelINS1_34wrapped_radix_sort_onesweep_configINS0_14default_configEaN2at4cuda3cub6detail10OpaqueTypeILi8EEEEEmEEvPT0_: ; @_ZN7rocprim17ROCPRIM_304000_NS6detail31onesweep_scan_histograms_kernelINS1_34wrapped_radix_sort_onesweep_configINS0_14default_configEaN2at4cuda3cub6detail10OpaqueTypeILi8EEEEEmEEvPT0_
; %bb.0:
	s_load_dwordx2 s[0:1], s[4:5], 0x0
	s_lshl_b32 s2, s6, 8
	s_mov_b32 s3, 0
	s_lshl_b64 s[2:3], s[2:3], 3
	v_lshlrev_b32_e32 v5, 3, v0
	s_waitcnt lgkmcnt(0)
	s_add_u32 s6, s0, s2
	s_movk_i32 s0, 0x100
	s_addc_u32 s7, s1, s3
	v_cmp_gt_u32_e32 vcc, s0, v0
                                        ; implicit-def: $vgpr2_vgpr3
	s_and_saveexec_b64 s[0:1], vcc
	s_cbranch_execz .LBB36_2
; %bb.1:
	global_load_dwordx2 v[2:3], v5, s[6:7]
.LBB36_2:
	s_or_b64 exec, exec, s[0:1]
	s_waitcnt vmcnt(0)
	v_mov_b32_dpp v4, v2 row_shr:1 row_mask:0xf bank_mask:0xf
	v_add_co_u32_e64 v4, s[0:1], v2, v4
	v_mbcnt_lo_u32_b32 v1, -1, 0
	v_addc_co_u32_e64 v8, s[0:1], 0, v3, s[0:1]
	v_mbcnt_hi_u32_b32 v6, -1, v1
	v_mov_b32_dpp v7, v3 row_shr:1 row_mask:0xf bank_mask:0xf
	v_add_co_u32_e64 v9, s[0:1], 0, v4
	v_and_b32_e32 v1, 15, v6
	v_addc_co_u32_e64 v7, s[0:1], v7, v8, s[0:1]
	v_cmp_eq_u32_e64 s[0:1], 0, v1
	v_cndmask_b32_e64 v4, v4, v2, s[0:1]
	v_cndmask_b32_e64 v7, v7, v3, s[0:1]
	v_cndmask_b32_e64 v8, v9, v2, s[0:1]
	v_mov_b32_dpp v9, v4 row_shr:2 row_mask:0xf bank_mask:0xf
	v_mov_b32_dpp v10, v7 row_shr:2 row_mask:0xf bank_mask:0xf
	v_add_co_u32_e64 v9, s[0:1], v9, v8
	v_addc_co_u32_e64 v10, s[0:1], v10, v7, s[0:1]
	v_cmp_lt_u32_e64 s[0:1], 1, v1
	v_cndmask_b32_e64 v4, v4, v9, s[0:1]
	v_cndmask_b32_e64 v7, v7, v10, s[0:1]
	v_cndmask_b32_e64 v8, v8, v9, s[0:1]
	v_mov_b32_dpp v9, v4 row_shr:4 row_mask:0xf bank_mask:0xf
	v_mov_b32_dpp v10, v7 row_shr:4 row_mask:0xf bank_mask:0xf
	v_add_co_u32_e64 v9, s[0:1], v9, v8
	v_addc_co_u32_e64 v10, s[0:1], v10, v7, s[0:1]
	v_cmp_lt_u32_e64 s[0:1], 3, v1
	;; [unrolled: 8-line block ×3, first 2 shown]
	v_cndmask_b32_e64 v11, v4, v9, s[0:1]
	v_cndmask_b32_e64 v1, v7, v10, s[0:1]
	;; [unrolled: 1-line block ×3, first 2 shown]
	v_mov_b32_dpp v7, v11 row_bcast:15 row_mask:0xf bank_mask:0xf
	v_mov_b32_dpp v8, v1 row_bcast:15 row_mask:0xf bank_mask:0xf
	v_and_b32_e32 v10, 16, v6
	v_add_co_u32_e64 v7, s[0:1], v7, v4
	v_addc_co_u32_e64 v9, s[0:1], v8, v1, s[0:1]
	v_cmp_eq_u32_e64 s[2:3], 0, v10
	v_cndmask_b32_e64 v10, v9, v1, s[2:3]
	v_cndmask_b32_e64 v8, v7, v11, s[2:3]
	v_cmp_eq_u32_e64 s[0:1], 0, v6
	v_mov_b32_dpp v10, v10 row_bcast:31 row_mask:0xf bank_mask:0xf
	v_mov_b32_dpp v8, v8 row_bcast:31 row_mask:0xf bank_mask:0xf
	v_cmp_ne_u32_e64 s[4:5], 0, v6
	s_and_saveexec_b64 s[8:9], s[4:5]
; %bb.3:
	v_cndmask_b32_e64 v1, v9, v1, s[2:3]
	v_cndmask_b32_e64 v2, v7, v4, s[2:3]
	v_cmp_lt_u32_e64 s[2:3], 31, v6
	v_cndmask_b32_e64 v4, 0, v8, s[2:3]
	v_cndmask_b32_e64 v3, 0, v10, s[2:3]
	v_add_co_u32_e64 v2, s[2:3], v4, v2
	v_addc_co_u32_e64 v3, s[2:3], v3, v1, s[2:3]
; %bb.4:
	s_or_b64 exec, exec, s[8:9]
	v_or_b32_e32 v1, 63, v0
	v_lshrrev_b32_e32 v4, 6, v0
	v_cmp_eq_u32_e64 s[2:3], v1, v0
	s_and_saveexec_b64 s[4:5], s[2:3]
	s_cbranch_execz .LBB36_6
; %bb.5:
	v_lshlrev_b32_e32 v1, 3, v4
	ds_write_b64 v1, v[2:3]
.LBB36_6:
	s_or_b64 exec, exec, s[4:5]
	v_cmp_gt_u32_e64 s[2:3], 8, v0
	s_waitcnt lgkmcnt(0)
	s_barrier
	s_and_saveexec_b64 s[4:5], s[2:3]
	s_cbranch_execz .LBB36_8
; %bb.7:
	ds_read_b64 v[8:9], v5
	v_and_b32_e32 v1, 7, v6
	s_waitcnt lgkmcnt(0)
	v_mov_b32_dpp v7, v8 row_shr:1 row_mask:0xf bank_mask:0xf
	v_add_co_u32_e64 v7, s[2:3], v8, v7
	v_addc_co_u32_e64 v11, s[2:3], 0, v9, s[2:3]
	v_mov_b32_dpp v10, v9 row_shr:1 row_mask:0xf bank_mask:0xf
	v_add_co_u32_e64 v12, s[2:3], 0, v7
	v_addc_co_u32_e64 v10, s[2:3], v10, v11, s[2:3]
	v_cmp_eq_u32_e64 s[2:3], 0, v1
	v_cndmask_b32_e64 v7, v7, v8, s[2:3]
	v_cndmask_b32_e64 v9, v10, v9, s[2:3]
	;; [unrolled: 1-line block ×3, first 2 shown]
	v_mov_b32_dpp v8, v7 row_shr:2 row_mask:0xf bank_mask:0xf
	v_add_co_u32_e64 v8, s[2:3], v10, v8
	v_addc_co_u32_e64 v12, s[2:3], 0, v9, s[2:3]
	v_mov_b32_dpp v11, v9 row_shr:2 row_mask:0xf bank_mask:0xf
	v_add_co_u32_e64 v13, s[2:3], 0, v8
	v_addc_co_u32_e64 v11, s[2:3], v12, v11, s[2:3]
	v_cmp_lt_u32_e64 s[2:3], 1, v1
	v_cndmask_b32_e64 v7, v7, v8, s[2:3]
	v_cndmask_b32_e64 v9, v9, v11, s[2:3]
	v_cndmask_b32_e64 v10, v10, v13, s[2:3]
	v_mov_b32_dpp v7, v7 row_shr:4 row_mask:0xf bank_mask:0xf
	v_cmp_lt_u32_e64 s[2:3], 3, v1
	v_mov_b32_dpp v8, v9 row_shr:4 row_mask:0xf bank_mask:0xf
	v_cndmask_b32_e64 v1, 0, v7, s[2:3]
	v_cndmask_b32_e64 v7, 0, v8, s[2:3]
	v_add_co_u32_e64 v8, s[2:3], v1, v10
	v_addc_co_u32_e64 v9, s[2:3], v7, v9, s[2:3]
	ds_write_b64 v5, v[8:9]
.LBB36_8:
	s_or_b64 exec, exec, s[4:5]
	v_cmp_lt_u32_e64 s[2:3], 63, v0
	v_pk_mov_b32 v[0:1], 0, 0
	s_waitcnt lgkmcnt(0)
	s_barrier
	s_and_saveexec_b64 s[4:5], s[2:3]
	s_cbranch_execz .LBB36_10
; %bb.9:
	v_lshl_add_u32 v0, v4, 3, -8
	ds_read_b64 v[0:1], v0
.LBB36_10:
	s_or_b64 exec, exec, s[4:5]
	s_waitcnt lgkmcnt(0)
	v_add_co_u32_e64 v2, s[2:3], v0, v2
	v_addc_co_u32_e64 v3, s[2:3], v1, v3, s[2:3]
	v_add_u32_e32 v4, -1, v6
	v_and_b32_e32 v7, 64, v6
	v_cmp_lt_i32_e64 s[2:3], v4, v7
	v_cndmask_b32_e64 v4, v4, v6, s[2:3]
	v_lshlrev_b32_e32 v4, 2, v4
	ds_bpermute_b32 v2, v4, v2
	ds_bpermute_b32 v3, v4, v3
	s_and_saveexec_b64 s[2:3], vcc
	s_cbranch_execz .LBB36_12
; %bb.11:
	s_waitcnt lgkmcnt(0)
	v_cndmask_b32_e64 v1, v3, v1, s[0:1]
	v_cndmask_b32_e64 v0, v2, v0, s[0:1]
	global_store_dwordx2 v5, v[0:1], s[6:7]
.LBB36_12:
	s_endpgm
	.section	.rodata,"a",@progbits
	.p2align	6, 0x0
	.amdhsa_kernel _ZN7rocprim17ROCPRIM_304000_NS6detail31onesweep_scan_histograms_kernelINS1_34wrapped_radix_sort_onesweep_configINS0_14default_configEaN2at4cuda3cub6detail10OpaqueTypeILi8EEEEEmEEvPT0_
		.amdhsa_group_segment_fixed_size 64
		.amdhsa_private_segment_fixed_size 0
		.amdhsa_kernarg_size 8
		.amdhsa_user_sgpr_count 6
		.amdhsa_user_sgpr_private_segment_buffer 1
		.amdhsa_user_sgpr_dispatch_ptr 0
		.amdhsa_user_sgpr_queue_ptr 0
		.amdhsa_user_sgpr_kernarg_segment_ptr 1
		.amdhsa_user_sgpr_dispatch_id 0
		.amdhsa_user_sgpr_flat_scratch_init 0
		.amdhsa_user_sgpr_kernarg_preload_length 0
		.amdhsa_user_sgpr_kernarg_preload_offset 0
		.amdhsa_user_sgpr_private_segment_size 0
		.amdhsa_uses_dynamic_stack 0
		.amdhsa_system_sgpr_private_segment_wavefront_offset 0
		.amdhsa_system_sgpr_workgroup_id_x 1
		.amdhsa_system_sgpr_workgroup_id_y 0
		.amdhsa_system_sgpr_workgroup_id_z 0
		.amdhsa_system_sgpr_workgroup_info 0
		.amdhsa_system_vgpr_workitem_id 0
		.amdhsa_next_free_vgpr 14
		.amdhsa_next_free_sgpr 10
		.amdhsa_accum_offset 16
		.amdhsa_reserve_vcc 1
		.amdhsa_reserve_flat_scratch 0
		.amdhsa_float_round_mode_32 0
		.amdhsa_float_round_mode_16_64 0
		.amdhsa_float_denorm_mode_32 3
		.amdhsa_float_denorm_mode_16_64 3
		.amdhsa_dx10_clamp 1
		.amdhsa_ieee_mode 1
		.amdhsa_fp16_overflow 0
		.amdhsa_tg_split 0
		.amdhsa_exception_fp_ieee_invalid_op 0
		.amdhsa_exception_fp_denorm_src 0
		.amdhsa_exception_fp_ieee_div_zero 0
		.amdhsa_exception_fp_ieee_overflow 0
		.amdhsa_exception_fp_ieee_underflow 0
		.amdhsa_exception_fp_ieee_inexact 0
		.amdhsa_exception_int_div_zero 0
	.end_amdhsa_kernel
	.section	.text._ZN7rocprim17ROCPRIM_304000_NS6detail31onesweep_scan_histograms_kernelINS1_34wrapped_radix_sort_onesweep_configINS0_14default_configEaN2at4cuda3cub6detail10OpaqueTypeILi8EEEEEmEEvPT0_,"axG",@progbits,_ZN7rocprim17ROCPRIM_304000_NS6detail31onesweep_scan_histograms_kernelINS1_34wrapped_radix_sort_onesweep_configINS0_14default_configEaN2at4cuda3cub6detail10OpaqueTypeILi8EEEEEmEEvPT0_,comdat
.Lfunc_end36:
	.size	_ZN7rocprim17ROCPRIM_304000_NS6detail31onesweep_scan_histograms_kernelINS1_34wrapped_radix_sort_onesweep_configINS0_14default_configEaN2at4cuda3cub6detail10OpaqueTypeILi8EEEEEmEEvPT0_, .Lfunc_end36-_ZN7rocprim17ROCPRIM_304000_NS6detail31onesweep_scan_histograms_kernelINS1_34wrapped_radix_sort_onesweep_configINS0_14default_configEaN2at4cuda3cub6detail10OpaqueTypeILi8EEEEEmEEvPT0_
                                        ; -- End function
	.section	.AMDGPU.csdata,"",@progbits
; Kernel info:
; codeLenInByte = 980
; NumSgprs: 14
; NumVgprs: 14
; NumAgprs: 0
; TotalNumVgprs: 14
; ScratchSize: 0
; MemoryBound: 0
; FloatMode: 240
; IeeeMode: 1
; LDSByteSize: 64 bytes/workgroup (compile time only)
; SGPRBlocks: 1
; VGPRBlocks: 1
; NumSGPRsForWavesPerEU: 14
; NumVGPRsForWavesPerEU: 14
; AccumOffset: 16
; Occupancy: 8
; WaveLimiterHint : 0
; COMPUTE_PGM_RSRC2:SCRATCH_EN: 0
; COMPUTE_PGM_RSRC2:USER_SGPR: 6
; COMPUTE_PGM_RSRC2:TRAP_HANDLER: 0
; COMPUTE_PGM_RSRC2:TGID_X_EN: 1
; COMPUTE_PGM_RSRC2:TGID_Y_EN: 0
; COMPUTE_PGM_RSRC2:TGID_Z_EN: 0
; COMPUTE_PGM_RSRC2:TIDIG_COMP_CNT: 0
; COMPUTE_PGM_RSRC3_GFX90A:ACCUM_OFFSET: 3
; COMPUTE_PGM_RSRC3_GFX90A:TG_SPLIT: 0
	.section	.text._ZN7rocprim17ROCPRIM_304000_NS6detail16transform_kernelINS1_24wrapped_transform_configINS0_14default_configEaEEaPKaPaNS0_8identityIaEEEEvT1_mT2_T3_,"axG",@progbits,_ZN7rocprim17ROCPRIM_304000_NS6detail16transform_kernelINS1_24wrapped_transform_configINS0_14default_configEaEEaPKaPaNS0_8identityIaEEEEvT1_mT2_T3_,comdat
	.protected	_ZN7rocprim17ROCPRIM_304000_NS6detail16transform_kernelINS1_24wrapped_transform_configINS0_14default_configEaEEaPKaPaNS0_8identityIaEEEEvT1_mT2_T3_ ; -- Begin function _ZN7rocprim17ROCPRIM_304000_NS6detail16transform_kernelINS1_24wrapped_transform_configINS0_14default_configEaEEaPKaPaNS0_8identityIaEEEEvT1_mT2_T3_
	.globl	_ZN7rocprim17ROCPRIM_304000_NS6detail16transform_kernelINS1_24wrapped_transform_configINS0_14default_configEaEEaPKaPaNS0_8identityIaEEEEvT1_mT2_T3_
	.p2align	8
	.type	_ZN7rocprim17ROCPRIM_304000_NS6detail16transform_kernelINS1_24wrapped_transform_configINS0_14default_configEaEEaPKaPaNS0_8identityIaEEEEvT1_mT2_T3_,@function
_ZN7rocprim17ROCPRIM_304000_NS6detail16transform_kernelINS1_24wrapped_transform_configINS0_14default_configEaEEaPKaPaNS0_8identityIaEEEEvT1_mT2_T3_: ; @_ZN7rocprim17ROCPRIM_304000_NS6detail16transform_kernelINS1_24wrapped_transform_configINS0_14default_configEaEEaPKaPaNS0_8identityIaEEEEvT1_mT2_T3_
; %bb.0:
	s_load_dword s7, s[4:5], 0x20
	s_load_dwordx4 s[0:3], s[4:5], 0x0
	s_load_dwordx2 s[34:35], s[4:5], 0x10
	s_lshl_b32 s33, s6, 10
	s_waitcnt lgkmcnt(0)
	s_add_i32 s7, s7, -1
	s_add_u32 s0, s0, s33
	s_addc_u32 s1, s1, 0
	v_mov_b32_e32 v1, s1
	v_add_co_u32_e32 v2, vcc, s0, v0
	s_cmp_lg_u32 s6, s7
	v_addc_co_u32_e32 v3, vcc, 0, v1, vcc
	s_cbranch_scc0 .LBB37_2
; %bb.1:
	global_load_ubyte v1, v[2:3], off
	global_load_ubyte v5, v[2:3], off offset:64
	global_load_ubyte v8, v[2:3], off offset:128
	;; [unrolled: 1-line block ×15, first 2 shown]
	s_add_u32 s3, s34, s33
	s_addc_u32 s4, s35, 0
	v_mov_b32_e32 v7, s4
	v_add_co_u32_e32 v6, vcc, s3, v0
	v_addc_co_u32_e32 v7, vcc, 0, v7, vcc
	s_mov_b64 s[36:37], -1
	s_waitcnt vmcnt(15)
	global_store_byte v[6:7], v1, off
	s_waitcnt vmcnt(15)
	global_store_byte v[6:7], v5, off offset:64
	s_waitcnt vmcnt(15)
	global_store_byte v[6:7], v8, off offset:128
	s_waitcnt vmcnt(15)
	global_store_byte v[6:7], v9, off offset:192
	s_waitcnt vmcnt(15)
	global_store_byte v[6:7], v10, off offset:256
	s_waitcnt vmcnt(15)
	global_store_byte v[6:7], v11, off offset:320
	s_waitcnt vmcnt(15)
	global_store_byte v[6:7], v12, off offset:384
	s_waitcnt vmcnt(15)
	global_store_byte v[6:7], v13, off offset:448
	s_waitcnt vmcnt(15)
	global_store_byte v[6:7], v14, off offset:512
	s_waitcnt vmcnt(15)
	global_store_byte v[6:7], v15, off offset:576
	s_waitcnt vmcnt(15)
	global_store_byte v[6:7], v16, off offset:640
	s_waitcnt vmcnt(15)
	global_store_byte v[6:7], v17, off offset:704
	s_waitcnt vmcnt(15)
	global_store_byte v[6:7], v18, off offset:768
	s_waitcnt vmcnt(15)
	global_store_byte v[6:7], v19, off offset:832
	s_waitcnt vmcnt(15)
	global_store_byte v[6:7], v20, off offset:896
	s_cbranch_execz .LBB37_3
	s_branch .LBB37_68
.LBB37_2:
	s_mov_b64 s[36:37], 0
                                        ; implicit-def: $vgpr4
.LBB37_3:
	s_sub_i32 s30, s2, s33
	v_cmp_gt_u32_e32 vcc, s30, v0
                                        ; implicit-def: $vgpr1
	s_and_saveexec_b64 s[0:1], vcc
	s_cbranch_execz .LBB37_5
; %bb.4:
	global_load_ubyte v1, v[2:3], off
.LBB37_5:
	s_or_b64 exec, exec, s[0:1]
	s_waitcnt vmcnt(15)
	v_or_b32_e32 v4, 64, v0
	v_cmp_gt_u32_e64 s[0:1], s30, v4
                                        ; implicit-def: $vgpr4
	s_and_saveexec_b64 s[2:3], s[0:1]
	s_cbranch_execz .LBB37_7
; %bb.6:
	global_load_ubyte v4, v[2:3], off offset:64
.LBB37_7:
	s_or_b64 exec, exec, s[2:3]
	v_or_b32_e32 v5, 0x80, v0
	v_cmp_gt_u32_e64 s[2:3], s30, v5
                                        ; implicit-def: $vgpr5
	s_and_saveexec_b64 s[4:5], s[2:3]
	s_cbranch_execz .LBB37_9
; %bb.8:
	global_load_ubyte v5, v[2:3], off offset:128
.LBB37_9:
	s_or_b64 exec, exec, s[4:5]
	v_or_b32_e32 v6, 0xc0, v0
	v_cmp_gt_u32_e64 s[4:5], s30, v6
                                        ; implicit-def: $vgpr6
	s_and_saveexec_b64 s[6:7], s[4:5]
	s_cbranch_execz .LBB37_11
; %bb.10:
	global_load_ubyte v6, v[2:3], off offset:192
.LBB37_11:
	s_or_b64 exec, exec, s[6:7]
	v_or_b32_e32 v7, 0x100, v0
	v_cmp_gt_u32_e64 s[6:7], s30, v7
                                        ; implicit-def: $vgpr7
	s_and_saveexec_b64 s[8:9], s[6:7]
	s_cbranch_execz .LBB37_13
; %bb.12:
	global_load_ubyte v7, v[2:3], off offset:256
.LBB37_13:
	s_or_b64 exec, exec, s[8:9]
	v_or_b32_e32 v8, 0x140, v0
	v_cmp_gt_u32_e64 s[8:9], s30, v8
                                        ; implicit-def: $vgpr8
	s_and_saveexec_b64 s[10:11], s[8:9]
	s_cbranch_execz .LBB37_15
; %bb.14:
	global_load_ubyte v8, v[2:3], off offset:320
.LBB37_15:
	s_or_b64 exec, exec, s[10:11]
	v_or_b32_e32 v9, 0x180, v0
	v_cmp_gt_u32_e64 s[10:11], s30, v9
                                        ; implicit-def: $vgpr9
	s_and_saveexec_b64 s[12:13], s[10:11]
	s_cbranch_execz .LBB37_17
; %bb.16:
	global_load_ubyte v9, v[2:3], off offset:384
.LBB37_17:
	s_or_b64 exec, exec, s[12:13]
	v_or_b32_e32 v10, 0x1c0, v0
	v_cmp_gt_u32_e64 s[12:13], s30, v10
                                        ; implicit-def: $vgpr10
	s_and_saveexec_b64 s[14:15], s[12:13]
	s_cbranch_execz .LBB37_19
; %bb.18:
	global_load_ubyte v10, v[2:3], off offset:448
.LBB37_19:
	s_or_b64 exec, exec, s[14:15]
	v_or_b32_e32 v11, 0x200, v0
	v_cmp_gt_u32_e64 s[14:15], s30, v11
                                        ; implicit-def: $vgpr11
	s_and_saveexec_b64 s[16:17], s[14:15]
	s_cbranch_execz .LBB37_21
; %bb.20:
	global_load_ubyte v11, v[2:3], off offset:512
.LBB37_21:
	s_or_b64 exec, exec, s[16:17]
	v_or_b32_e32 v12, 0x240, v0
	v_cmp_gt_u32_e64 s[16:17], s30, v12
                                        ; implicit-def: $vgpr12
	s_and_saveexec_b64 s[18:19], s[16:17]
	s_cbranch_execz .LBB37_23
; %bb.22:
	global_load_ubyte v12, v[2:3], off offset:576
.LBB37_23:
	s_or_b64 exec, exec, s[18:19]
	v_or_b32_e32 v13, 0x280, v0
	v_cmp_gt_u32_e64 s[18:19], s30, v13
                                        ; implicit-def: $vgpr13
	s_and_saveexec_b64 s[20:21], s[18:19]
	s_cbranch_execz .LBB37_25
; %bb.24:
	global_load_ubyte v13, v[2:3], off offset:640
.LBB37_25:
	s_or_b64 exec, exec, s[20:21]
	v_or_b32_e32 v14, 0x2c0, v0
	v_cmp_gt_u32_e64 s[20:21], s30, v14
                                        ; implicit-def: $vgpr14
	s_and_saveexec_b64 s[22:23], s[20:21]
	s_cbranch_execz .LBB37_27
; %bb.26:
	global_load_ubyte v14, v[2:3], off offset:704
.LBB37_27:
	s_or_b64 exec, exec, s[22:23]
	v_or_b32_e32 v15, 0x300, v0
	v_cmp_gt_u32_e64 s[22:23], s30, v15
                                        ; implicit-def: $vgpr15
	s_and_saveexec_b64 s[24:25], s[22:23]
	s_cbranch_execz .LBB37_29
; %bb.28:
	global_load_ubyte v15, v[2:3], off offset:768
.LBB37_29:
	s_or_b64 exec, exec, s[24:25]
	v_or_b32_e32 v16, 0x340, v0
	v_cmp_gt_u32_e64 s[24:25], s30, v16
                                        ; implicit-def: $vgpr16
	s_and_saveexec_b64 s[26:27], s[24:25]
	s_cbranch_execz .LBB37_31
; %bb.30:
	global_load_ubyte v16, v[2:3], off offset:832
.LBB37_31:
	s_or_b64 exec, exec, s[26:27]
	v_or_b32_e32 v17, 0x380, v0
	v_cmp_gt_u32_e64 s[26:27], s30, v17
                                        ; implicit-def: $vgpr17
	s_and_saveexec_b64 s[28:29], s[26:27]
	s_cbranch_execz .LBB37_33
; %bb.32:
	global_load_ubyte v17, v[2:3], off offset:896
.LBB37_33:
	s_or_b64 exec, exec, s[28:29]
	v_or_b32_e32 v18, 0x3c0, v0
	v_cmp_gt_u32_e64 s[28:29], s30, v18
                                        ; implicit-def: $vgpr18
	s_and_saveexec_b64 s[30:31], s[28:29]
	s_cbranch_execz .LBB37_35
; %bb.34:
	global_load_ubyte v18, v[2:3], off offset:960
.LBB37_35:
	s_or_b64 exec, exec, s[30:31]
	s_waitcnt vmcnt(0)
	v_lshlrev_b16_e32 v2, 8, v4
	v_or_b32_sdwa v1, v1, v2 dst_sel:DWORD dst_unused:UNUSED_PAD src0_sel:BYTE_0 src1_sel:DWORD
	v_lshlrev_b16_e32 v2, 8, v6
	v_or_b32_sdwa v2, v5, v2 dst_sel:WORD_1 dst_unused:UNUSED_PAD src0_sel:BYTE_0 src1_sel:DWORD
	v_or_b32_sdwa v6, v1, v2 dst_sel:DWORD dst_unused:UNUSED_PAD src0_sel:WORD_0 src1_sel:DWORD
	v_lshlrev_b16_e32 v1, 8, v8
	v_lshlrev_b16_e32 v2, 8, v10
	v_or_b32_sdwa v1, v7, v1 dst_sel:DWORD dst_unused:UNUSED_PAD src0_sel:BYTE_0 src1_sel:DWORD
	v_or_b32_sdwa v2, v9, v2 dst_sel:WORD_1 dst_unused:UNUSED_PAD src0_sel:BYTE_0 src1_sel:DWORD
	v_or_b32_sdwa v5, v1, v2 dst_sel:DWORD dst_unused:UNUSED_PAD src0_sel:WORD_0 src1_sel:DWORD
	v_lshlrev_b16_e32 v1, 8, v12
	v_lshlrev_b16_e32 v2, 8, v14
	v_or_b32_sdwa v1, v11, v1 dst_sel:DWORD dst_unused:UNUSED_PAD src0_sel:BYTE_0 src1_sel:DWORD
	v_or_b32_sdwa v2, v13, v2 dst_sel:WORD_1 dst_unused:UNUSED_PAD src0_sel:BYTE_0 src1_sel:DWORD
	v_or_b32_sdwa v4, v1, v2 dst_sel:DWORD dst_unused:UNUSED_PAD src0_sel:WORD_0 src1_sel:DWORD
	v_lshlrev_b16_e32 v1, 8, v16
	v_lshlrev_b16_e32 v2, 8, v18
	s_add_u32 s30, s34, s33
	v_or_b32_sdwa v1, v15, v1 dst_sel:DWORD dst_unused:UNUSED_PAD src0_sel:BYTE_0 src1_sel:DWORD
	v_or_b32_sdwa v2, v17, v2 dst_sel:WORD_1 dst_unused:UNUSED_PAD src0_sel:BYTE_0 src1_sel:DWORD
	s_addc_u32 s31, s35, 0
	v_or_b32_sdwa v1, v1, v2 dst_sel:DWORD dst_unused:UNUSED_PAD src0_sel:WORD_0 src1_sel:DWORD
	v_mov_b32_e32 v3, s31
	v_add_co_u32_e64 v2, s[30:31], s30, v0
	v_addc_co_u32_e64 v3, s[30:31], 0, v3, s[30:31]
	s_and_saveexec_b64 s[30:31], vcc
	s_cbranch_execz .LBB37_37
; %bb.36:
	global_store_byte v[2:3], v6, off
.LBB37_37:
	s_or_b64 exec, exec, s[30:31]
	s_and_saveexec_b64 s[30:31], s[0:1]
	s_cbranch_execz .LBB37_39
; %bb.38:
	v_lshrrev_b32_e32 v7, 8, v6
	global_store_byte v[2:3], v7, off offset:64
.LBB37_39:
	s_or_b64 exec, exec, s[30:31]
	s_mov_b32 s0, 0x7060104
	v_perm_b32 v7, v6, v6, s0
	v_cndmask_b32_e64 v8, v7, v6, s[2:3]
	s_and_saveexec_b64 s[0:1], s[2:3]
	s_cbranch_execz .LBB37_41
; %bb.40:
	global_store_byte_d16_hi v[2:3], v8, off offset:128
.LBB37_41:
	s_or_b64 exec, exec, s[0:1]
	s_mov_b32 s0, 0x7020504
	v_perm_b32 v7, v7, v8, s0
	v_cndmask_b32_e64 v6, v7, v6, s[4:5]
	s_and_saveexec_b64 s[0:1], s[4:5]
	s_cbranch_execz .LBB37_43
; %bb.42:
	v_lshrrev_b32_e32 v6, 24, v6
	global_store_byte v[2:3], v6, off offset:192
.LBB37_43:
	s_or_b64 exec, exec, s[0:1]
	s_and_saveexec_b64 s[0:1], s[6:7]
	s_cbranch_execz .LBB37_45
; %bb.44:
	global_store_byte v[2:3], v5, off offset:256
.LBB37_45:
	s_or_b64 exec, exec, s[0:1]
	s_mov_b32 s0, 0x3020104
	v_perm_b32 v6, v5, v5, s0
	v_cndmask_b32_e64 v7, v6, v5, s[8:9]
	s_and_saveexec_b64 s[0:1], s[8:9]
	s_cbranch_execz .LBB37_47
; %bb.46:
	v_lshrrev_b32_e32 v8, 8, v7
	global_store_byte v[2:3], v8, off offset:320
.LBB37_47:
	s_or_b64 exec, exec, s[0:1]
	s_mov_b32 s0, 0x7060104
	v_perm_b32 v6, v6, v7, s0
	v_cndmask_b32_e64 v7, v6, v5, s[10:11]
	s_and_saveexec_b64 s[0:1], s[10:11]
	s_cbranch_execz .LBB37_49
; %bb.48:
	global_store_byte_d16_hi v[2:3], v7, off offset:384
.LBB37_49:
	s_or_b64 exec, exec, s[0:1]
	s_mov_b32 s0, 0x7020504
	v_perm_b32 v6, v6, v7, s0
	v_cndmask_b32_e64 v5, v6, v5, s[12:13]
	s_and_saveexec_b64 s[0:1], s[12:13]
	s_cbranch_execz .LBB37_51
; %bb.50:
	v_lshrrev_b32_e32 v5, 24, v5
	global_store_byte v[2:3], v5, off offset:448
.LBB37_51:
	s_or_b64 exec, exec, s[0:1]
	s_and_saveexec_b64 s[0:1], s[14:15]
	s_cbranch_execz .LBB37_53
; %bb.52:
	global_store_byte v[2:3], v4, off offset:512
.LBB37_53:
	s_or_b64 exec, exec, s[0:1]
	s_mov_b32 s0, 0x3020104
	v_perm_b32 v5, v4, v4, s0
	v_cndmask_b32_e64 v6, v5, v4, s[16:17]
	;; [unrolled: 35-line block ×3, first 2 shown]
	s_and_saveexec_b64 s[0:1], s[24:25]
	s_cbranch_execz .LBB37_63
; %bb.62:
	v_lshrrev_b32_e32 v6, 8, v5
	global_store_byte v[2:3], v6, off offset:832
.LBB37_63:
	s_or_b64 exec, exec, s[0:1]
	s_mov_b32 s0, 0x7060104
	v_perm_b32 v5, v4, v5, s0
	s_and_saveexec_b64 s[0:1], s[26:27]
	s_cbranch_execz .LBB37_65
; %bb.64:
	v_cndmask_b32_e64 v4, v5, v1, s[26:27]
	global_store_byte_d16_hi v[2:3], v4, off offset:896
.LBB37_65:
	s_or_b64 exec, exec, s[0:1]
                                        ; implicit-def: $vgpr4
	s_and_saveexec_b64 s[0:1], s[28:29]
; %bb.66:
	v_cndmask_b32_e64 v1, v5, v1, s[28:29]
	v_lshrrev_b32_e32 v4, 24, v1
	s_or_b64 s[36:37], s[36:37], exec
; %bb.67:
	s_or_b64 exec, exec, s[0:1]
.LBB37_68:
	s_and_saveexec_b64 s[0:1], s[36:37]
	s_cbranch_execnz .LBB37_70
; %bb.69:
	s_endpgm
.LBB37_70:
	s_add_u32 s0, s34, s33
	s_addc_u32 s1, s35, 0
	v_mov_b32_e32 v1, s1
	v_add_co_u32_e32 v0, vcc, s0, v0
	v_addc_co_u32_e32 v1, vcc, 0, v1, vcc
	s_waitcnt vmcnt(15)
	global_store_byte v[0:1], v4, off offset:960
	s_endpgm
	.section	.rodata,"a",@progbits
	.p2align	6, 0x0
	.amdhsa_kernel _ZN7rocprim17ROCPRIM_304000_NS6detail16transform_kernelINS1_24wrapped_transform_configINS0_14default_configEaEEaPKaPaNS0_8identityIaEEEEvT1_mT2_T3_
		.amdhsa_group_segment_fixed_size 0
		.amdhsa_private_segment_fixed_size 0
		.amdhsa_kernarg_size 288
		.amdhsa_user_sgpr_count 6
		.amdhsa_user_sgpr_private_segment_buffer 1
		.amdhsa_user_sgpr_dispatch_ptr 0
		.amdhsa_user_sgpr_queue_ptr 0
		.amdhsa_user_sgpr_kernarg_segment_ptr 1
		.amdhsa_user_sgpr_dispatch_id 0
		.amdhsa_user_sgpr_flat_scratch_init 0
		.amdhsa_user_sgpr_kernarg_preload_length 0
		.amdhsa_user_sgpr_kernarg_preload_offset 0
		.amdhsa_user_sgpr_private_segment_size 0
		.amdhsa_uses_dynamic_stack 0
		.amdhsa_system_sgpr_private_segment_wavefront_offset 0
		.amdhsa_system_sgpr_workgroup_id_x 1
		.amdhsa_system_sgpr_workgroup_id_y 0
		.amdhsa_system_sgpr_workgroup_id_z 0
		.amdhsa_system_sgpr_workgroup_info 0
		.amdhsa_system_vgpr_workitem_id 0
		.amdhsa_next_free_vgpr 21
		.amdhsa_next_free_sgpr 38
		.amdhsa_accum_offset 24
		.amdhsa_reserve_vcc 1
		.amdhsa_reserve_flat_scratch 0
		.amdhsa_float_round_mode_32 0
		.amdhsa_float_round_mode_16_64 0
		.amdhsa_float_denorm_mode_32 3
		.amdhsa_float_denorm_mode_16_64 3
		.amdhsa_dx10_clamp 1
		.amdhsa_ieee_mode 1
		.amdhsa_fp16_overflow 0
		.amdhsa_tg_split 0
		.amdhsa_exception_fp_ieee_invalid_op 0
		.amdhsa_exception_fp_denorm_src 0
		.amdhsa_exception_fp_ieee_div_zero 0
		.amdhsa_exception_fp_ieee_overflow 0
		.amdhsa_exception_fp_ieee_underflow 0
		.amdhsa_exception_fp_ieee_inexact 0
		.amdhsa_exception_int_div_zero 0
	.end_amdhsa_kernel
	.section	.text._ZN7rocprim17ROCPRIM_304000_NS6detail16transform_kernelINS1_24wrapped_transform_configINS0_14default_configEaEEaPKaPaNS0_8identityIaEEEEvT1_mT2_T3_,"axG",@progbits,_ZN7rocprim17ROCPRIM_304000_NS6detail16transform_kernelINS1_24wrapped_transform_configINS0_14default_configEaEEaPKaPaNS0_8identityIaEEEEvT1_mT2_T3_,comdat
.Lfunc_end37:
	.size	_ZN7rocprim17ROCPRIM_304000_NS6detail16transform_kernelINS1_24wrapped_transform_configINS0_14default_configEaEEaPKaPaNS0_8identityIaEEEEvT1_mT2_T3_, .Lfunc_end37-_ZN7rocprim17ROCPRIM_304000_NS6detail16transform_kernelINS1_24wrapped_transform_configINS0_14default_configEaEEaPKaPaNS0_8identityIaEEEEvT1_mT2_T3_
                                        ; -- End function
	.section	.AMDGPU.csdata,"",@progbits
; Kernel info:
; codeLenInByte = 1776
; NumSgprs: 42
; NumVgprs: 21
; NumAgprs: 0
; TotalNumVgprs: 21
; ScratchSize: 0
; MemoryBound: 0
; FloatMode: 240
; IeeeMode: 1
; LDSByteSize: 0 bytes/workgroup (compile time only)
; SGPRBlocks: 5
; VGPRBlocks: 2
; NumSGPRsForWavesPerEU: 42
; NumVGPRsForWavesPerEU: 21
; AccumOffset: 24
; Occupancy: 8
; WaveLimiterHint : 0
; COMPUTE_PGM_RSRC2:SCRATCH_EN: 0
; COMPUTE_PGM_RSRC2:USER_SGPR: 6
; COMPUTE_PGM_RSRC2:TRAP_HANDLER: 0
; COMPUTE_PGM_RSRC2:TGID_X_EN: 1
; COMPUTE_PGM_RSRC2:TGID_Y_EN: 0
; COMPUTE_PGM_RSRC2:TGID_Z_EN: 0
; COMPUTE_PGM_RSRC2:TIDIG_COMP_CNT: 0
; COMPUTE_PGM_RSRC3_GFX90A:ACCUM_OFFSET: 5
; COMPUTE_PGM_RSRC3_GFX90A:TG_SPLIT: 0
	.section	.text._ZN7rocprim17ROCPRIM_304000_NS6detail25onesweep_iteration_kernelINS1_34wrapped_radix_sort_onesweep_configINS0_14default_configEaN2at4cuda3cub6detail10OpaqueTypeILi8EEEEELb1EPKaPaPKSA_PSA_mNS0_19identity_decomposerEEEvT1_T2_T3_T4_jPT5_SO_PNS1_23onesweep_lookback_stateET6_jjj,"axG",@progbits,_ZN7rocprim17ROCPRIM_304000_NS6detail25onesweep_iteration_kernelINS1_34wrapped_radix_sort_onesweep_configINS0_14default_configEaN2at4cuda3cub6detail10OpaqueTypeILi8EEEEELb1EPKaPaPKSA_PSA_mNS0_19identity_decomposerEEEvT1_T2_T3_T4_jPT5_SO_PNS1_23onesweep_lookback_stateET6_jjj,comdat
	.protected	_ZN7rocprim17ROCPRIM_304000_NS6detail25onesweep_iteration_kernelINS1_34wrapped_radix_sort_onesweep_configINS0_14default_configEaN2at4cuda3cub6detail10OpaqueTypeILi8EEEEELb1EPKaPaPKSA_PSA_mNS0_19identity_decomposerEEEvT1_T2_T3_T4_jPT5_SO_PNS1_23onesweep_lookback_stateET6_jjj ; -- Begin function _ZN7rocprim17ROCPRIM_304000_NS6detail25onesweep_iteration_kernelINS1_34wrapped_radix_sort_onesweep_configINS0_14default_configEaN2at4cuda3cub6detail10OpaqueTypeILi8EEEEELb1EPKaPaPKSA_PSA_mNS0_19identity_decomposerEEEvT1_T2_T3_T4_jPT5_SO_PNS1_23onesweep_lookback_stateET6_jjj
	.globl	_ZN7rocprim17ROCPRIM_304000_NS6detail25onesweep_iteration_kernelINS1_34wrapped_radix_sort_onesweep_configINS0_14default_configEaN2at4cuda3cub6detail10OpaqueTypeILi8EEEEELb1EPKaPaPKSA_PSA_mNS0_19identity_decomposerEEEvT1_T2_T3_T4_jPT5_SO_PNS1_23onesweep_lookback_stateET6_jjj
	.p2align	8
	.type	_ZN7rocprim17ROCPRIM_304000_NS6detail25onesweep_iteration_kernelINS1_34wrapped_radix_sort_onesweep_configINS0_14default_configEaN2at4cuda3cub6detail10OpaqueTypeILi8EEEEELb1EPKaPaPKSA_PSA_mNS0_19identity_decomposerEEEvT1_T2_T3_T4_jPT5_SO_PNS1_23onesweep_lookback_stateET6_jjj,@function
_ZN7rocprim17ROCPRIM_304000_NS6detail25onesweep_iteration_kernelINS1_34wrapped_radix_sort_onesweep_configINS0_14default_configEaN2at4cuda3cub6detail10OpaqueTypeILi8EEEEELb1EPKaPaPKSA_PSA_mNS0_19identity_decomposerEEEvT1_T2_T3_T4_jPT5_SO_PNS1_23onesweep_lookback_stateET6_jjj: ; @_ZN7rocprim17ROCPRIM_304000_NS6detail25onesweep_iteration_kernelINS1_34wrapped_radix_sort_onesweep_configINS0_14default_configEaN2at4cuda3cub6detail10OpaqueTypeILi8EEEEELb1EPKaPaPKSA_PSA_mNS0_19identity_decomposerEEEvT1_T2_T3_T4_jPT5_SO_PNS1_23onesweep_lookback_stateET6_jjj
; %bb.0:
	s_load_dwordx4 s[48:51], s[4:5], 0x44
	s_load_dwordx8 s[36:43], s[4:5], 0x0
	s_load_dwordx4 s[44:47], s[4:5], 0x28
	s_load_dwordx2 s[34:35], s[4:5], 0x38
	s_mul_i32 s30, s6, 0xc00
	s_waitcnt lgkmcnt(0)
	s_cmp_ge_u32 s6, s50
	v_mbcnt_lo_u32_b32 v1, -1, 0
	s_cbranch_scc0 .LBB38_86
; %bb.1:
	s_load_dword s0, s[4:5], 0x20
	s_mul_i32 s33, s50, 0xfffff400
	v_and_b32_e32 v2, 0x3ff, v0
	v_mbcnt_hi_u32_b32 v6, -1, v1
	v_and_b32_e32 v3, 0x1c0, v2
	s_waitcnt lgkmcnt(0)
	s_add_i32 s33, s33, s0
	s_add_u32 s0, s36, s30
	s_addc_u32 s1, s37, 0
	v_mov_b32_e32 v5, s1
	v_add_co_u32_e32 v7, vcc, s0, v6
	v_mul_u32_u24_e32 v4, 6, v3
	v_addc_co_u32_e32 v5, vcc, 0, v5, vcc
	v_add_co_u32_e32 v8, vcc, v7, v4
	v_addc_co_u32_e32 v9, vcc, 0, v5, vcc
	v_or_b32_e32 v7, v6, v4
	s_mov_b32 s31, 0
	v_cmp_gt_u32_e32 vcc, s33, v7
	v_mov_b32_e32 v5, 0x80
	v_mov_b32_e32 v12, 0x80
	;; [unrolled: 1-line block ×6, first 2 shown]
	s_and_saveexec_b64 s[0:1], vcc
	s_cbranch_execz .LBB38_3
; %bb.2:
	global_load_ubyte v5, v[8:9], off
	v_mov_b32_e32 v14, 0x80
	v_mov_b32_e32 v21, 0x80
	;; [unrolled: 1-line block ×5, first 2 shown]
.LBB38_3:
	s_or_b64 exec, exec, s[0:1]
	v_add_u32_e32 v10, 64, v7
	v_cmp_gt_u32_e64 s[0:1], s33, v10
	s_and_saveexec_b64 s[2:3], s[0:1]
	s_cbranch_execz .LBB38_5
; %bb.4:
	global_load_ubyte v14, v[8:9], off offset:64
.LBB38_5:
	s_or_b64 exec, exec, s[2:3]
	v_add_u32_e32 v10, 0x80, v7
	v_cmp_gt_u32_e64 s[2:3], s33, v10
	s_and_saveexec_b64 s[8:9], s[2:3]
	s_cbranch_execz .LBB38_7
; %bb.6:
	global_load_ubyte v21, v[8:9], off offset:128
.LBB38_7:
	;; [unrolled: 8-line block ×5, first 2 shown]
	s_or_b64 exec, exec, s[12:13]
	s_load_dword s12, s[4:5], 0x5c
	s_load_dword s7, s[4:5], 0x50
	s_add_u32 s13, s4, 0x50
	s_addc_u32 s14, s5, 0
	v_mov_b32_e32 v8, 0
	s_waitcnt lgkmcnt(0)
	s_lshr_b32 s15, s12, 16
	s_cmp_lt_u32 s6, s7
	s_cselect_b32 s12, 12, 18
	s_add_u32 s12, s13, s12
	s_addc_u32 s13, s14, 0
	global_load_ushort v10, v8, s[12:13]
	s_waitcnt vmcnt(1)
	v_xor_b32_e32 v5, 0x7f, v5
	s_lshl_b32 s12, -1, s49
	v_lshrrev_b32_sdwa v13, s48, v5 dst_sel:DWORD dst_unused:UNUSED_PAD src0_sel:DWORD src1_sel:BYTE_0
	s_not_b32 s52, s12
	v_and_b32_e32 v13, s52, v13
	v_and_b32_e32 v17, 1, v13
	v_bfe_u32 v9, v0, 10, 10
	v_bfe_u32 v11, v0, 20, 10
	v_add_co_u32_e64 v18, s[12:13], -1, v17
	v_mad_u32_u24 v11, v11, s15, v9
	v_lshlrev_b32_e32 v9, 30, v13
	v_addc_co_u32_e64 v19, s[12:13], 0, -1, s[12:13]
	v_cmp_ne_u32_e64 s[12:13], 0, v17
	v_cmp_gt_i64_e64 s[14:15], 0, v[8:9]
	v_not_b32_e32 v17, v9
	v_lshlrev_b32_e32 v9, 29, v13
	v_xor_b32_e32 v19, s13, v19
	v_xor_b32_e32 v18, s12, v18
	v_ashrrev_i32_e32 v17, 31, v17
	v_cmp_gt_i64_e64 s[12:13], 0, v[8:9]
	v_not_b32_e32 v22, v9
	v_lshlrev_b32_e32 v9, 28, v13
	v_and_b32_e32 v19, exec_hi, v19
	v_and_b32_e32 v18, exec_lo, v18
	v_xor_b32_e32 v23, s15, v17
	v_xor_b32_e32 v17, s14, v17
	v_ashrrev_i32_e32 v22, 31, v22
	v_cmp_gt_i64_e64 s[14:15], 0, v[8:9]
	v_not_b32_e32 v24, v9
	v_lshlrev_b32_e32 v9, 27, v13
	v_and_b32_e32 v19, v19, v23
	v_and_b32_e32 v17, v18, v17
	v_xor_b32_e32 v18, s13, v22
	v_xor_b32_e32 v22, s12, v22
	v_ashrrev_i32_e32 v23, 31, v24
	v_cmp_gt_i64_e64 s[12:13], 0, v[8:9]
	v_not_b32_e32 v24, v9
	v_lshlrev_b32_e32 v9, 26, v13
	v_and_b32_e32 v18, v19, v18
	v_and_b32_e32 v17, v17, v22
	;; [unrolled: 8-line block ×3, first 2 shown]
	v_xor_b32_e32 v19, s13, v23
	v_xor_b32_e32 v22, s12, v23
	v_ashrrev_i32_e32 v23, 31, v24
	v_cmp_gt_i64_e64 s[12:13], 0, v[8:9]
	v_not_b32_e32 v24, v9
	v_lshlrev_b32_e32 v9, 24, v13
	v_mul_u32_u24_e32 v15, 9, v13
	v_and_b32_e32 v13, v18, v19
	v_and_b32_e32 v17, v17, v22
	v_xor_b32_e32 v18, s15, v23
	v_xor_b32_e32 v19, s14, v23
	v_ashrrev_i32_e32 v22, 31, v24
	v_cmp_gt_i64_e64 s[14:15], 0, v[8:9]
	v_not_b32_e32 v9, v9
	v_and_b32_e32 v13, v13, v18
	v_and_b32_e32 v17, v17, v19
	v_xor_b32_e32 v18, s13, v22
	v_xor_b32_e32 v19, s12, v22
	v_ashrrev_i32_e32 v9, 31, v9
	v_and_b32_e32 v13, v13, v18
	v_and_b32_e32 v18, v17, v19
	v_mul_u32_u24_e32 v7, 5, v2
	v_lshlrev_b32_e32 v7, 2, v7
	ds_write2_b32 v7, v8, v8 offset0:8 offset1:9
	ds_write2_b32 v7, v8, v8 offset0:10 offset1:11
	ds_write_b32 v7, v8 offset:48
	s_waitcnt lgkmcnt(0)
	s_barrier
	s_waitcnt lgkmcnt(0)
	; wave barrier
	s_waitcnt vmcnt(0)
	v_mad_u64_u32 v[10:11], s[12:13], v11, v10, v[2:3]
	v_lshrrev_b32_e32 v27, 6, v10
	v_xor_b32_e32 v10, s15, v9
	v_xor_b32_e32 v9, s14, v9
	v_and_b32_e32 v11, v13, v10
	v_and_b32_e32 v10, v18, v9
	v_mbcnt_lo_u32_b32 v9, v10, 0
	v_mbcnt_hi_u32_b32 v13, v11, v9
	v_cmp_eq_u32_e64 s[12:13], 0, v13
	v_cmp_ne_u64_e64 s[14:15], 0, v[10:11]
	v_add_lshl_u32 v17, v27, v15, 2
	s_and_b64 s[14:15], s[14:15], s[12:13]
	s_and_saveexec_b64 s[12:13], s[14:15]
	s_cbranch_execz .LBB38_15
; %bb.14:
	v_bcnt_u32_b32 v9, v10, 0
	v_bcnt_u32_b32 v9, v11, v9
	ds_write_b32 v17, v9 offset:32
.LBB38_15:
	s_or_b64 exec, exec, s[12:13]
	v_xor_b32_e32 v14, 0x7f, v14
	v_lshrrev_b32_sdwa v9, s48, v14 dst_sel:DWORD dst_unused:UNUSED_PAD src0_sel:DWORD src1_sel:BYTE_0
	v_and_b32_e32 v10, s52, v9
	v_mul_u32_u24_e32 v9, 9, v10
	v_add_lshl_u32 v18, v27, v9, 2
	v_and_b32_e32 v9, 1, v10
	v_add_co_u32_e64 v11, s[12:13], -1, v9
	v_addc_co_u32_e64 v19, s[12:13], 0, -1, s[12:13]
	v_cmp_ne_u32_e64 s[12:13], 0, v9
	v_xor_b32_e32 v9, s13, v19
	v_and_b32_e32 v19, exec_hi, v9
	v_lshlrev_b32_e32 v9, 30, v10
	v_xor_b32_e32 v11, s12, v11
	v_cmp_gt_i64_e64 s[12:13], 0, v[8:9]
	v_not_b32_e32 v9, v9
	v_ashrrev_i32_e32 v9, 31, v9
	v_and_b32_e32 v11, exec_lo, v11
	v_xor_b32_e32 v22, s13, v9
	v_xor_b32_e32 v9, s12, v9
	v_and_b32_e32 v11, v11, v9
	v_lshlrev_b32_e32 v9, 29, v10
	v_cmp_gt_i64_e64 s[12:13], 0, v[8:9]
	v_not_b32_e32 v9, v9
	v_ashrrev_i32_e32 v9, 31, v9
	v_and_b32_e32 v19, v19, v22
	v_xor_b32_e32 v22, s13, v9
	v_xor_b32_e32 v9, s12, v9
	v_and_b32_e32 v11, v11, v9
	v_lshlrev_b32_e32 v9, 28, v10
	v_cmp_gt_i64_e64 s[12:13], 0, v[8:9]
	v_not_b32_e32 v9, v9
	v_ashrrev_i32_e32 v9, 31, v9
	v_and_b32_e32 v19, v19, v22
	;; [unrolled: 8-line block ×5, first 2 shown]
	v_xor_b32_e32 v22, s13, v9
	v_xor_b32_e32 v9, s12, v9
	v_and_b32_e32 v11, v11, v9
	v_lshlrev_b32_e32 v9, 24, v10
	v_cmp_gt_i64_e64 s[12:13], 0, v[8:9]
	v_not_b32_e32 v8, v9
	v_ashrrev_i32_e32 v8, 31, v8
	v_xor_b32_e32 v9, s13, v8
	v_xor_b32_e32 v8, s12, v8
	; wave barrier
	ds_read_b32 v15, v18 offset:32
	v_and_b32_e32 v19, v19, v22
	v_and_b32_e32 v8, v11, v8
	;; [unrolled: 1-line block ×3, first 2 shown]
	v_mbcnt_lo_u32_b32 v10, v8, 0
	v_mbcnt_hi_u32_b32 v19, v9, v10
	v_cmp_eq_u32_e64 s[12:13], 0, v19
	v_cmp_ne_u64_e64 s[14:15], 0, v[8:9]
	s_and_b64 s[14:15], s[14:15], s[12:13]
	; wave barrier
	s_and_saveexec_b64 s[12:13], s[14:15]
	s_cbranch_execz .LBB38_17
; %bb.16:
	v_bcnt_u32_b32 v8, v8, 0
	v_bcnt_u32_b32 v8, v9, v8
	s_waitcnt lgkmcnt(0)
	v_add_u32_e32 v8, v15, v8
	ds_write_b32 v18, v8 offset:32
.LBB38_17:
	s_or_b64 exec, exec, s[12:13]
	v_xor_b32_e32 v21, 0x7f, v21
	v_lshrrev_b32_sdwa v8, s48, v21 dst_sel:DWORD dst_unused:UNUSED_PAD src0_sel:DWORD src1_sel:BYTE_0
	v_and_b32_e32 v10, s52, v8
	v_and_b32_e32 v9, 1, v10
	v_add_co_u32_e64 v11, s[12:13], -1, v9
	v_addc_co_u32_e64 v24, s[12:13], 0, -1, s[12:13]
	v_cmp_ne_u32_e64 s[12:13], 0, v9
	v_mul_u32_u24_e32 v8, 9, v10
	v_xor_b32_e32 v9, s13, v24
	v_add_lshl_u32 v23, v27, v8, 2
	v_mov_b32_e32 v8, 0
	v_and_b32_e32 v24, exec_hi, v9
	v_lshlrev_b32_e32 v9, 30, v10
	v_xor_b32_e32 v11, s12, v11
	v_cmp_gt_i64_e64 s[12:13], 0, v[8:9]
	v_not_b32_e32 v9, v9
	v_ashrrev_i32_e32 v9, 31, v9
	v_and_b32_e32 v11, exec_lo, v11
	v_xor_b32_e32 v25, s13, v9
	v_xor_b32_e32 v9, s12, v9
	v_and_b32_e32 v11, v11, v9
	v_lshlrev_b32_e32 v9, 29, v10
	v_cmp_gt_i64_e64 s[12:13], 0, v[8:9]
	v_not_b32_e32 v9, v9
	v_ashrrev_i32_e32 v9, 31, v9
	v_and_b32_e32 v24, v24, v25
	v_xor_b32_e32 v25, s13, v9
	v_xor_b32_e32 v9, s12, v9
	v_and_b32_e32 v11, v11, v9
	v_lshlrev_b32_e32 v9, 28, v10
	v_cmp_gt_i64_e64 s[12:13], 0, v[8:9]
	v_not_b32_e32 v9, v9
	v_ashrrev_i32_e32 v9, 31, v9
	v_and_b32_e32 v24, v24, v25
	;; [unrolled: 8-line block ×5, first 2 shown]
	v_xor_b32_e32 v25, s13, v9
	v_xor_b32_e32 v9, s12, v9
	v_and_b32_e32 v24, v24, v25
	v_and_b32_e32 v25, v11, v9
	v_lshlrev_b32_e32 v9, 24, v10
	v_cmp_gt_i64_e64 s[12:13], 0, v[8:9]
	v_not_b32_e32 v9, v9
	v_ashrrev_i32_e32 v9, 31, v9
	v_xor_b32_e32 v10, s13, v9
	v_xor_b32_e32 v9, s12, v9
	; wave barrier
	ds_read_b32 v22, v23 offset:32
	v_and_b32_e32 v11, v24, v10
	v_and_b32_e32 v10, v25, v9
	v_mbcnt_lo_u32_b32 v9, v10, 0
	v_mbcnt_hi_u32_b32 v24, v11, v9
	v_cmp_eq_u32_e64 s[12:13], 0, v24
	v_cmp_ne_u64_e64 s[14:15], 0, v[10:11]
	s_and_b64 s[14:15], s[14:15], s[12:13]
	; wave barrier
	s_and_saveexec_b64 s[12:13], s[14:15]
	s_cbranch_execz .LBB38_19
; %bb.18:
	v_bcnt_u32_b32 v9, v10, 0
	v_bcnt_u32_b32 v9, v11, v9
	s_waitcnt lgkmcnt(0)
	v_add_u32_e32 v9, v22, v9
	ds_write_b32 v23, v9 offset:32
.LBB38_19:
	s_or_b64 exec, exec, s[12:13]
	v_xor_b32_e32 v25, 0x7f, v20
	v_lshrrev_b32_sdwa v9, s48, v25 dst_sel:DWORD dst_unused:UNUSED_PAD src0_sel:DWORD src1_sel:BYTE_0
	v_and_b32_e32 v10, s52, v9
	v_mul_u32_u24_e32 v9, 9, v10
	v_add_lshl_u32 v20, v27, v9, 2
	v_and_b32_e32 v9, 1, v10
	v_add_co_u32_e64 v11, s[12:13], -1, v9
	v_addc_co_u32_e64 v28, s[12:13], 0, -1, s[12:13]
	v_cmp_ne_u32_e64 s[12:13], 0, v9
	v_xor_b32_e32 v9, s13, v28
	v_and_b32_e32 v28, exec_hi, v9
	v_lshlrev_b32_e32 v9, 30, v10
	v_xor_b32_e32 v11, s12, v11
	v_cmp_gt_i64_e64 s[12:13], 0, v[8:9]
	v_not_b32_e32 v9, v9
	v_ashrrev_i32_e32 v9, 31, v9
	v_and_b32_e32 v11, exec_lo, v11
	v_xor_b32_e32 v29, s13, v9
	v_xor_b32_e32 v9, s12, v9
	v_and_b32_e32 v11, v11, v9
	v_lshlrev_b32_e32 v9, 29, v10
	v_cmp_gt_i64_e64 s[12:13], 0, v[8:9]
	v_not_b32_e32 v9, v9
	v_ashrrev_i32_e32 v9, 31, v9
	v_and_b32_e32 v28, v28, v29
	v_xor_b32_e32 v29, s13, v9
	v_xor_b32_e32 v9, s12, v9
	v_and_b32_e32 v11, v11, v9
	v_lshlrev_b32_e32 v9, 28, v10
	v_cmp_gt_i64_e64 s[12:13], 0, v[8:9]
	v_not_b32_e32 v9, v9
	v_ashrrev_i32_e32 v9, 31, v9
	v_and_b32_e32 v28, v28, v29
	;; [unrolled: 8-line block ×5, first 2 shown]
	v_xor_b32_e32 v29, s13, v9
	v_xor_b32_e32 v9, s12, v9
	v_and_b32_e32 v11, v11, v9
	v_lshlrev_b32_e32 v9, 24, v10
	v_cmp_gt_i64_e64 s[12:13], 0, v[8:9]
	v_not_b32_e32 v8, v9
	v_ashrrev_i32_e32 v8, 31, v8
	v_xor_b32_e32 v9, s13, v8
	v_xor_b32_e32 v8, s12, v8
	; wave barrier
	ds_read_b32 v26, v20 offset:32
	v_and_b32_e32 v28, v28, v29
	v_and_b32_e32 v8, v11, v8
	;; [unrolled: 1-line block ×3, first 2 shown]
	v_mbcnt_lo_u32_b32 v10, v8, 0
	v_mbcnt_hi_u32_b32 v29, v9, v10
	v_cmp_eq_u32_e64 s[12:13], 0, v29
	v_cmp_ne_u64_e64 s[14:15], 0, v[8:9]
	s_and_b64 s[14:15], s[14:15], s[12:13]
	; wave barrier
	s_and_saveexec_b64 s[12:13], s[14:15]
	s_cbranch_execz .LBB38_21
; %bb.20:
	v_bcnt_u32_b32 v8, v8, 0
	v_bcnt_u32_b32 v8, v9, v8
	s_waitcnt lgkmcnt(0)
	v_add_u32_e32 v8, v26, v8
	ds_write_b32 v20, v8 offset:32
.LBB38_21:
	s_or_b64 exec, exec, s[12:13]
	v_xor_b32_e32 v16, 0x7f, v16
	v_lshrrev_b32_sdwa v8, s48, v16 dst_sel:DWORD dst_unused:UNUSED_PAD src0_sel:DWORD src1_sel:BYTE_0
	v_and_b32_e32 v10, s52, v8
	v_and_b32_e32 v9, 1, v10
	v_add_co_u32_e64 v11, s[12:13], -1, v9
	v_addc_co_u32_e64 v31, s[12:13], 0, -1, s[12:13]
	v_cmp_ne_u32_e64 s[12:13], 0, v9
	v_mul_u32_u24_e32 v8, 9, v10
	v_xor_b32_e32 v9, s13, v31
	v_add_lshl_u32 v28, v27, v8, 2
	v_mov_b32_e32 v8, 0
	v_and_b32_e32 v31, exec_hi, v9
	v_lshlrev_b32_e32 v9, 30, v10
	v_xor_b32_e32 v11, s12, v11
	v_cmp_gt_i64_e64 s[12:13], 0, v[8:9]
	v_not_b32_e32 v9, v9
	v_ashrrev_i32_e32 v9, 31, v9
	v_and_b32_e32 v11, exec_lo, v11
	v_xor_b32_e32 v32, s13, v9
	v_xor_b32_e32 v9, s12, v9
	v_and_b32_e32 v11, v11, v9
	v_lshlrev_b32_e32 v9, 29, v10
	v_cmp_gt_i64_e64 s[12:13], 0, v[8:9]
	v_not_b32_e32 v9, v9
	v_ashrrev_i32_e32 v9, 31, v9
	v_and_b32_e32 v31, v31, v32
	v_xor_b32_e32 v32, s13, v9
	v_xor_b32_e32 v9, s12, v9
	v_and_b32_e32 v11, v11, v9
	v_lshlrev_b32_e32 v9, 28, v10
	v_cmp_gt_i64_e64 s[12:13], 0, v[8:9]
	v_not_b32_e32 v9, v9
	v_ashrrev_i32_e32 v9, 31, v9
	v_and_b32_e32 v31, v31, v32
	;; [unrolled: 8-line block ×5, first 2 shown]
	v_xor_b32_e32 v32, s13, v9
	v_xor_b32_e32 v9, s12, v9
	v_and_b32_e32 v31, v31, v32
	v_and_b32_e32 v32, v11, v9
	v_lshlrev_b32_e32 v9, 24, v10
	v_cmp_gt_i64_e64 s[12:13], 0, v[8:9]
	v_not_b32_e32 v9, v9
	v_ashrrev_i32_e32 v9, 31, v9
	v_xor_b32_e32 v10, s13, v9
	v_xor_b32_e32 v9, s12, v9
	; wave barrier
	ds_read_b32 v30, v28 offset:32
	v_and_b32_e32 v11, v31, v10
	v_and_b32_e32 v10, v32, v9
	v_mbcnt_lo_u32_b32 v9, v10, 0
	v_mbcnt_hi_u32_b32 v31, v11, v9
	v_cmp_eq_u32_e64 s[12:13], 0, v31
	v_cmp_ne_u64_e64 s[14:15], 0, v[10:11]
	s_and_b64 s[14:15], s[14:15], s[12:13]
	; wave barrier
	s_and_saveexec_b64 s[12:13], s[14:15]
	s_cbranch_execz .LBB38_23
; %bb.22:
	v_bcnt_u32_b32 v9, v10, 0
	v_bcnt_u32_b32 v9, v11, v9
	s_waitcnt lgkmcnt(0)
	v_add_u32_e32 v9, v30, v9
	ds_write_b32 v28, v9 offset:32
.LBB38_23:
	s_or_b64 exec, exec, s[12:13]
	v_xor_b32_e32 v12, 0x7f, v12
	v_lshrrev_b32_sdwa v9, s48, v12 dst_sel:DWORD dst_unused:UNUSED_PAD src0_sel:DWORD src1_sel:BYTE_0
	v_and_b32_e32 v10, s52, v9
	v_mul_u32_u24_e32 v9, 9, v10
	v_add_lshl_u32 v27, v27, v9, 2
	v_and_b32_e32 v9, 1, v10
	v_add_co_u32_e64 v11, s[12:13], -1, v9
	v_addc_co_u32_e64 v34, s[12:13], 0, -1, s[12:13]
	v_cmp_ne_u32_e64 s[12:13], 0, v9
	v_xor_b32_e32 v9, s13, v34
	v_and_b32_e32 v34, exec_hi, v9
	v_lshlrev_b32_e32 v9, 30, v10
	v_xor_b32_e32 v11, s12, v11
	v_cmp_gt_i64_e64 s[12:13], 0, v[8:9]
	v_not_b32_e32 v9, v9
	v_ashrrev_i32_e32 v9, 31, v9
	v_and_b32_e32 v11, exec_lo, v11
	v_xor_b32_e32 v35, s13, v9
	v_xor_b32_e32 v9, s12, v9
	v_and_b32_e32 v11, v11, v9
	v_lshlrev_b32_e32 v9, 29, v10
	v_cmp_gt_i64_e64 s[12:13], 0, v[8:9]
	v_not_b32_e32 v9, v9
	v_ashrrev_i32_e32 v9, 31, v9
	v_and_b32_e32 v34, v34, v35
	v_xor_b32_e32 v35, s13, v9
	v_xor_b32_e32 v9, s12, v9
	v_and_b32_e32 v11, v11, v9
	v_lshlrev_b32_e32 v9, 28, v10
	v_cmp_gt_i64_e64 s[12:13], 0, v[8:9]
	v_not_b32_e32 v9, v9
	v_ashrrev_i32_e32 v9, 31, v9
	v_and_b32_e32 v34, v34, v35
	;; [unrolled: 8-line block ×5, first 2 shown]
	v_xor_b32_e32 v35, s13, v9
	v_xor_b32_e32 v9, s12, v9
	v_and_b32_e32 v11, v11, v9
	v_lshlrev_b32_e32 v9, 24, v10
	v_cmp_gt_i64_e64 s[12:13], 0, v[8:9]
	v_not_b32_e32 v8, v9
	v_ashrrev_i32_e32 v8, 31, v8
	v_xor_b32_e32 v9, s13, v8
	v_xor_b32_e32 v8, s12, v8
	; wave barrier
	ds_read_b32 v32, v27 offset:32
	v_and_b32_e32 v34, v34, v35
	v_and_b32_e32 v8, v11, v8
	;; [unrolled: 1-line block ×3, first 2 shown]
	v_mbcnt_lo_u32_b32 v10, v8, 0
	v_mbcnt_hi_u32_b32 v34, v9, v10
	v_cmp_eq_u32_e64 s[12:13], 0, v34
	v_cmp_ne_u64_e64 s[14:15], 0, v[8:9]
	v_add_u32_e32 v33, 32, v7
	s_and_b64 s[14:15], s[14:15], s[12:13]
	; wave barrier
	s_and_saveexec_b64 s[12:13], s[14:15]
	s_cbranch_execz .LBB38_25
; %bb.24:
	v_bcnt_u32_b32 v8, v8, 0
	v_bcnt_u32_b32 v8, v9, v8
	s_waitcnt lgkmcnt(0)
	v_add_u32_e32 v8, v32, v8
	ds_write_b32 v27, v8 offset:32
.LBB38_25:
	s_or_b64 exec, exec, s[12:13]
	; wave barrier
	s_waitcnt lgkmcnt(0)
	s_barrier
	ds_read2_b32 v[10:11], v7 offset0:8 offset1:9
	ds_read2_b32 v[8:9], v33 offset0:2 offset1:3
	ds_read_b32 v35, v33 offset:16
	v_min_u32_e32 v3, 0x1c0, v3
	v_or_b32_e32 v3, 63, v3
	s_waitcnt lgkmcnt(1)
	v_add3_u32 v36, v11, v10, v8
	s_waitcnt lgkmcnt(0)
	v_add3_u32 v35, v36, v9, v35
	v_and_b32_e32 v36, 15, v6
	v_cmp_ne_u32_e64 s[12:13], 0, v36
	v_mov_b32_dpp v37, v35 row_shr:1 row_mask:0xf bank_mask:0xf
	v_cndmask_b32_e64 v37, 0, v37, s[12:13]
	v_add_u32_e32 v35, v37, v35
	v_cmp_lt_u32_e64 s[12:13], 1, v36
	s_nop 0
	v_mov_b32_dpp v37, v35 row_shr:2 row_mask:0xf bank_mask:0xf
	v_cndmask_b32_e64 v37, 0, v37, s[12:13]
	v_add_u32_e32 v35, v35, v37
	v_cmp_lt_u32_e64 s[12:13], 3, v36
	s_nop 0
	;; [unrolled: 5-line block ×3, first 2 shown]
	v_mov_b32_dpp v37, v35 row_shr:8 row_mask:0xf bank_mask:0xf
	v_cndmask_b32_e64 v36, 0, v37, s[12:13]
	v_add_u32_e32 v35, v35, v36
	v_bfe_i32 v37, v6, 4, 1
	v_cmp_lt_u32_e64 s[12:13], 31, v6
	v_mov_b32_dpp v36, v35 row_bcast:15 row_mask:0xf bank_mask:0xf
	v_and_b32_e32 v36, v37, v36
	v_add_u32_e32 v35, v35, v36
	s_nop 1
	v_mov_b32_dpp v36, v35 row_bcast:31 row_mask:0xf bank_mask:0xf
	v_cndmask_b32_e64 v36, 0, v36, s[12:13]
	v_add_u32_e32 v35, v35, v36
	v_lshrrev_b32_e32 v36, 6, v2
	v_cmp_eq_u32_e64 s[12:13], v3, v2
	s_and_saveexec_b64 s[14:15], s[12:13]
	s_cbranch_execz .LBB38_27
; %bb.26:
	v_lshlrev_b32_e32 v3, 2, v36
	ds_write_b32 v3, v35
.LBB38_27:
	s_or_b64 exec, exec, s[14:15]
	v_cmp_gt_u32_e64 s[12:13], 8, v2
	s_waitcnt lgkmcnt(0)
	s_barrier
	s_and_saveexec_b64 s[14:15], s[12:13]
	s_cbranch_execz .LBB38_29
; %bb.28:
	v_lshlrev_b32_e32 v3, 2, v2
	ds_read_b32 v37, v3
	v_and_b32_e32 v38, 7, v6
	v_cmp_ne_u32_e64 s[12:13], 0, v38
	s_waitcnt lgkmcnt(0)
	v_mov_b32_dpp v39, v37 row_shr:1 row_mask:0xf bank_mask:0xf
	v_cndmask_b32_e64 v39, 0, v39, s[12:13]
	v_add_u32_e32 v37, v39, v37
	v_cmp_lt_u32_e64 s[12:13], 1, v38
	s_nop 0
	v_mov_b32_dpp v39, v37 row_shr:2 row_mask:0xf bank_mask:0xf
	v_cndmask_b32_e64 v39, 0, v39, s[12:13]
	v_add_u32_e32 v37, v37, v39
	v_cmp_lt_u32_e64 s[12:13], 3, v38
	s_nop 0
	v_mov_b32_dpp v39, v37 row_shr:4 row_mask:0xf bank_mask:0xf
	v_cndmask_b32_e64 v38, 0, v39, s[12:13]
	v_add_u32_e32 v37, v37, v38
	ds_write_b32 v3, v37
.LBB38_29:
	s_or_b64 exec, exec, s[14:15]
	v_cmp_lt_u32_e64 s[12:13], 63, v2
	v_mov_b32_e32 v3, 0
	s_waitcnt lgkmcnt(0)
	s_barrier
	s_and_saveexec_b64 s[14:15], s[12:13]
	s_cbranch_execz .LBB38_31
; %bb.30:
	v_lshl_add_u32 v3, v36, 2, -4
	ds_read_b32 v3, v3
.LBB38_31:
	s_or_b64 exec, exec, s[14:15]
	v_add_u32_e32 v36, -1, v6
	v_and_b32_e32 v37, 64, v6
	v_cmp_lt_i32_e64 s[12:13], v36, v37
	v_cndmask_b32_e64 v36, v36, v6, s[12:13]
	s_waitcnt lgkmcnt(0)
	v_add_u32_e32 v35, v3, v35
	v_lshlrev_b32_e32 v36, 2, v36
	ds_bpermute_b32 v35, v36, v35
	v_cmp_eq_u32_e64 s[12:13], 0, v6
	s_waitcnt lgkmcnt(0)
	v_cndmask_b32_e64 v3, v35, v3, s[12:13]
	v_cmp_ne_u32_e64 s[12:13], 0, v2
	v_cndmask_b32_e64 v3, 0, v3, s[12:13]
	v_add_u32_e32 v10, v3, v10
	v_add_u32_e32 v11, v10, v11
	;; [unrolled: 1-line block ×4, first 2 shown]
	ds_write2_b32 v7, v3, v10 offset0:8 offset1:9
	ds_write2_b32 v33, v11, v8 offset0:2 offset1:3
	ds_write_b32 v33, v9 offset:16
	s_waitcnt lgkmcnt(0)
	s_barrier
	ds_read_b32 v3, v17 offset:32
	ds_read_b32 v7, v18 offset:32
	;; [unrolled: 1-line block ×6, first 2 shown]
	s_movk_i32 s12, 0x100
	v_cmp_gt_u32_e64 s[12:13], s12, v2
	v_pk_mov_b32 v[8:9], 0, 0
                                        ; implicit-def: $vgpr20
	s_and_saveexec_b64 s[16:17], s[12:13]
	s_cbranch_execz .LBB38_35
; %bb.32:
	v_mul_u32_u24_e32 v8, 9, v2
	v_lshlrev_b32_e32 v20, 2, v8
	ds_read_b32 v8, v20 offset:32
	s_movk_i32 s14, 0xff
	v_cmp_ne_u32_e64 s[14:15], s14, v2
	v_mov_b32_e32 v9, 0xc00
	s_and_saveexec_b64 s[18:19], s[14:15]
	s_cbranch_execz .LBB38_34
; %bb.33:
	ds_read_b32 v9, v20 offset:68
.LBB38_34:
	s_or_b64 exec, exec, s[18:19]
	s_waitcnt lgkmcnt(0)
	v_sub_u32_e32 v20, v9, v8
	v_mov_b32_e32 v9, 0
.LBB38_35:
	s_or_b64 exec, exec, s[16:17]
	s_waitcnt lgkmcnt(5)
	v_add_u32_e32 v28, v3, v13
	s_waitcnt lgkmcnt(4)
	v_add3_u32 v27, v19, v15, v7
	s_waitcnt lgkmcnt(3)
	v_add3_u32 v24, v24, v22, v10
	;; [unrolled: 2-line block ×5, first 2 shown]
	s_barrier
	ds_write_b8 v28, v5 offset:2048
	ds_write_b8 v27, v14 offset:2048
	;; [unrolled: 1-line block ×6, first 2 shown]
	s_waitcnt lgkmcnt(0)
	s_barrier
	s_and_saveexec_b64 s[16:17], s[12:13]
	s_cbranch_execz .LBB38_45
; %bb.36:
	v_lshl_or_b32 v10, s6, 8, v2
	v_mov_b32_e32 v11, 0
	v_lshlrev_b64 v[12:13], 2, v[10:11]
	v_mov_b32_e32 v5, s35
	v_add_co_u32_e64 v12, s[14:15], s34, v12
	v_addc_co_u32_e64 v13, s[14:15], v5, v13, s[14:15]
	v_or_b32_e32 v7, 2.0, v20
	global_store_dword v[12:13], v7, off
	s_mov_b64 s[18:19], 0
	s_brev_b32 s24, 1
	s_mov_b32 s25, s6
	v_mov_b32_e32 v7, 0
                                        ; implicit-def: $sgpr14_sgpr15
	s_branch .LBB38_38
.LBB38_37:                              ;   in Loop: Header=BB38_38 Depth=1
	s_or_b64 exec, exec, s[20:21]
	v_and_b32_e32 v14, 0x3fffffff, v16
	v_add_u32_e32 v7, v14, v7
	v_cmp_eq_u32_e64 s[14:15], s24, v10
	s_and_b64 s[20:21], exec, s[14:15]
	s_or_b64 s[18:19], s[20:21], s[18:19]
	s_andn2_b64 exec, exec, s[18:19]
	s_cbranch_execz .LBB38_44
.LBB38_38:                              ; =>This Loop Header: Depth=1
                                        ;     Child Loop BB38_41 Depth 2
	s_or_b64 s[14:15], s[14:15], exec
	s_cmp_eq_u32 s25, 0
	s_cbranch_scc1 .LBB38_43
; %bb.39:                               ;   in Loop: Header=BB38_38 Depth=1
	s_add_i32 s25, s25, -1
	v_lshl_or_b32 v10, s25, 8, v2
	v_lshlrev_b64 v[14:15], 2, v[10:11]
	v_add_co_u32_e64 v14, s[14:15], s34, v14
	v_addc_co_u32_e64 v15, s[14:15], v5, v15, s[14:15]
	global_load_dword v16, v[14:15], off glc
	s_waitcnt vmcnt(0)
	v_and_b32_e32 v10, -2.0, v16
	v_cmp_eq_u32_e64 s[14:15], 0, v10
	s_and_saveexec_b64 s[20:21], s[14:15]
	s_cbranch_execz .LBB38_37
; %bb.40:                               ;   in Loop: Header=BB38_38 Depth=1
	s_mov_b64 s[22:23], 0
.LBB38_41:                              ;   Parent Loop BB38_38 Depth=1
                                        ; =>  This Inner Loop Header: Depth=2
	global_load_dword v16, v[14:15], off glc
	s_waitcnt vmcnt(0)
	v_and_b32_e32 v10, -2.0, v16
	v_cmp_ne_u32_e64 s[14:15], 0, v10
	s_or_b64 s[22:23], s[14:15], s[22:23]
	s_andn2_b64 exec, exec, s[22:23]
	s_cbranch_execnz .LBB38_41
; %bb.42:                               ;   in Loop: Header=BB38_38 Depth=1
	s_or_b64 exec, exec, s[22:23]
	s_branch .LBB38_37
.LBB38_43:                              ;   in Loop: Header=BB38_38 Depth=1
                                        ; implicit-def: $sgpr25
	s_and_b64 s[20:21], exec, s[14:15]
	s_or_b64 s[18:19], s[20:21], s[18:19]
	s_andn2_b64 exec, exec, s[18:19]
	s_cbranch_execnz .LBB38_38
.LBB38_44:
	s_or_b64 exec, exec, s[18:19]
	v_add_u32_e32 v5, v7, v20
	v_or_b32_e32 v5, 0x80000000, v5
	global_store_dword v[12:13], v5, off
	v_lshlrev_b32_e32 v5, 3, v2
	global_load_dwordx2 v[10:11], v5, s[44:45]
	v_sub_co_u32_e64 v7, s[14:15], v7, v8
	v_subb_co_u32_e64 v12, s[14:15], 0, v9, s[14:15]
	s_waitcnt vmcnt(0)
	v_add_co_u32_e64 v10, s[14:15], v7, v10
	v_addc_co_u32_e64 v11, s[14:15], v12, v11, s[14:15]
	ds_write_b64 v5, v[10:11]
.LBB38_45:
	s_or_b64 exec, exec, s[16:17]
	v_cmp_gt_u32_e64 s[14:15], s33, v2
	s_waitcnt lgkmcnt(0)
	s_barrier
	s_and_saveexec_b64 s[18:19], s[14:15]
	s_cbranch_execz .LBB38_47
; %bb.46:
	ds_read_u8 v5, v2 offset:2048
	s_waitcnt lgkmcnt(0)
	v_lshrrev_b32_sdwa v7, s48, v5 dst_sel:DWORD dst_unused:UNUSED_PAD src0_sel:DWORD src1_sel:BYTE_0
	v_and_b32_e32 v7, s52, v7
	v_lshlrev_b32_e32 v7, 3, v7
	ds_read_b64 v[10:11], v7
	v_mov_b32_e32 v7, s39
	v_xor_b32_e32 v5, 0x7f, v5
	s_waitcnt lgkmcnt(0)
	v_add_co_u32_e64 v10, s[16:17], s38, v10
	v_addc_co_u32_e64 v7, s[16:17], v7, v11, s[16:17]
	v_add_co_u32_e64 v10, s[16:17], v10, v2
	v_addc_co_u32_e64 v11, s[16:17], 0, v7, s[16:17]
	global_store_byte v[10:11], v5, off
.LBB38_47:
	s_or_b64 exec, exec, s[18:19]
	v_add_u32_e32 v21, 0x200, v2
	v_cmp_gt_u32_e64 s[16:17], s33, v21
	s_and_saveexec_b64 s[20:21], s[16:17]
	s_cbranch_execz .LBB38_49
; %bb.48:
	ds_read_u8 v5, v2 offset:2560
	s_waitcnt lgkmcnt(0)
	v_lshrrev_b32_sdwa v7, s48, v5 dst_sel:DWORD dst_unused:UNUSED_PAD src0_sel:DWORD src1_sel:BYTE_0
	v_and_b32_e32 v7, s52, v7
	v_lshlrev_b32_e32 v7, 3, v7
	ds_read_b64 v[10:11], v7
	v_mov_b32_e32 v7, s39
	v_xor_b32_e32 v5, 0x7f, v5
	s_waitcnt lgkmcnt(0)
	v_add_co_u32_e64 v10, s[18:19], s38, v10
	v_addc_co_u32_e64 v7, s[18:19], v7, v11, s[18:19]
	v_add_co_u32_e64 v10, s[18:19], v10, v2
	v_addc_co_u32_e64 v11, s[18:19], 0, v7, s[18:19]
	global_store_byte v[10:11], v5, off offset:512
.LBB38_49:
	s_or_b64 exec, exec, s[20:21]
	v_or_b32_e32 v25, 0x400, v2
	v_cmp_gt_u32_e64 s[18:19], s33, v25
	s_and_saveexec_b64 s[22:23], s[18:19]
	s_cbranch_execz .LBB38_51
; %bb.50:
	ds_read_u8 v5, v2 offset:3072
	s_waitcnt lgkmcnt(0)
	v_lshrrev_b32_sdwa v7, s48, v5 dst_sel:DWORD dst_unused:UNUSED_PAD src0_sel:DWORD src1_sel:BYTE_0
	v_and_b32_e32 v7, s52, v7
	v_lshlrev_b32_e32 v7, 3, v7
	ds_read_b64 v[10:11], v7
	v_mov_b32_e32 v7, s39
	v_xor_b32_e32 v5, 0x7f, v5
	s_waitcnt lgkmcnt(0)
	v_add_co_u32_e64 v10, s[20:21], s38, v10
	v_addc_co_u32_e64 v7, s[20:21], v7, v11, s[20:21]
	v_add_co_u32_e64 v10, s[20:21], v10, v2
	v_addc_co_u32_e64 v11, s[20:21], 0, v7, s[20:21]
	global_store_byte v[10:11], v5, off offset:1024
.LBB38_51:
	s_or_b64 exec, exec, s[22:23]
	v_add_u32_e32 v26, 0x600, v2
	v_cmp_gt_u32_e64 s[20:21], s33, v26
	s_and_saveexec_b64 s[24:25], s[20:21]
	s_cbranch_execz .LBB38_53
; %bb.52:
	ds_read_u8 v5, v2 offset:3584
	s_waitcnt lgkmcnt(0)
	v_lshrrev_b32_sdwa v7, s48, v5 dst_sel:DWORD dst_unused:UNUSED_PAD src0_sel:DWORD src1_sel:BYTE_0
	v_and_b32_e32 v7, s52, v7
	v_lshlrev_b32_e32 v7, 3, v7
	ds_read_b64 v[10:11], v7
	v_mov_b32_e32 v7, s39
	v_xor_b32_e32 v5, 0x7f, v5
	s_waitcnt lgkmcnt(0)
	v_add_co_u32_e64 v10, s[22:23], s38, v10
	v_addc_co_u32_e64 v7, s[22:23], v7, v11, s[22:23]
	v_add_co_u32_e64 v10, s[22:23], v10, v2
	v_addc_co_u32_e64 v11, s[22:23], 0, v7, s[22:23]
	global_store_byte v[10:11], v5, off offset:1536
.LBB38_53:
	s_or_b64 exec, exec, s[24:25]
	v_or_b32_e32 v29, 0x800, v2
	v_cmp_gt_u32_e64 s[22:23], s33, v29
	s_and_saveexec_b64 s[28:29], s[22:23]
	s_cbranch_execz .LBB38_55
; %bb.54:
	ds_read_u8 v5, v2 offset:4096
	s_waitcnt lgkmcnt(0)
	v_lshrrev_b32_sdwa v7, s48, v5 dst_sel:DWORD dst_unused:UNUSED_PAD src0_sel:DWORD src1_sel:BYTE_0
	v_and_b32_e32 v7, s52, v7
	v_lshlrev_b32_e32 v7, 3, v7
	ds_read_b64 v[10:11], v7
	v_mov_b32_e32 v7, s39
	v_xor_b32_e32 v5, 0x7f, v5
	s_waitcnt lgkmcnt(0)
	v_add_co_u32_e64 v10, s[24:25], s38, v10
	v_addc_co_u32_e64 v7, s[24:25], v7, v11, s[24:25]
	v_add_co_u32_e64 v10, s[24:25], v10, v2
	v_addc_co_u32_e64 v11, s[24:25], 0, v7, s[24:25]
	global_store_byte v[10:11], v5, off offset:2048
.LBB38_55:
	s_or_b64 exec, exec, s[28:29]
	v_add_u32_e32 v30, 0xa00, v2
	v_cmp_gt_u32_e64 s[24:25], s33, v30
	s_and_saveexec_b64 s[50:51], s[24:25]
	s_cbranch_execz .LBB38_57
; %bb.56:
	ds_read_u8 v5, v2 offset:4608
	s_waitcnt lgkmcnt(0)
	v_lshrrev_b32_sdwa v7, s48, v5 dst_sel:DWORD dst_unused:UNUSED_PAD src0_sel:DWORD src1_sel:BYTE_0
	v_and_b32_e32 v7, s52, v7
	v_lshlrev_b32_e32 v7, 3, v7
	ds_read_b64 v[10:11], v7
	v_mov_b32_e32 v7, s39
	v_xor_b32_e32 v5, 0x7f, v5
	s_waitcnt lgkmcnt(0)
	v_add_co_u32_e64 v10, s[28:29], s38, v10
	v_addc_co_u32_e64 v7, s[28:29], v7, v11, s[28:29]
	v_add_co_u32_e64 v10, s[28:29], v10, v2
	v_addc_co_u32_e64 v11, s[28:29], 0, v7, s[28:29]
	global_store_byte v[10:11], v5, off offset:2560
.LBB38_57:
	s_or_b64 exec, exec, s[50:51]
	s_lshl_b64 s[28:29], s[30:31], 3
	s_add_u32 s28, s40, s28
	s_addc_u32 s29, s41, s29
	v_lshlrev_b32_e32 v5, 3, v6
	v_mov_b32_e32 v6, s29
	v_add_co_u32_e64 v5, s[28:29], s28, v5
	v_addc_co_u32_e64 v6, s[28:29], 0, v6, s[28:29]
	v_lshlrev_b32_e32 v4, 3, v4
	v_add_co_u32_e64 v18, s[28:29], v5, v4
	v_addc_co_u32_e64 v19, s[28:29], 0, v6, s[28:29]
                                        ; implicit-def: $vgpr4_vgpr5
	s_and_saveexec_b64 s[28:29], vcc
	s_xor_b64 s[28:29], exec, s[28:29]
	s_cbranch_execnz .LBB38_127
; %bb.58:
	s_or_b64 exec, exec, s[28:29]
                                        ; implicit-def: $vgpr6_vgpr7
	s_and_saveexec_b64 s[28:29], s[0:1]
	s_cbranch_execnz .LBB38_128
.LBB38_59:
	s_or_b64 exec, exec, s[28:29]
                                        ; implicit-def: $vgpr10_vgpr11
	s_and_saveexec_b64 s[0:1], s[2:3]
	s_cbranch_execnz .LBB38_129
.LBB38_60:
	s_or_b64 exec, exec, s[0:1]
                                        ; implicit-def: $vgpr12_vgpr13
	s_and_saveexec_b64 s[0:1], s[26:27]
	s_cbranch_execnz .LBB38_130
.LBB38_61:
	s_or_b64 exec, exec, s[0:1]
                                        ; implicit-def: $vgpr14_vgpr15
	s_and_saveexec_b64 s[0:1], s[8:9]
	s_cbranch_execnz .LBB38_131
.LBB38_62:
	s_or_b64 exec, exec, s[0:1]
                                        ; implicit-def: $vgpr16_vgpr17
	s_and_saveexec_b64 s[0:1], s[10:11]
	s_cbranch_execz .LBB38_64
.LBB38_63:
	global_load_dwordx2 v[16:17], v[18:19], off offset:2560
.LBB38_64:
	s_or_b64 exec, exec, s[0:1]
	v_mov_b32_e32 v32, 0
	v_mov_b32_e32 v34, 0
	s_and_saveexec_b64 s[0:1], s[14:15]
	s_cbranch_execz .LBB38_66
; %bb.65:
	ds_read_u8 v18, v2 offset:2048
	s_waitcnt lgkmcnt(0)
	v_lshrrev_b32_e32 v18, s48, v18
	v_and_b32_e32 v34, s52, v18
.LBB38_66:
	s_or_b64 exec, exec, s[0:1]
	s_and_saveexec_b64 s[0:1], s[16:17]
	s_cbranch_execz .LBB38_68
; %bb.67:
	ds_read_u8 v18, v2 offset:2560
	s_waitcnt lgkmcnt(0)
	v_lshrrev_b32_e32 v18, s48, v18
	v_and_b32_e32 v32, s52, v18
.LBB38_68:
	s_or_b64 exec, exec, s[0:1]
	v_mov_b32_e32 v19, 0
	v_mov_b32_e32 v33, 0
	s_and_saveexec_b64 s[0:1], s[18:19]
	s_cbranch_execz .LBB38_70
; %bb.69:
	ds_read_u8 v18, v2 offset:3072
	s_waitcnt lgkmcnt(0)
	v_lshrrev_b32_e32 v18, s48, v18
	v_and_b32_e32 v33, s52, v18
.LBB38_70:
	s_or_b64 exec, exec, s[0:1]
	s_and_saveexec_b64 s[0:1], s[20:21]
	s_cbranch_execz .LBB38_72
; %bb.71:
	ds_read_u8 v18, v2 offset:3584
	s_waitcnt lgkmcnt(0)
	v_lshrrev_b32_e32 v18, s48, v18
	v_and_b32_e32 v19, s52, v18
.LBB38_72:
	;; [unrolled: 20-line block ×3, first 2 shown]
	s_or_b64 exec, exec, s[0:1]
	v_lshlrev_b32_e32 v28, 3, v28
	s_barrier
	s_waitcnt vmcnt(0)
	ds_write_b64 v28, v[4:5] offset:2048
	v_lshlrev_b32_e32 v4, 3, v27
	ds_write_b64 v4, v[6:7] offset:2048
	v_lshlrev_b32_e32 v4, 3, v24
	;; [unrolled: 2-line block ×4, first 2 shown]
	v_lshlrev_b32_e32 v3, 3, v3
	ds_write_b64 v4, v[14:15] offset:2048
	ds_write_b64 v3, v[16:17] offset:2048
	v_lshlrev_b32_e32 v3, 3, v2
	s_waitcnt lgkmcnt(0)
	s_barrier
	s_and_saveexec_b64 s[0:1], s[14:15]
	s_cbranch_execnz .LBB38_132
; %bb.77:
	s_or_b64 exec, exec, s[0:1]
	s_and_saveexec_b64 s[0:1], s[16:17]
	s_cbranch_execnz .LBB38_133
.LBB38_78:
	s_or_b64 exec, exec, s[0:1]
	s_and_saveexec_b64 s[0:1], s[18:19]
	s_cbranch_execnz .LBB38_134
.LBB38_79:
	s_or_b64 exec, exec, s[0:1]
	s_and_saveexec_b64 s[0:1], s[20:21]
	s_cbranch_execnz .LBB38_135
.LBB38_80:
	s_or_b64 exec, exec, s[0:1]
	s_and_saveexec_b64 s[0:1], s[22:23]
	s_cbranch_execnz .LBB38_136
.LBB38_81:
	s_or_b64 exec, exec, s[0:1]
	s_and_saveexec_b64 s[0:1], s[24:25]
	s_cbranch_execz .LBB38_83
.LBB38_82:
	v_lshlrev_b32_e32 v4, 3, v18
	ds_read_b64 v[4:5], v4
	ds_read_b64 v[6:7], v3 offset:22528
	v_mov_b32_e32 v3, s43
	s_waitcnt lgkmcnt(1)
	v_lshlrev_b64 v[4:5], 3, v[4:5]
	v_add_co_u32_e32 v4, vcc, s42, v4
	v_addc_co_u32_e32 v3, vcc, v3, v5, vcc
	v_lshlrev_b32_e32 v5, 3, v30
	v_add_co_u32_e32 v4, vcc, v4, v5
	v_addc_co_u32_e32 v5, vcc, 0, v3, vcc
	s_waitcnt lgkmcnt(0)
	global_store_dwordx2 v[4:5], v[6:7], off
.LBB38_83:
	s_or_b64 exec, exec, s[0:1]
	s_add_i32 s7, s7, -1
	s_cmp_eq_u32 s6, s7
	s_cselect_b64 s[0:1], -1, 0
	s_and_b64 s[2:3], s[12:13], s[0:1]
	s_mov_b64 s[0:1], 0
	s_mov_b64 s[8:9], 0
                                        ; implicit-def: $vgpr4_vgpr5
	s_and_saveexec_b64 s[10:11], s[2:3]
	s_xor_b64 s[2:3], exec, s[10:11]
; %bb.84:
	v_add_co_u32_e32 v4, vcc, v8, v20
	s_mov_b64 s[8:9], exec
	v_mov_b32_e32 v3, 0
	v_addc_co_u32_e32 v5, vcc, 0, v9, vcc
; %bb.85:
	s_or_b64 exec, exec, s[2:3]
	s_and_b64 vcc, exec, s[0:1]
	s_cbranch_vccnz .LBB38_87
	s_branch .LBB38_124
.LBB38_86:
	s_mov_b64 s[8:9], 0
                                        ; implicit-def: $vgpr4_vgpr5
                                        ; implicit-def: $vgpr2_vgpr3
	s_cbranch_execz .LBB38_124
.LBB38_87:
	s_add_u32 s0, s36, s30
	v_and_b32_e32 v2, 0x3ff, v0
	s_addc_u32 s1, s37, 0
	v_mbcnt_hi_u32_b32 v6, -1, v1
	v_and_b32_e32 v7, 0x1c0, v2
	v_mov_b32_e32 v1, s1
	v_add_co_u32_e32 v3, vcc, s0, v6
	v_mul_u32_u24_e32 v4, 6, v7
	v_addc_co_u32_e32 v1, vcc, 0, v1, vcc
	v_add_co_u32_e32 v10, vcc, v3, v4
	v_addc_co_u32_e32 v11, vcc, 0, v1, vcc
	global_load_ubyte v1, v[10:11], off
	s_load_dword s0, s[4:5], 0x5c
	s_load_dword s7, s[4:5], 0x50
	s_add_u32 s1, s4, 0x50
	s_addc_u32 s2, s5, 0
	v_mov_b32_e32 v8, 0
	s_waitcnt lgkmcnt(0)
	s_lshr_b32 s3, s0, 16
	s_cmp_lt_u32 s6, s7
	s_cselect_b32 s0, 12, 18
	s_add_u32 s0, s1, s0
	s_addc_u32 s1, s2, 0
	global_load_ushort v13, v8, s[0:1]
	v_mul_u32_u24_e32 v5, 5, v2
	v_lshlrev_b32_e32 v5, 2, v5
	ds_write2_b32 v5, v8, v8 offset0:8 offset1:9
	ds_write2_b32 v5, v8, v8 offset0:10 offset1:11
	ds_write_b32 v5, v8 offset:48
	global_load_ubyte v12, v[10:11], off offset:64
	global_load_ubyte v16, v[10:11], off offset:128
	;; [unrolled: 1-line block ×5, first 2 shown]
	v_bfe_u32 v3, v0, 10, 10
	v_bfe_u32 v0, v0, 20, 10
	v_mad_u32_u24 v0, v0, s3, v3
	s_lshl_b32 s0, -1, s49
	s_not_b32 s14, s0
	s_mov_b32 s31, 0
	s_waitcnt lgkmcnt(0)
	s_barrier
	s_waitcnt lgkmcnt(0)
	; wave barrier
	s_waitcnt vmcnt(6)
	v_xor_b32_e32 v3, 0x7f, v1
	v_lshrrev_b32_e32 v1, s48, v3
	v_and_b32_e32 v11, s14, v1
	v_and_b32_e32 v1, 1, v11
	v_add_co_u32_e32 v14, vcc, -1, v1
	v_lshlrev_b32_e32 v9, 30, v11
	v_addc_co_u32_e64 v15, s[0:1], 0, -1, vcc
	v_cmp_ne_u32_e32 vcc, 0, v1
	v_cmp_gt_i64_e64 s[0:1], 0, v[8:9]
	v_not_b32_e32 v17, v9
	v_lshlrev_b32_e32 v9, 29, v11
	s_waitcnt vmcnt(5)
	v_mad_u64_u32 v[0:1], s[2:3], v0, v13, v[2:3]
	v_xor_b32_e32 v1, vcc_hi, v15
	v_xor_b32_e32 v13, vcc_lo, v14
	v_ashrrev_i32_e32 v14, 31, v17
	v_cmp_gt_i64_e32 vcc, 0, v[8:9]
	v_not_b32_e32 v15, v9
	v_lshlrev_b32_e32 v9, 28, v11
	v_lshrrev_b32_e32 v20, 6, v0
	v_and_b32_e32 v0, exec_hi, v1
	v_and_b32_e32 v1, exec_lo, v13
	v_xor_b32_e32 v13, s1, v14
	v_xor_b32_e32 v14, s0, v14
	v_ashrrev_i32_e32 v15, 31, v15
	v_cmp_gt_i64_e64 s[0:1], 0, v[8:9]
	v_not_b32_e32 v17, v9
	v_lshlrev_b32_e32 v9, 27, v11
	v_and_b32_e32 v0, v0, v13
	v_and_b32_e32 v1, v1, v14
	v_xor_b32_e32 v13, vcc_hi, v15
	v_xor_b32_e32 v14, vcc_lo, v15
	v_ashrrev_i32_e32 v15, 31, v17
	v_cmp_gt_i64_e32 vcc, 0, v[8:9]
	v_not_b32_e32 v9, v9
	v_and_b32_e32 v0, v0, v13
	v_and_b32_e32 v1, v1, v14
	v_xor_b32_e32 v13, s1, v15
	v_xor_b32_e32 v14, s0, v15
	v_ashrrev_i32_e32 v9, 31, v9
	v_and_b32_e32 v0, v0, v13
	v_and_b32_e32 v1, v1, v14
	v_xor_b32_e32 v13, vcc_hi, v9
	v_xor_b32_e32 v9, vcc_lo, v9
	v_and_b32_e32 v1, v1, v9
	v_lshlrev_b32_e32 v9, 26, v11
	v_cmp_gt_i64_e32 vcc, 0, v[8:9]
	v_not_b32_e32 v9, v9
	v_ashrrev_i32_e32 v9, 31, v9
	v_and_b32_e32 v0, v0, v13
	v_xor_b32_e32 v13, vcc_hi, v9
	v_xor_b32_e32 v9, vcc_lo, v9
	v_and_b32_e32 v1, v1, v9
	v_lshlrev_b32_e32 v9, 25, v11
	v_cmp_gt_i64_e32 vcc, 0, v[8:9]
	v_not_b32_e32 v9, v9
	v_ashrrev_i32_e32 v9, 31, v9
	v_and_b32_e32 v0, v0, v13
	v_xor_b32_e32 v13, vcc_hi, v9
	v_xor_b32_e32 v9, vcc_lo, v9
	v_and_b32_e32 v0, v0, v13
	v_and_b32_e32 v13, v1, v9
	v_lshlrev_b32_e32 v9, 24, v11
	v_not_b32_e32 v1, v9
	v_cmp_gt_i64_e32 vcc, 0, v[8:9]
	v_ashrrev_i32_e32 v1, 31, v1
	v_mul_u32_u24_e32 v10, 9, v11
	v_xor_b32_e32 v9, vcc_hi, v1
	v_xor_b32_e32 v11, vcc_lo, v1
	v_and_b32_e32 v1, v0, v9
	v_and_b32_e32 v0, v13, v11
	v_mbcnt_lo_u32_b32 v9, v0, 0
	v_mbcnt_hi_u32_b32 v11, v1, v9
	v_cmp_eq_u32_e32 vcc, 0, v11
	v_cmp_ne_u64_e64 s[0:1], 0, v[0:1]
	v_add_lshl_u32 v10, v20, v10, 2
	s_and_b64 s[2:3], s[0:1], vcc
	s_and_saveexec_b64 s[0:1], s[2:3]
	s_cbranch_execz .LBB38_89
; %bb.88:
	v_bcnt_u32_b32 v0, v0, 0
	v_bcnt_u32_b32 v0, v1, v0
	ds_write_b32 v10, v0 offset:32
.LBB38_89:
	s_or_b64 exec, exec, s[0:1]
	s_waitcnt vmcnt(4)
	v_xor_b32_e32 v12, 0x7f, v12
	v_lshrrev_b32_sdwa v0, s48, v12 dst_sel:DWORD dst_unused:UNUSED_PAD src0_sel:DWORD src1_sel:BYTE_0
	v_and_b32_e32 v0, s14, v0
	v_mul_u32_u24_e32 v1, 9, v0
	v_add_lshl_u32 v14, v20, v1, 2
	v_and_b32_e32 v1, 1, v0
	v_add_co_u32_e32 v9, vcc, -1, v1
	v_addc_co_u32_e64 v15, s[0:1], 0, -1, vcc
	v_cmp_ne_u32_e32 vcc, 0, v1
	v_xor_b32_e32 v9, vcc_lo, v9
	v_xor_b32_e32 v1, vcc_hi, v15
	v_and_b32_e32 v15, exec_lo, v9
	v_lshlrev_b32_e32 v9, 30, v0
	v_cmp_gt_i64_e32 vcc, 0, v[8:9]
	v_not_b32_e32 v9, v9
	v_ashrrev_i32_e32 v9, 31, v9
	v_xor_b32_e32 v17, vcc_hi, v9
	v_xor_b32_e32 v9, vcc_lo, v9
	v_and_b32_e32 v15, v15, v9
	v_lshlrev_b32_e32 v9, 29, v0
	v_cmp_gt_i64_e32 vcc, 0, v[8:9]
	v_not_b32_e32 v9, v9
	v_and_b32_e32 v1, exec_hi, v1
	v_ashrrev_i32_e32 v9, 31, v9
	v_and_b32_e32 v1, v1, v17
	v_xor_b32_e32 v17, vcc_hi, v9
	v_xor_b32_e32 v9, vcc_lo, v9
	v_and_b32_e32 v15, v15, v9
	v_lshlrev_b32_e32 v9, 28, v0
	v_cmp_gt_i64_e32 vcc, 0, v[8:9]
	v_not_b32_e32 v9, v9
	v_ashrrev_i32_e32 v9, 31, v9
	v_and_b32_e32 v1, v1, v17
	v_xor_b32_e32 v17, vcc_hi, v9
	v_xor_b32_e32 v9, vcc_lo, v9
	v_and_b32_e32 v15, v15, v9
	v_lshlrev_b32_e32 v9, 27, v0
	v_cmp_gt_i64_e32 vcc, 0, v[8:9]
	v_not_b32_e32 v9, v9
	;; [unrolled: 8-line block ×4, first 2 shown]
	v_ashrrev_i32_e32 v9, 31, v9
	v_and_b32_e32 v1, v1, v17
	v_xor_b32_e32 v17, vcc_hi, v9
	v_xor_b32_e32 v9, vcc_lo, v9
	v_and_b32_e32 v15, v15, v9
	v_lshlrev_b32_e32 v9, 24, v0
	v_not_b32_e32 v0, v9
	v_cmp_gt_i64_e32 vcc, 0, v[8:9]
	v_ashrrev_i32_e32 v0, 31, v0
	v_xor_b32_e32 v8, vcc_hi, v0
	v_xor_b32_e32 v0, vcc_lo, v0
	; wave barrier
	ds_read_b32 v13, v14 offset:32
	v_and_b32_e32 v1, v1, v17
	v_and_b32_e32 v0, v15, v0
	;; [unrolled: 1-line block ×3, first 2 shown]
	v_mbcnt_lo_u32_b32 v8, v0, 0
	v_mbcnt_hi_u32_b32 v15, v1, v8
	v_cmp_eq_u32_e32 vcc, 0, v15
	v_cmp_ne_u64_e64 s[0:1], 0, v[0:1]
	s_and_b64 s[2:3], s[0:1], vcc
	; wave barrier
	s_and_saveexec_b64 s[0:1], s[2:3]
	s_cbranch_execz .LBB38_91
; %bb.90:
	v_bcnt_u32_b32 v0, v0, 0
	v_bcnt_u32_b32 v0, v1, v0
	s_waitcnt lgkmcnt(0)
	v_add_u32_e32 v0, v13, v0
	ds_write_b32 v14, v0 offset:32
.LBB38_91:
	s_or_b64 exec, exec, s[0:1]
	s_waitcnt vmcnt(3)
	v_xor_b32_e32 v16, 0x7f, v16
	v_lshrrev_b32_sdwa v0, s48, v16 dst_sel:DWORD dst_unused:UNUSED_PAD src0_sel:DWORD src1_sel:BYTE_0
	v_and_b32_e32 v8, s14, v0
	v_and_b32_e32 v1, 1, v8
	v_add_co_u32_e32 v9, vcc, -1, v1
	v_addc_co_u32_e64 v21, s[0:1], 0, -1, vcc
	v_cmp_ne_u32_e32 vcc, 0, v1
	v_mul_u32_u24_e32 v0, 9, v8
	v_xor_b32_e32 v1, vcc_hi, v21
	v_add_lshl_u32 v19, v20, v0, 2
	v_mov_b32_e32 v0, 0
	v_and_b32_e32 v21, exec_hi, v1
	v_lshlrev_b32_e32 v1, 30, v8
	v_xor_b32_e32 v9, vcc_lo, v9
	v_cmp_gt_i64_e32 vcc, 0, v[0:1]
	v_not_b32_e32 v1, v1
	v_ashrrev_i32_e32 v1, 31, v1
	v_and_b32_e32 v9, exec_lo, v9
	v_xor_b32_e32 v23, vcc_hi, v1
	v_xor_b32_e32 v1, vcc_lo, v1
	v_and_b32_e32 v9, v9, v1
	v_lshlrev_b32_e32 v1, 29, v8
	v_cmp_gt_i64_e32 vcc, 0, v[0:1]
	v_not_b32_e32 v1, v1
	v_ashrrev_i32_e32 v1, 31, v1
	v_and_b32_e32 v21, v21, v23
	v_xor_b32_e32 v23, vcc_hi, v1
	v_xor_b32_e32 v1, vcc_lo, v1
	v_and_b32_e32 v9, v9, v1
	v_lshlrev_b32_e32 v1, 28, v8
	v_cmp_gt_i64_e32 vcc, 0, v[0:1]
	v_not_b32_e32 v1, v1
	v_ashrrev_i32_e32 v1, 31, v1
	v_and_b32_e32 v21, v21, v23
	;; [unrolled: 8-line block ×5, first 2 shown]
	v_xor_b32_e32 v23, vcc_hi, v1
	v_xor_b32_e32 v1, vcc_lo, v1
	v_and_b32_e32 v21, v21, v23
	v_and_b32_e32 v23, v9, v1
	v_lshlrev_b32_e32 v1, 24, v8
	v_cmp_gt_i64_e32 vcc, 0, v[0:1]
	v_not_b32_e32 v1, v1
	v_ashrrev_i32_e32 v1, 31, v1
	v_xor_b32_e32 v8, vcc_hi, v1
	v_xor_b32_e32 v1, vcc_lo, v1
	; wave barrier
	ds_read_b32 v17, v19 offset:32
	v_and_b32_e32 v9, v21, v8
	v_and_b32_e32 v8, v23, v1
	v_mbcnt_lo_u32_b32 v1, v8, 0
	v_mbcnt_hi_u32_b32 v21, v9, v1
	v_cmp_eq_u32_e32 vcc, 0, v21
	v_cmp_ne_u64_e64 s[0:1], 0, v[8:9]
	s_and_b64 s[2:3], s[0:1], vcc
	; wave barrier
	s_and_saveexec_b64 s[0:1], s[2:3]
	s_cbranch_execz .LBB38_93
; %bb.92:
	v_bcnt_u32_b32 v1, v8, 0
	v_bcnt_u32_b32 v1, v9, v1
	s_waitcnt lgkmcnt(0)
	v_add_u32_e32 v1, v17, v1
	ds_write_b32 v19, v1 offset:32
.LBB38_93:
	s_or_b64 exec, exec, s[0:1]
	s_waitcnt vmcnt(2)
	v_xor_b32_e32 v22, 0x7f, v22
	v_lshrrev_b32_sdwa v1, s48, v22 dst_sel:DWORD dst_unused:UNUSED_PAD src0_sel:DWORD src1_sel:BYTE_0
	v_and_b32_e32 v8, s14, v1
	v_mul_u32_u24_e32 v1, 9, v8
	v_add_lshl_u32 v25, v20, v1, 2
	v_and_b32_e32 v1, 1, v8
	v_add_co_u32_e32 v9, vcc, -1, v1
	v_addc_co_u32_e64 v26, s[0:1], 0, -1, vcc
	v_cmp_ne_u32_e32 vcc, 0, v1
	v_xor_b32_e32 v1, vcc_hi, v26
	v_and_b32_e32 v26, exec_hi, v1
	v_lshlrev_b32_e32 v1, 30, v8
	v_xor_b32_e32 v9, vcc_lo, v9
	v_cmp_gt_i64_e32 vcc, 0, v[0:1]
	v_not_b32_e32 v1, v1
	v_ashrrev_i32_e32 v1, 31, v1
	v_and_b32_e32 v9, exec_lo, v9
	v_xor_b32_e32 v27, vcc_hi, v1
	v_xor_b32_e32 v1, vcc_lo, v1
	v_and_b32_e32 v9, v9, v1
	v_lshlrev_b32_e32 v1, 29, v8
	v_cmp_gt_i64_e32 vcc, 0, v[0:1]
	v_not_b32_e32 v1, v1
	v_ashrrev_i32_e32 v1, 31, v1
	v_and_b32_e32 v26, v26, v27
	v_xor_b32_e32 v27, vcc_hi, v1
	v_xor_b32_e32 v1, vcc_lo, v1
	v_and_b32_e32 v9, v9, v1
	v_lshlrev_b32_e32 v1, 28, v8
	v_cmp_gt_i64_e32 vcc, 0, v[0:1]
	v_not_b32_e32 v1, v1
	v_ashrrev_i32_e32 v1, 31, v1
	v_and_b32_e32 v26, v26, v27
	;; [unrolled: 8-line block ×5, first 2 shown]
	v_xor_b32_e32 v27, vcc_hi, v1
	v_xor_b32_e32 v1, vcc_lo, v1
	v_and_b32_e32 v9, v9, v1
	v_lshlrev_b32_e32 v1, 24, v8
	v_cmp_gt_i64_e32 vcc, 0, v[0:1]
	v_not_b32_e32 v0, v1
	v_ashrrev_i32_e32 v0, 31, v0
	v_xor_b32_e32 v1, vcc_hi, v0
	v_xor_b32_e32 v0, vcc_lo, v0
	; wave barrier
	ds_read_b32 v23, v25 offset:32
	v_and_b32_e32 v26, v26, v27
	v_and_b32_e32 v0, v9, v0
	;; [unrolled: 1-line block ×3, first 2 shown]
	v_mbcnt_lo_u32_b32 v8, v0, 0
	v_mbcnt_hi_u32_b32 v26, v1, v8
	v_cmp_eq_u32_e32 vcc, 0, v26
	v_cmp_ne_u64_e64 s[0:1], 0, v[0:1]
	s_and_b64 s[2:3], s[0:1], vcc
	; wave barrier
	s_and_saveexec_b64 s[0:1], s[2:3]
	s_cbranch_execz .LBB38_95
; %bb.94:
	v_bcnt_u32_b32 v0, v0, 0
	v_bcnt_u32_b32 v0, v1, v0
	s_waitcnt lgkmcnt(0)
	v_add_u32_e32 v0, v23, v0
	ds_write_b32 v25, v0 offset:32
.LBB38_95:
	s_or_b64 exec, exec, s[0:1]
	s_waitcnt vmcnt(1)
	v_xor_b32_e32 v24, 0x7f, v24
	v_lshrrev_b32_sdwa v0, s48, v24 dst_sel:DWORD dst_unused:UNUSED_PAD src0_sel:DWORD src1_sel:BYTE_0
	v_and_b32_e32 v8, s14, v0
	v_and_b32_e32 v1, 1, v8
	v_add_co_u32_e32 v9, vcc, -1, v1
	v_addc_co_u32_e64 v29, s[0:1], 0, -1, vcc
	v_cmp_ne_u32_e32 vcc, 0, v1
	v_mul_u32_u24_e32 v0, 9, v8
	v_xor_b32_e32 v1, vcc_hi, v29
	v_add_lshl_u32 v28, v20, v0, 2
	v_mov_b32_e32 v0, 0
	v_and_b32_e32 v29, exec_hi, v1
	v_lshlrev_b32_e32 v1, 30, v8
	v_xor_b32_e32 v9, vcc_lo, v9
	v_cmp_gt_i64_e32 vcc, 0, v[0:1]
	v_not_b32_e32 v1, v1
	v_ashrrev_i32_e32 v1, 31, v1
	v_and_b32_e32 v9, exec_lo, v9
	v_xor_b32_e32 v30, vcc_hi, v1
	v_xor_b32_e32 v1, vcc_lo, v1
	v_and_b32_e32 v9, v9, v1
	v_lshlrev_b32_e32 v1, 29, v8
	v_cmp_gt_i64_e32 vcc, 0, v[0:1]
	v_not_b32_e32 v1, v1
	v_ashrrev_i32_e32 v1, 31, v1
	v_and_b32_e32 v29, v29, v30
	v_xor_b32_e32 v30, vcc_hi, v1
	v_xor_b32_e32 v1, vcc_lo, v1
	v_and_b32_e32 v9, v9, v1
	v_lshlrev_b32_e32 v1, 28, v8
	v_cmp_gt_i64_e32 vcc, 0, v[0:1]
	v_not_b32_e32 v1, v1
	v_ashrrev_i32_e32 v1, 31, v1
	v_and_b32_e32 v29, v29, v30
	;; [unrolled: 8-line block ×5, first 2 shown]
	v_xor_b32_e32 v30, vcc_hi, v1
	v_xor_b32_e32 v1, vcc_lo, v1
	v_and_b32_e32 v29, v29, v30
	v_and_b32_e32 v30, v9, v1
	v_lshlrev_b32_e32 v1, 24, v8
	v_cmp_gt_i64_e32 vcc, 0, v[0:1]
	v_not_b32_e32 v1, v1
	v_ashrrev_i32_e32 v1, 31, v1
	v_xor_b32_e32 v8, vcc_hi, v1
	v_xor_b32_e32 v1, vcc_lo, v1
	; wave barrier
	ds_read_b32 v27, v28 offset:32
	v_and_b32_e32 v9, v29, v8
	v_and_b32_e32 v8, v30, v1
	v_mbcnt_lo_u32_b32 v1, v8, 0
	v_mbcnt_hi_u32_b32 v29, v9, v1
	v_cmp_eq_u32_e32 vcc, 0, v29
	v_cmp_ne_u64_e64 s[0:1], 0, v[8:9]
	s_and_b64 s[2:3], s[0:1], vcc
	; wave barrier
	s_and_saveexec_b64 s[0:1], s[2:3]
	s_cbranch_execz .LBB38_97
; %bb.96:
	v_bcnt_u32_b32 v1, v8, 0
	v_bcnt_u32_b32 v1, v9, v1
	s_waitcnt lgkmcnt(0)
	v_add_u32_e32 v1, v27, v1
	ds_write_b32 v28, v1 offset:32
.LBB38_97:
	s_or_b64 exec, exec, s[0:1]
	s_waitcnt vmcnt(0)
	v_xor_b32_e32 v30, 0x7f, v18
	v_lshrrev_b32_sdwa v1, s48, v30 dst_sel:DWORD dst_unused:UNUSED_PAD src0_sel:DWORD src1_sel:BYTE_0
	v_and_b32_e32 v8, s14, v1
	v_mul_u32_u24_e32 v1, 9, v8
	v_add_lshl_u32 v18, v20, v1, 2
	v_and_b32_e32 v1, 1, v8
	v_add_co_u32_e32 v9, vcc, -1, v1
	v_addc_co_u32_e64 v32, s[0:1], 0, -1, vcc
	v_cmp_ne_u32_e32 vcc, 0, v1
	v_xor_b32_e32 v1, vcc_hi, v32
	v_and_b32_e32 v32, exec_hi, v1
	v_lshlrev_b32_e32 v1, 30, v8
	v_xor_b32_e32 v9, vcc_lo, v9
	v_cmp_gt_i64_e32 vcc, 0, v[0:1]
	v_not_b32_e32 v1, v1
	v_ashrrev_i32_e32 v1, 31, v1
	v_and_b32_e32 v9, exec_lo, v9
	v_xor_b32_e32 v33, vcc_hi, v1
	v_xor_b32_e32 v1, vcc_lo, v1
	v_and_b32_e32 v9, v9, v1
	v_lshlrev_b32_e32 v1, 29, v8
	v_cmp_gt_i64_e32 vcc, 0, v[0:1]
	v_not_b32_e32 v1, v1
	v_ashrrev_i32_e32 v1, 31, v1
	v_and_b32_e32 v32, v32, v33
	v_xor_b32_e32 v33, vcc_hi, v1
	v_xor_b32_e32 v1, vcc_lo, v1
	v_and_b32_e32 v9, v9, v1
	v_lshlrev_b32_e32 v1, 28, v8
	v_cmp_gt_i64_e32 vcc, 0, v[0:1]
	v_not_b32_e32 v1, v1
	v_ashrrev_i32_e32 v1, 31, v1
	v_and_b32_e32 v32, v32, v33
	;; [unrolled: 8-line block ×5, first 2 shown]
	v_xor_b32_e32 v33, vcc_hi, v1
	v_xor_b32_e32 v1, vcc_lo, v1
	v_and_b32_e32 v9, v9, v1
	v_lshlrev_b32_e32 v1, 24, v8
	v_cmp_gt_i64_e32 vcc, 0, v[0:1]
	v_not_b32_e32 v0, v1
	v_ashrrev_i32_e32 v0, 31, v0
	v_xor_b32_e32 v1, vcc_hi, v0
	v_xor_b32_e32 v0, vcc_lo, v0
	; wave barrier
	ds_read_b32 v20, v18 offset:32
	v_and_b32_e32 v32, v32, v33
	v_and_b32_e32 v0, v9, v0
	;; [unrolled: 1-line block ×3, first 2 shown]
	v_mbcnt_lo_u32_b32 v8, v0, 0
	v_mbcnt_hi_u32_b32 v32, v1, v8
	v_cmp_eq_u32_e32 vcc, 0, v32
	v_cmp_ne_u64_e64 s[0:1], 0, v[0:1]
	v_add_u32_e32 v31, 32, v5
	s_and_b64 s[2:3], s[0:1], vcc
	; wave barrier
	s_and_saveexec_b64 s[0:1], s[2:3]
	s_cbranch_execz .LBB38_99
; %bb.98:
	v_bcnt_u32_b32 v0, v0, 0
	v_bcnt_u32_b32 v0, v1, v0
	s_waitcnt lgkmcnt(0)
	v_add_u32_e32 v0, v20, v0
	ds_write_b32 v18, v0 offset:32
.LBB38_99:
	s_or_b64 exec, exec, s[0:1]
	; wave barrier
	s_waitcnt lgkmcnt(0)
	s_barrier
	ds_read2_b32 v[8:9], v5 offset0:8 offset1:9
	ds_read2_b32 v[0:1], v31 offset0:2 offset1:3
	ds_read_b32 v33, v31 offset:16
	v_min_u32_e32 v7, 0x1c0, v7
	v_or_b32_e32 v7, 63, v7
	s_waitcnt lgkmcnt(1)
	v_add3_u32 v34, v9, v8, v0
	s_waitcnt lgkmcnt(0)
	v_add3_u32 v33, v34, v1, v33
	v_and_b32_e32 v34, 15, v6
	v_cmp_ne_u32_e32 vcc, 0, v34
	v_mov_b32_dpp v35, v33 row_shr:1 row_mask:0xf bank_mask:0xf
	v_cndmask_b32_e32 v35, 0, v35, vcc
	v_add_u32_e32 v33, v35, v33
	v_cmp_lt_u32_e32 vcc, 1, v34
	s_nop 0
	v_mov_b32_dpp v35, v33 row_shr:2 row_mask:0xf bank_mask:0xf
	v_cndmask_b32_e32 v35, 0, v35, vcc
	v_add_u32_e32 v33, v33, v35
	v_cmp_lt_u32_e32 vcc, 3, v34
	s_nop 0
	;; [unrolled: 5-line block ×3, first 2 shown]
	v_mov_b32_dpp v35, v33 row_shr:8 row_mask:0xf bank_mask:0xf
	v_cndmask_b32_e32 v34, 0, v35, vcc
	v_add_u32_e32 v33, v33, v34
	v_bfe_i32 v35, v6, 4, 1
	v_cmp_lt_u32_e32 vcc, 31, v6
	v_mov_b32_dpp v34, v33 row_bcast:15 row_mask:0xf bank_mask:0xf
	v_and_b32_e32 v34, v35, v34
	v_add_u32_e32 v33, v33, v34
	s_nop 1
	v_mov_b32_dpp v34, v33 row_bcast:31 row_mask:0xf bank_mask:0xf
	v_cndmask_b32_e32 v34, 0, v34, vcc
	v_add_u32_e32 v33, v33, v34
	v_lshrrev_b32_e32 v34, 6, v2
	v_cmp_eq_u32_e32 vcc, v7, v2
	s_and_saveexec_b64 s[0:1], vcc
	s_cbranch_execz .LBB38_101
; %bb.100:
	v_lshlrev_b32_e32 v7, 2, v34
	ds_write_b32 v7, v33
.LBB38_101:
	s_or_b64 exec, exec, s[0:1]
	v_cmp_gt_u32_e32 vcc, 8, v2
	s_waitcnt lgkmcnt(0)
	s_barrier
	s_and_saveexec_b64 s[0:1], vcc
	s_cbranch_execz .LBB38_103
; %bb.102:
	v_lshlrev_b32_e32 v7, 2, v2
	ds_read_b32 v35, v7
	v_and_b32_e32 v36, 7, v6
	v_cmp_ne_u32_e32 vcc, 0, v36
	s_waitcnt lgkmcnt(0)
	v_mov_b32_dpp v37, v35 row_shr:1 row_mask:0xf bank_mask:0xf
	v_cndmask_b32_e32 v37, 0, v37, vcc
	v_add_u32_e32 v35, v37, v35
	v_cmp_lt_u32_e32 vcc, 1, v36
	s_nop 0
	v_mov_b32_dpp v37, v35 row_shr:2 row_mask:0xf bank_mask:0xf
	v_cndmask_b32_e32 v37, 0, v37, vcc
	v_add_u32_e32 v35, v35, v37
	v_cmp_lt_u32_e32 vcc, 3, v36
	s_nop 0
	v_mov_b32_dpp v37, v35 row_shr:4 row_mask:0xf bank_mask:0xf
	v_cndmask_b32_e32 v36, 0, v37, vcc
	v_add_u32_e32 v35, v35, v36
	ds_write_b32 v7, v35
.LBB38_103:
	s_or_b64 exec, exec, s[0:1]
	v_cmp_lt_u32_e32 vcc, 63, v2
	v_mov_b32_e32 v7, 0
	s_waitcnt lgkmcnt(0)
	s_barrier
	s_and_saveexec_b64 s[0:1], vcc
	s_cbranch_execz .LBB38_105
; %bb.104:
	v_lshl_add_u32 v7, v34, 2, -4
	ds_read_b32 v7, v7
.LBB38_105:
	s_or_b64 exec, exec, s[0:1]
	v_add_u32_e32 v34, -1, v6
	v_and_b32_e32 v35, 64, v6
	v_cmp_lt_i32_e32 vcc, v34, v35
	v_cndmask_b32_e32 v34, v34, v6, vcc
	s_waitcnt lgkmcnt(0)
	v_add_u32_e32 v33, v7, v33
	v_lshlrev_b32_e32 v34, 2, v34
	ds_bpermute_b32 v33, v34, v33
	v_cmp_eq_u32_e32 vcc, 0, v6
	s_movk_i32 s2, 0xff
	s_movk_i32 s3, 0x100
	v_cmp_lt_u32_e64 s[0:1], s2, v2
	s_waitcnt lgkmcnt(0)
	v_cndmask_b32_e32 v7, v33, v7, vcc
	v_cmp_ne_u32_e32 vcc, 0, v2
	v_cndmask_b32_e32 v7, 0, v7, vcc
	v_add_u32_e32 v8, v7, v8
	v_add_u32_e32 v9, v8, v9
	;; [unrolled: 1-line block ×4, first 2 shown]
	ds_write2_b32 v5, v7, v8 offset0:8 offset1:9
	ds_write2_b32 v31, v9, v0 offset0:2 offset1:3
	ds_write_b32 v31, v1 offset:16
	s_waitcnt lgkmcnt(0)
	s_barrier
	ds_read_b32 v5, v10 offset:32
	ds_read_b32 v8, v14 offset:32
	;; [unrolled: 1-line block ×6, first 2 shown]
	v_cmp_gt_u32_e32 vcc, s3, v2
	v_pk_mov_b32 v[0:1], 0, 0
                                        ; implicit-def: $vgpr7
	s_and_saveexec_b64 s[4:5], vcc
	s_cbranch_execz .LBB38_109
; %bb.106:
	v_mul_u32_u24_e32 v0, 9, v2
	v_lshlrev_b32_e32 v7, 2, v0
	ds_read_b32 v0, v7 offset:32
	v_cmp_ne_u32_e64 s[2:3], s2, v2
	v_mov_b32_e32 v1, 0xc00
	s_and_saveexec_b64 s[10:11], s[2:3]
	s_cbranch_execz .LBB38_108
; %bb.107:
	ds_read_b32 v1, v7 offset:68
.LBB38_108:
	s_or_b64 exec, exec, s[10:11]
	s_waitcnt lgkmcnt(0)
	v_sub_u32_e32 v7, v1, v0
	v_mov_b32_e32 v1, 0
.LBB38_109:
	s_or_b64 exec, exec, s[4:5]
	s_waitcnt lgkmcnt(5)
	v_add_u32_e32 v19, v5, v11
	s_waitcnt lgkmcnt(4)
	v_add3_u32 v18, v15, v13, v8
	s_waitcnt lgkmcnt(3)
	v_add3_u32 v17, v21, v17, v9
	;; [unrolled: 2-line block ×5, first 2 shown]
	s_barrier
	ds_write_b8 v19, v3 offset:2048
	ds_write_b8 v18, v12 offset:2048
	;; [unrolled: 1-line block ×6, first 2 shown]
	s_waitcnt lgkmcnt(0)
	s_barrier
	s_and_saveexec_b64 s[2:3], s[0:1]
	s_xor_b64 s[0:1], exec, s[2:3]
; %bb.110:
	v_mov_b32_e32 v3, 0
; %bb.111:
	s_andn2_saveexec_b64 s[2:3], s[0:1]
	s_cbranch_execz .LBB38_121
; %bb.112:
	v_lshl_or_b32 v8, s6, 8, v2
	v_mov_b32_e32 v9, 0
	v_lshlrev_b64 v[10:11], 2, v[8:9]
	v_mov_b32_e32 v3, s35
	v_add_co_u32_e64 v10, s[0:1], s34, v10
	v_addc_co_u32_e64 v11, s[0:1], v3, v11, s[0:1]
	v_or_b32_e32 v8, 2.0, v7
	s_mov_b64 s[4:5], 0
	s_brev_b32 s15, 1
	s_mov_b32 s16, s6
	v_mov_b32_e32 v16, 0
	global_store_dword v[10:11], v8, off
                                        ; implicit-def: $sgpr0_sgpr1
	s_branch .LBB38_115
.LBB38_113:                             ;   in Loop: Header=BB38_115 Depth=1
	s_or_b64 exec, exec, s[12:13]
.LBB38_114:                             ;   in Loop: Header=BB38_115 Depth=1
	s_or_b64 exec, exec, s[10:11]
	v_and_b32_e32 v12, 0x3fffffff, v20
	v_add_u32_e32 v16, v12, v16
	v_cmp_eq_u32_e64 s[0:1], s15, v8
	s_and_b64 s[10:11], exec, s[0:1]
	s_or_b64 s[4:5], s[10:11], s[4:5]
	s_andn2_b64 exec, exec, s[4:5]
	s_cbranch_execz .LBB38_120
.LBB38_115:                             ; =>This Loop Header: Depth=1
                                        ;     Child Loop BB38_118 Depth 2
	s_or_b64 s[0:1], s[0:1], exec
	s_cmp_eq_u32 s16, 0
	s_cbranch_scc1 .LBB38_119
; %bb.116:                              ;   in Loop: Header=BB38_115 Depth=1
	s_add_i32 s16, s16, -1
	v_lshl_or_b32 v8, s16, 8, v2
	v_lshlrev_b64 v[12:13], 2, v[8:9]
	v_add_co_u32_e64 v12, s[0:1], s34, v12
	v_addc_co_u32_e64 v13, s[0:1], v3, v13, s[0:1]
	global_load_dword v20, v[12:13], off glc
	s_waitcnt vmcnt(0)
	v_and_b32_e32 v8, -2.0, v20
	v_cmp_eq_u32_e64 s[0:1], 0, v8
	s_and_saveexec_b64 s[10:11], s[0:1]
	s_cbranch_execz .LBB38_114
; %bb.117:                              ;   in Loop: Header=BB38_115 Depth=1
	s_mov_b64 s[12:13], 0
.LBB38_118:                             ;   Parent Loop BB38_115 Depth=1
                                        ; =>  This Inner Loop Header: Depth=2
	global_load_dword v20, v[12:13], off glc
	s_waitcnt vmcnt(0)
	v_and_b32_e32 v8, -2.0, v20
	v_cmp_ne_u32_e64 s[0:1], 0, v8
	s_or_b64 s[12:13], s[0:1], s[12:13]
	s_andn2_b64 exec, exec, s[12:13]
	s_cbranch_execnz .LBB38_118
	s_branch .LBB38_113
.LBB38_119:                             ;   in Loop: Header=BB38_115 Depth=1
                                        ; implicit-def: $sgpr16
	s_and_b64 s[10:11], exec, s[0:1]
	s_or_b64 s[4:5], s[10:11], s[4:5]
	s_andn2_b64 exec, exec, s[4:5]
	s_cbranch_execnz .LBB38_115
.LBB38_120:
	s_or_b64 exec, exec, s[4:5]
	v_add_u32_e32 v3, v16, v7
	v_or_b32_e32 v3, 0x80000000, v3
	global_store_dword v[10:11], v3, off
	v_lshlrev_b32_e32 v10, 3, v2
	global_load_dwordx2 v[8:9], v10, s[44:45]
	v_sub_co_u32_e64 v11, s[0:1], v16, v0
	v_subb_co_u32_e64 v12, s[0:1], 0, v1, s[0:1]
	v_mov_b32_e32 v3, 0
	s_waitcnt vmcnt(0)
	v_add_co_u32_e64 v8, s[0:1], v11, v8
	v_addc_co_u32_e64 v9, s[0:1], v12, v9, s[0:1]
	ds_write_b64 v10, v[8:9]
.LBB38_121:
	s_or_b64 exec, exec, s[2:3]
	s_waitcnt lgkmcnt(0)
	s_barrier
	ds_read_u8 v16, v2 offset:4096
	ds_read_u8 v26, v2 offset:3072
	;; [unrolled: 1-line block ×5, first 2 shown]
	s_waitcnt lgkmcnt(4)
	v_lshrrev_b32_sdwa v8, s48, v16 dst_sel:DWORD dst_unused:UNUSED_PAD src0_sel:DWORD src1_sel:BYTE_0
	v_and_b32_e32 v8, s14, v8
	v_lshlrev_b32_e32 v30, 3, v8
	ds_read_b64 v[8:9], v30
	ds_read_u8 v12, v2 offset:2048
	s_waitcnt lgkmcnt(2)
	v_lshrrev_b32_sdwa v10, s48, v29 dst_sel:DWORD dst_unused:UNUSED_PAD src0_sel:DWORD src1_sel:BYTE_0
	v_and_b32_e32 v10, s14, v10
	v_lshlrev_b32_e32 v31, 3, v10
	ds_read_b64 v[10:11], v31
	s_waitcnt lgkmcnt(1)
	v_lshrrev_b32_sdwa v13, s48, v12 dst_sel:DWORD dst_unused:UNUSED_PAD src0_sel:DWORD src1_sel:BYTE_0
	v_xor_b32_e32 v32, 0x7f, v12
	v_lshrrev_b32_sdwa v12, s48, v28 dst_sel:DWORD dst_unused:UNUSED_PAD src0_sel:DWORD src1_sel:BYTE_0
	v_and_b32_e32 v12, s14, v12
	v_lshlrev_b32_e32 v35, 3, v12
	v_lshrrev_b32_sdwa v12, s48, v26 dst_sel:DWORD dst_unused:UNUSED_PAD src0_sel:DWORD src1_sel:BYTE_0
	v_and_b32_e32 v12, s14, v12
	v_and_b32_e32 v13, s14, v13
	v_lshlrev_b32_e32 v36, 3, v12
	v_lshrrev_b32_sdwa v12, s48, v27 dst_sel:DWORD dst_unused:UNUSED_PAD src0_sel:DWORD src1_sel:BYTE_0
	v_lshlrev_b32_e32 v33, 3, v13
	v_and_b32_e32 v12, s14, v12
	v_lshlrev_b32_e32 v37, 3, v12
	ds_read_b64 v[12:13], v33
	ds_read_b64 v[20:21], v35
	;; [unrolled: 1-line block ×4, first 2 shown]
	v_mov_b32_e32 v34, s39
	s_waitcnt lgkmcnt(3)
	v_add_co_u32_e64 v12, s[0:1], s38, v12
	v_addc_co_u32_e64 v13, s[0:1], v34, v13, s[0:1]
	v_add_co_u32_e64 v12, s[0:1], v12, v2
	v_addc_co_u32_e64 v13, s[0:1], v13, v3, s[0:1]
	global_store_byte v[12:13], v32, off
	v_mov_b32_e32 v12, s39
	s_waitcnt lgkmcnt(2)
	v_add_co_u32_e64 v13, s[0:1], s38, v20
	v_addc_co_u32_e64 v20, s[0:1], v12, v21, s[0:1]
	v_add_co_u32_e64 v12, s[0:1], v13, v2
	v_xor_b32_e32 v28, 0x7f, v28
	v_addc_co_u32_e64 v13, s[0:1], v20, v3, s[0:1]
	global_store_byte v[12:13], v28, off offset:512
	v_mov_b32_e32 v12, s39
	s_waitcnt lgkmcnt(1)
	v_add_co_u32_e64 v13, s[0:1], s38, v22
	v_addc_co_u32_e64 v21, s[0:1], v12, v23, s[0:1]
	v_add_co_u32_e64 v12, s[0:1], v13, v2
	v_xor_b32_e32 v20, 0x7f, v26
	v_addc_co_u32_e64 v13, s[0:1], v21, v3, s[0:1]
	global_store_byte v[12:13], v20, off offset:1024
	;; [unrolled: 8-line block ×3, first 2 shown]
	v_mov_b32_e32 v13, s39
	v_add_co_u32_e64 v8, s[0:1], s38, v8
	v_addc_co_u32_e64 v9, s[0:1], v13, v9, s[0:1]
	v_add_co_u32_e64 v8, s[0:1], v8, v2
	v_xor_b32_e32 v12, 0x7f, v16
	v_addc_co_u32_e64 v9, s[0:1], v9, v3, s[0:1]
	global_store_byte v[8:9], v12, off offset:2048
	v_mov_b32_e32 v8, s39
	v_add_co_u32_e64 v9, s[0:1], s38, v10
	v_addc_co_u32_e64 v10, s[0:1], v8, v11, s[0:1]
	v_add_co_u32_e64 v8, s[0:1], v9, v2
	v_addc_co_u32_e64 v9, s[0:1], v10, v3, s[0:1]
	s_lshl_b64 s[0:1], s[30:31], 3
	s_add_u32 s0, s40, s0
	v_xor_b32_e32 v12, 0x7f, v29
	s_addc_u32 s1, s41, s1
	v_lshlrev_b32_e32 v6, 3, v6
	global_store_byte v[8:9], v12, off offset:2560
	v_mov_b32_e32 v8, s1
	v_add_co_u32_e64 v6, s[0:1], s0, v6
	v_addc_co_u32_e64 v9, s[0:1], 0, v8, s[0:1]
	v_lshlrev_b32_e32 v4, 3, v4
	v_add_co_u32_e64 v8, s[0:1], v6, v4
	v_addc_co_u32_e64 v9, s[0:1], 0, v9, s[0:1]
	global_load_dwordx2 v[10:11], v[8:9], off
	global_load_dwordx2 v[12:13], v[8:9], off offset:512
	global_load_dwordx2 v[20:21], v[8:9], off offset:1024
	;; [unrolled: 1-line block ×5, first 2 shown]
	v_lshlrev_b32_e32 v4, 3, v19
	s_barrier
	v_mov_b32_e32 v9, s43
	v_lshlrev_b32_e32 v8, 3, v2
	v_or_b32_e32 v6, 0x800, v2
	v_mad_u32_u24 v6, v2, 7, v6
	v_lshlrev_b32_e32 v28, 3, v2
	s_add_i32 s7, s7, -1
	s_cmp_eq_u32 s6, s7
	s_waitcnt vmcnt(5)
	ds_write_b64 v4, v[10:11] offset:2048
	v_lshlrev_b32_e32 v4, 3, v18
	s_waitcnt vmcnt(4)
	ds_write_b64 v4, v[12:13] offset:2048
	v_lshlrev_b32_e32 v4, 3, v17
	;; [unrolled: 3-line block ×5, first 2 shown]
	s_waitcnt vmcnt(0)
	ds_write_b64 v4, v[26:27] offset:2048
	s_waitcnt lgkmcnt(0)
	s_barrier
	ds_read_b64 v[4:5], v33
	ds_read_b64 v[12:13], v35
	;; [unrolled: 1-line block ×4, first 2 shown]
	s_waitcnt lgkmcnt(3)
	v_lshlrev_b64 v[4:5], 3, v[4:5]
	v_add_co_u32_e64 v10, s[0:1], s42, v4
	v_addc_co_u32_e64 v9, s[0:1], v9, v5, s[0:1]
	v_lshlrev_b64 v[4:5], 3, v[2:3]
	v_add_co_u32_e64 v4, s[0:1], v10, v4
	v_addc_co_u32_e64 v5, s[0:1], v9, v5, s[0:1]
	ds_read_b64 v[8:9], v8 offset:2048
	ds_read_b64 v[18:19], v30
	ds_read_b64 v[20:21], v6 offset:20480
	ds_read_b64 v[22:23], v31
	s_waitcnt lgkmcnt(3)
	global_store_dwordx2 v[4:5], v[8:9], off
	ds_read2st64_b64 v[8:11], v6 offset0:8 offset1:16
	v_lshlrev_b64 v[4:5], 3, v[12:13]
	v_mov_b32_e32 v12, s43
	v_add_co_u32_e64 v4, s[0:1], s42, v4
	v_addc_co_u32_e64 v5, s[0:1], v12, v5, s[0:1]
	v_add_u32_e32 v12, 0x1000, v28
	v_add_co_u32_e64 v4, s[0:1], v4, v12
	v_addc_co_u32_e64 v5, s[0:1], 0, v5, s[0:1]
	s_waitcnt lgkmcnt(0)
	global_store_dwordx2 v[4:5], v[8:9], off
	v_lshlrev_b64 v[4:5], 3, v[14:15]
	v_mov_b32_e32 v8, s43
	v_add_co_u32_e64 v4, s[0:1], s42, v4
	v_addc_co_u32_e64 v5, s[0:1], v8, v5, s[0:1]
	v_or_b32_e32 v8, 0x2000, v28
	v_add_co_u32_e64 v4, s[0:1], v4, v8
	v_addc_co_u32_e64 v5, s[0:1], 0, v5, s[0:1]
	global_store_dwordx2 v[4:5], v[10:11], off
	ds_read2st64_b64 v[8:11], v6 offset0:24 offset1:32
	v_lshlrev_b64 v[4:5], 3, v[16:17]
	v_mov_b32_e32 v6, s43
	v_add_co_u32_e64 v4, s[0:1], s42, v4
	v_addc_co_u32_e64 v5, s[0:1], v6, v5, s[0:1]
	v_add_u32_e32 v6, 0x3000, v28
	v_add_co_u32_e64 v4, s[0:1], v4, v6
	v_addc_co_u32_e64 v5, s[0:1], 0, v5, s[0:1]
	s_waitcnt lgkmcnt(0)
	global_store_dwordx2 v[4:5], v[8:9], off
	v_lshlrev_b64 v[4:5], 3, v[18:19]
	v_mov_b32_e32 v6, s43
	v_add_co_u32_e64 v4, s[0:1], s42, v4
	v_addc_co_u32_e64 v5, s[0:1], v6, v5, s[0:1]
	v_or_b32_e32 v6, 0x4000, v28
	v_add_co_u32_e64 v4, s[0:1], v4, v6
	v_addc_co_u32_e64 v5, s[0:1], 0, v5, s[0:1]
	global_store_dwordx2 v[4:5], v[10:11], off
	v_lshlrev_b64 v[4:5], 3, v[22:23]
	v_mov_b32_e32 v6, s43
	v_add_co_u32_e64 v4, s[0:1], s42, v4
	v_addc_co_u32_e64 v5, s[0:1], v6, v5, s[0:1]
	v_add_u32_e32 v6, 0x5000, v28
	v_add_co_u32_e64 v4, s[0:1], v4, v6
	v_addc_co_u32_e64 v5, s[0:1], 0, v5, s[0:1]
	s_cselect_b64 s[0:1], -1, 0
	s_and_b64 s[2:3], vcc, s[0:1]
	global_store_dwordx2 v[4:5], v[20:21], off
                                        ; implicit-def: $vgpr4_vgpr5
	s_and_saveexec_b64 s[0:1], s[2:3]
; %bb.122:
	v_add_co_u32_e32 v4, vcc, v0, v7
	v_addc_co_u32_e32 v5, vcc, 0, v1, vcc
	s_or_b64 s[8:9], s[8:9], exec
; %bb.123:
	s_or_b64 exec, exec, s[0:1]
.LBB38_124:
	s_and_saveexec_b64 s[0:1], s[8:9]
	s_cbranch_execnz .LBB38_126
; %bb.125:
	s_endpgm
.LBB38_126:
	v_lshlrev_b32_e32 v6, 3, v2
	v_lshlrev_b64 v[0:1], 3, v[2:3]
	ds_read_b64 v[2:3], v6
	v_mov_b32_e32 v7, s47
	v_add_co_u32_e32 v0, vcc, s46, v0
	v_addc_co_u32_e32 v1, vcc, v7, v1, vcc
	s_waitcnt lgkmcnt(0)
	v_add_co_u32_e32 v2, vcc, v2, v4
	v_addc_co_u32_e32 v3, vcc, v3, v5, vcc
	global_store_dwordx2 v[0:1], v[2:3], off
	s_endpgm
.LBB38_127:
	global_load_dwordx2 v[4:5], v[18:19], off
	s_or_b64 exec, exec, s[28:29]
                                        ; implicit-def: $vgpr6_vgpr7
	s_and_saveexec_b64 s[28:29], s[0:1]
	s_cbranch_execz .LBB38_59
.LBB38_128:
	global_load_dwordx2 v[6:7], v[18:19], off offset:512
	s_or_b64 exec, exec, s[28:29]
                                        ; implicit-def: $vgpr10_vgpr11
	s_and_saveexec_b64 s[0:1], s[2:3]
	s_cbranch_execz .LBB38_60
.LBB38_129:
	global_load_dwordx2 v[10:11], v[18:19], off offset:1024
	s_or_b64 exec, exec, s[0:1]
                                        ; implicit-def: $vgpr12_vgpr13
	s_and_saveexec_b64 s[0:1], s[26:27]
	s_cbranch_execz .LBB38_61
.LBB38_130:
	global_load_dwordx2 v[12:13], v[18:19], off offset:1536
	s_or_b64 exec, exec, s[0:1]
                                        ; implicit-def: $vgpr14_vgpr15
	s_and_saveexec_b64 s[0:1], s[8:9]
	s_cbranch_execz .LBB38_62
.LBB38_131:
	global_load_dwordx2 v[14:15], v[18:19], off offset:2048
	s_or_b64 exec, exec, s[0:1]
                                        ; implicit-def: $vgpr16_vgpr17
	s_and_saveexec_b64 s[0:1], s[10:11]
	s_cbranch_execnz .LBB38_63
	s_branch .LBB38_64
.LBB38_132:
	v_lshlrev_b32_e32 v4, 3, v34
	ds_read_b64 v[4:5], v4
	ds_read_b64 v[6:7], v3 offset:2048
	v_mov_b32_e32 v10, s43
	s_waitcnt lgkmcnt(1)
	v_lshlrev_b64 v[4:5], 3, v[4:5]
	v_add_co_u32_e32 v4, vcc, s42, v4
	v_addc_co_u32_e32 v5, vcc, v10, v5, vcc
	v_add_co_u32_e32 v4, vcc, v4, v3
	v_addc_co_u32_e32 v5, vcc, 0, v5, vcc
	s_waitcnt lgkmcnt(0)
	global_store_dwordx2 v[4:5], v[6:7], off
	s_or_b64 exec, exec, s[0:1]
	s_and_saveexec_b64 s[0:1], s[16:17]
	s_cbranch_execz .LBB38_78
.LBB38_133:
	v_lshlrev_b32_e32 v4, 3, v32
	ds_read_b64 v[4:5], v4
	ds_read_b64 v[6:7], v3 offset:6144
	v_mov_b32_e32 v10, s43
	s_waitcnt lgkmcnt(1)
	v_lshlrev_b64 v[4:5], 3, v[4:5]
	v_add_co_u32_e32 v4, vcc, s42, v4
	v_addc_co_u32_e32 v5, vcc, v10, v5, vcc
	v_lshlrev_b32_e32 v10, 3, v21
	v_add_co_u32_e32 v4, vcc, v4, v10
	v_addc_co_u32_e32 v5, vcc, 0, v5, vcc
	s_waitcnt lgkmcnt(0)
	global_store_dwordx2 v[4:5], v[6:7], off
	s_or_b64 exec, exec, s[0:1]
	s_and_saveexec_b64 s[0:1], s[18:19]
	s_cbranch_execz .LBB38_79
.LBB38_134:
	v_lshlrev_b32_e32 v4, 3, v33
	ds_read_b64 v[4:5], v4
	ds_read_b64 v[6:7], v3 offset:10240
	v_mov_b32_e32 v10, s43
	s_waitcnt lgkmcnt(1)
	v_lshlrev_b64 v[4:5], 3, v[4:5]
	v_add_co_u32_e32 v4, vcc, s42, v4
	v_addc_co_u32_e32 v5, vcc, v10, v5, vcc
	v_lshlrev_b32_e32 v10, 3, v25
	v_add_co_u32_e32 v4, vcc, v4, v10
	v_addc_co_u32_e32 v5, vcc, 0, v5, vcc
	s_waitcnt lgkmcnt(0)
	global_store_dwordx2 v[4:5], v[6:7], off
	s_or_b64 exec, exec, s[0:1]
	s_and_saveexec_b64 s[0:1], s[20:21]
	s_cbranch_execz .LBB38_80
.LBB38_135:
	v_lshlrev_b32_e32 v4, 3, v19
	ds_read_b64 v[4:5], v4
	ds_read_b64 v[6:7], v3 offset:14336
	v_mov_b32_e32 v10, s43
	s_waitcnt lgkmcnt(1)
	v_lshlrev_b64 v[4:5], 3, v[4:5]
	v_add_co_u32_e32 v4, vcc, s42, v4
	v_addc_co_u32_e32 v5, vcc, v10, v5, vcc
	v_lshlrev_b32_e32 v10, 3, v26
	v_add_co_u32_e32 v4, vcc, v4, v10
	v_addc_co_u32_e32 v5, vcc, 0, v5, vcc
	s_waitcnt lgkmcnt(0)
	global_store_dwordx2 v[4:5], v[6:7], off
	s_or_b64 exec, exec, s[0:1]
	s_and_saveexec_b64 s[0:1], s[22:23]
	s_cbranch_execz .LBB38_81
.LBB38_136:
	v_lshlrev_b32_e32 v4, 3, v31
	ds_read_b64 v[4:5], v4
	ds_read_b64 v[6:7], v3 offset:18432
	v_mov_b32_e32 v10, s43
	s_waitcnt lgkmcnt(1)
	v_lshlrev_b64 v[4:5], 3, v[4:5]
	v_add_co_u32_e32 v4, vcc, s42, v4
	v_addc_co_u32_e32 v5, vcc, v10, v5, vcc
	v_lshlrev_b32_e32 v10, 3, v29
	v_add_co_u32_e32 v4, vcc, v4, v10
	v_addc_co_u32_e32 v5, vcc, 0, v5, vcc
	s_waitcnt lgkmcnt(0)
	global_store_dwordx2 v[4:5], v[6:7], off
	s_or_b64 exec, exec, s[0:1]
	s_and_saveexec_b64 s[0:1], s[24:25]
	s_cbranch_execnz .LBB38_82
	s_branch .LBB38_83
	.section	.rodata,"a",@progbits
	.p2align	6, 0x0
	.amdhsa_kernel _ZN7rocprim17ROCPRIM_304000_NS6detail25onesweep_iteration_kernelINS1_34wrapped_radix_sort_onesweep_configINS0_14default_configEaN2at4cuda3cub6detail10OpaqueTypeILi8EEEEELb1EPKaPaPKSA_PSA_mNS0_19identity_decomposerEEEvT1_T2_T3_T4_jPT5_SO_PNS1_23onesweep_lookback_stateET6_jjj
		.amdhsa_group_segment_fixed_size 26624
		.amdhsa_private_segment_fixed_size 0
		.amdhsa_kernarg_size 336
		.amdhsa_user_sgpr_count 6
		.amdhsa_user_sgpr_private_segment_buffer 1
		.amdhsa_user_sgpr_dispatch_ptr 0
		.amdhsa_user_sgpr_queue_ptr 0
		.amdhsa_user_sgpr_kernarg_segment_ptr 1
		.amdhsa_user_sgpr_dispatch_id 0
		.amdhsa_user_sgpr_flat_scratch_init 0
		.amdhsa_user_sgpr_kernarg_preload_length 0
		.amdhsa_user_sgpr_kernarg_preload_offset 0
		.amdhsa_user_sgpr_private_segment_size 0
		.amdhsa_uses_dynamic_stack 0
		.amdhsa_system_sgpr_private_segment_wavefront_offset 0
		.amdhsa_system_sgpr_workgroup_id_x 1
		.amdhsa_system_sgpr_workgroup_id_y 0
		.amdhsa_system_sgpr_workgroup_id_z 0
		.amdhsa_system_sgpr_workgroup_info 0
		.amdhsa_system_vgpr_workitem_id 2
		.amdhsa_next_free_vgpr 40
		.amdhsa_next_free_sgpr 53
		.amdhsa_accum_offset 40
		.amdhsa_reserve_vcc 1
		.amdhsa_reserve_flat_scratch 0
		.amdhsa_float_round_mode_32 0
		.amdhsa_float_round_mode_16_64 0
		.amdhsa_float_denorm_mode_32 3
		.amdhsa_float_denorm_mode_16_64 3
		.amdhsa_dx10_clamp 1
		.amdhsa_ieee_mode 1
		.amdhsa_fp16_overflow 0
		.amdhsa_tg_split 0
		.amdhsa_exception_fp_ieee_invalid_op 0
		.amdhsa_exception_fp_denorm_src 0
		.amdhsa_exception_fp_ieee_div_zero 0
		.amdhsa_exception_fp_ieee_overflow 0
		.amdhsa_exception_fp_ieee_underflow 0
		.amdhsa_exception_fp_ieee_inexact 0
		.amdhsa_exception_int_div_zero 0
	.end_amdhsa_kernel
	.section	.text._ZN7rocprim17ROCPRIM_304000_NS6detail25onesweep_iteration_kernelINS1_34wrapped_radix_sort_onesweep_configINS0_14default_configEaN2at4cuda3cub6detail10OpaqueTypeILi8EEEEELb1EPKaPaPKSA_PSA_mNS0_19identity_decomposerEEEvT1_T2_T3_T4_jPT5_SO_PNS1_23onesweep_lookback_stateET6_jjj,"axG",@progbits,_ZN7rocprim17ROCPRIM_304000_NS6detail25onesweep_iteration_kernelINS1_34wrapped_radix_sort_onesweep_configINS0_14default_configEaN2at4cuda3cub6detail10OpaqueTypeILi8EEEEELb1EPKaPaPKSA_PSA_mNS0_19identity_decomposerEEEvT1_T2_T3_T4_jPT5_SO_PNS1_23onesweep_lookback_stateET6_jjj,comdat
.Lfunc_end38:
	.size	_ZN7rocprim17ROCPRIM_304000_NS6detail25onesweep_iteration_kernelINS1_34wrapped_radix_sort_onesweep_configINS0_14default_configEaN2at4cuda3cub6detail10OpaqueTypeILi8EEEEELb1EPKaPaPKSA_PSA_mNS0_19identity_decomposerEEEvT1_T2_T3_T4_jPT5_SO_PNS1_23onesweep_lookback_stateET6_jjj, .Lfunc_end38-_ZN7rocprim17ROCPRIM_304000_NS6detail25onesweep_iteration_kernelINS1_34wrapped_radix_sort_onesweep_configINS0_14default_configEaN2at4cuda3cub6detail10OpaqueTypeILi8EEEEELb1EPKaPaPKSA_PSA_mNS0_19identity_decomposerEEEvT1_T2_T3_T4_jPT5_SO_PNS1_23onesweep_lookback_stateET6_jjj
                                        ; -- End function
	.section	.AMDGPU.csdata,"",@progbits
; Kernel info:
; codeLenInByte = 11244
; NumSgprs: 57
; NumVgprs: 40
; NumAgprs: 0
; TotalNumVgprs: 40
; ScratchSize: 0
; MemoryBound: 0
; FloatMode: 240
; IeeeMode: 1
; LDSByteSize: 26624 bytes/workgroup (compile time only)
; SGPRBlocks: 7
; VGPRBlocks: 4
; NumSGPRsForWavesPerEU: 57
; NumVGPRsForWavesPerEU: 40
; AccumOffset: 40
; Occupancy: 4
; WaveLimiterHint : 1
; COMPUTE_PGM_RSRC2:SCRATCH_EN: 0
; COMPUTE_PGM_RSRC2:USER_SGPR: 6
; COMPUTE_PGM_RSRC2:TRAP_HANDLER: 0
; COMPUTE_PGM_RSRC2:TGID_X_EN: 1
; COMPUTE_PGM_RSRC2:TGID_Y_EN: 0
; COMPUTE_PGM_RSRC2:TGID_Z_EN: 0
; COMPUTE_PGM_RSRC2:TIDIG_COMP_CNT: 2
; COMPUTE_PGM_RSRC3_GFX90A:ACCUM_OFFSET: 9
; COMPUTE_PGM_RSRC3_GFX90A:TG_SPLIT: 0
	.section	.text._ZN7rocprim17ROCPRIM_304000_NS6detail25onesweep_iteration_kernelINS1_34wrapped_radix_sort_onesweep_configINS0_14default_configEaN2at4cuda3cub6detail10OpaqueTypeILi8EEEEELb1EPaSC_PSA_SD_mNS0_19identity_decomposerEEEvT1_T2_T3_T4_jPT5_SK_PNS1_23onesweep_lookback_stateET6_jjj,"axG",@progbits,_ZN7rocprim17ROCPRIM_304000_NS6detail25onesweep_iteration_kernelINS1_34wrapped_radix_sort_onesweep_configINS0_14default_configEaN2at4cuda3cub6detail10OpaqueTypeILi8EEEEELb1EPaSC_PSA_SD_mNS0_19identity_decomposerEEEvT1_T2_T3_T4_jPT5_SK_PNS1_23onesweep_lookback_stateET6_jjj,comdat
	.protected	_ZN7rocprim17ROCPRIM_304000_NS6detail25onesweep_iteration_kernelINS1_34wrapped_radix_sort_onesweep_configINS0_14default_configEaN2at4cuda3cub6detail10OpaqueTypeILi8EEEEELb1EPaSC_PSA_SD_mNS0_19identity_decomposerEEEvT1_T2_T3_T4_jPT5_SK_PNS1_23onesweep_lookback_stateET6_jjj ; -- Begin function _ZN7rocprim17ROCPRIM_304000_NS6detail25onesweep_iteration_kernelINS1_34wrapped_radix_sort_onesweep_configINS0_14default_configEaN2at4cuda3cub6detail10OpaqueTypeILi8EEEEELb1EPaSC_PSA_SD_mNS0_19identity_decomposerEEEvT1_T2_T3_T4_jPT5_SK_PNS1_23onesweep_lookback_stateET6_jjj
	.globl	_ZN7rocprim17ROCPRIM_304000_NS6detail25onesweep_iteration_kernelINS1_34wrapped_radix_sort_onesweep_configINS0_14default_configEaN2at4cuda3cub6detail10OpaqueTypeILi8EEEEELb1EPaSC_PSA_SD_mNS0_19identity_decomposerEEEvT1_T2_T3_T4_jPT5_SK_PNS1_23onesweep_lookback_stateET6_jjj
	.p2align	8
	.type	_ZN7rocprim17ROCPRIM_304000_NS6detail25onesweep_iteration_kernelINS1_34wrapped_radix_sort_onesweep_configINS0_14default_configEaN2at4cuda3cub6detail10OpaqueTypeILi8EEEEELb1EPaSC_PSA_SD_mNS0_19identity_decomposerEEEvT1_T2_T3_T4_jPT5_SK_PNS1_23onesweep_lookback_stateET6_jjj,@function
_ZN7rocprim17ROCPRIM_304000_NS6detail25onesweep_iteration_kernelINS1_34wrapped_radix_sort_onesweep_configINS0_14default_configEaN2at4cuda3cub6detail10OpaqueTypeILi8EEEEELb1EPaSC_PSA_SD_mNS0_19identity_decomposerEEEvT1_T2_T3_T4_jPT5_SK_PNS1_23onesweep_lookback_stateET6_jjj: ; @_ZN7rocprim17ROCPRIM_304000_NS6detail25onesweep_iteration_kernelINS1_34wrapped_radix_sort_onesweep_configINS0_14default_configEaN2at4cuda3cub6detail10OpaqueTypeILi8EEEEELb1EPaSC_PSA_SD_mNS0_19identity_decomposerEEEvT1_T2_T3_T4_jPT5_SK_PNS1_23onesweep_lookback_stateET6_jjj
; %bb.0:
	s_load_dwordx4 s[48:51], s[4:5], 0x44
	s_load_dwordx8 s[36:43], s[4:5], 0x0
	s_load_dwordx4 s[44:47], s[4:5], 0x28
	s_load_dwordx2 s[34:35], s[4:5], 0x38
	s_mul_i32 s30, s6, 0xc00
	s_waitcnt lgkmcnt(0)
	s_cmp_ge_u32 s6, s50
	v_mbcnt_lo_u32_b32 v1, -1, 0
	s_cbranch_scc0 .LBB39_86
; %bb.1:
	s_load_dword s0, s[4:5], 0x20
	s_mul_i32 s33, s50, 0xfffff400
	v_and_b32_e32 v2, 0x3ff, v0
	v_mbcnt_hi_u32_b32 v6, -1, v1
	v_and_b32_e32 v3, 0x1c0, v2
	s_waitcnt lgkmcnt(0)
	s_add_i32 s33, s33, s0
	s_add_u32 s0, s36, s30
	s_addc_u32 s1, s37, 0
	v_mov_b32_e32 v5, s1
	v_add_co_u32_e32 v7, vcc, s0, v6
	v_mul_u32_u24_e32 v4, 6, v3
	v_addc_co_u32_e32 v5, vcc, 0, v5, vcc
	v_add_co_u32_e32 v8, vcc, v7, v4
	v_addc_co_u32_e32 v9, vcc, 0, v5, vcc
	v_or_b32_e32 v7, v6, v4
	s_mov_b32 s31, 0
	v_cmp_gt_u32_e32 vcc, s33, v7
	v_mov_b32_e32 v5, 0x80
	v_mov_b32_e32 v12, 0x80
	;; [unrolled: 1-line block ×6, first 2 shown]
	s_and_saveexec_b64 s[0:1], vcc
	s_cbranch_execz .LBB39_3
; %bb.2:
	global_load_ubyte v5, v[8:9], off
	v_mov_b32_e32 v14, 0x80
	v_mov_b32_e32 v21, 0x80
	;; [unrolled: 1-line block ×5, first 2 shown]
.LBB39_3:
	s_or_b64 exec, exec, s[0:1]
	v_add_u32_e32 v10, 64, v7
	v_cmp_gt_u32_e64 s[0:1], s33, v10
	s_and_saveexec_b64 s[2:3], s[0:1]
	s_cbranch_execz .LBB39_5
; %bb.4:
	global_load_ubyte v14, v[8:9], off offset:64
.LBB39_5:
	s_or_b64 exec, exec, s[2:3]
	v_add_u32_e32 v10, 0x80, v7
	v_cmp_gt_u32_e64 s[2:3], s33, v10
	s_and_saveexec_b64 s[8:9], s[2:3]
	s_cbranch_execz .LBB39_7
; %bb.6:
	global_load_ubyte v21, v[8:9], off offset:128
.LBB39_7:
	;; [unrolled: 8-line block ×5, first 2 shown]
	s_or_b64 exec, exec, s[12:13]
	s_load_dword s12, s[4:5], 0x5c
	s_load_dword s7, s[4:5], 0x50
	s_add_u32 s13, s4, 0x50
	s_addc_u32 s14, s5, 0
	v_mov_b32_e32 v8, 0
	s_waitcnt lgkmcnt(0)
	s_lshr_b32 s15, s12, 16
	s_cmp_lt_u32 s6, s7
	s_cselect_b32 s12, 12, 18
	s_add_u32 s12, s13, s12
	s_addc_u32 s13, s14, 0
	global_load_ushort v10, v8, s[12:13]
	s_waitcnt vmcnt(1)
	v_xor_b32_e32 v5, 0x7f, v5
	s_lshl_b32 s12, -1, s49
	v_lshrrev_b32_sdwa v13, s48, v5 dst_sel:DWORD dst_unused:UNUSED_PAD src0_sel:DWORD src1_sel:BYTE_0
	s_not_b32 s52, s12
	v_and_b32_e32 v13, s52, v13
	v_and_b32_e32 v17, 1, v13
	v_bfe_u32 v9, v0, 10, 10
	v_bfe_u32 v11, v0, 20, 10
	v_add_co_u32_e64 v18, s[12:13], -1, v17
	v_mad_u32_u24 v11, v11, s15, v9
	v_lshlrev_b32_e32 v9, 30, v13
	v_addc_co_u32_e64 v19, s[12:13], 0, -1, s[12:13]
	v_cmp_ne_u32_e64 s[12:13], 0, v17
	v_cmp_gt_i64_e64 s[14:15], 0, v[8:9]
	v_not_b32_e32 v17, v9
	v_lshlrev_b32_e32 v9, 29, v13
	v_xor_b32_e32 v19, s13, v19
	v_xor_b32_e32 v18, s12, v18
	v_ashrrev_i32_e32 v17, 31, v17
	v_cmp_gt_i64_e64 s[12:13], 0, v[8:9]
	v_not_b32_e32 v22, v9
	v_lshlrev_b32_e32 v9, 28, v13
	v_and_b32_e32 v19, exec_hi, v19
	v_and_b32_e32 v18, exec_lo, v18
	v_xor_b32_e32 v23, s15, v17
	v_xor_b32_e32 v17, s14, v17
	v_ashrrev_i32_e32 v22, 31, v22
	v_cmp_gt_i64_e64 s[14:15], 0, v[8:9]
	v_not_b32_e32 v24, v9
	v_lshlrev_b32_e32 v9, 27, v13
	v_and_b32_e32 v19, v19, v23
	v_and_b32_e32 v17, v18, v17
	v_xor_b32_e32 v18, s13, v22
	v_xor_b32_e32 v22, s12, v22
	v_ashrrev_i32_e32 v23, 31, v24
	v_cmp_gt_i64_e64 s[12:13], 0, v[8:9]
	v_not_b32_e32 v24, v9
	v_lshlrev_b32_e32 v9, 26, v13
	v_and_b32_e32 v18, v19, v18
	v_and_b32_e32 v17, v17, v22
	;; [unrolled: 8-line block ×3, first 2 shown]
	v_xor_b32_e32 v19, s13, v23
	v_xor_b32_e32 v22, s12, v23
	v_ashrrev_i32_e32 v23, 31, v24
	v_cmp_gt_i64_e64 s[12:13], 0, v[8:9]
	v_not_b32_e32 v24, v9
	v_lshlrev_b32_e32 v9, 24, v13
	v_mul_u32_u24_e32 v15, 9, v13
	v_and_b32_e32 v13, v18, v19
	v_and_b32_e32 v17, v17, v22
	v_xor_b32_e32 v18, s15, v23
	v_xor_b32_e32 v19, s14, v23
	v_ashrrev_i32_e32 v22, 31, v24
	v_cmp_gt_i64_e64 s[14:15], 0, v[8:9]
	v_not_b32_e32 v9, v9
	v_and_b32_e32 v13, v13, v18
	v_and_b32_e32 v17, v17, v19
	v_xor_b32_e32 v18, s13, v22
	v_xor_b32_e32 v19, s12, v22
	v_ashrrev_i32_e32 v9, 31, v9
	v_and_b32_e32 v13, v13, v18
	v_and_b32_e32 v18, v17, v19
	v_mul_u32_u24_e32 v7, 5, v2
	v_lshlrev_b32_e32 v7, 2, v7
	ds_write2_b32 v7, v8, v8 offset0:8 offset1:9
	ds_write2_b32 v7, v8, v8 offset0:10 offset1:11
	ds_write_b32 v7, v8 offset:48
	s_waitcnt lgkmcnt(0)
	s_barrier
	s_waitcnt lgkmcnt(0)
	; wave barrier
	s_waitcnt vmcnt(0)
	v_mad_u64_u32 v[10:11], s[12:13], v11, v10, v[2:3]
	v_lshrrev_b32_e32 v27, 6, v10
	v_xor_b32_e32 v10, s15, v9
	v_xor_b32_e32 v9, s14, v9
	v_and_b32_e32 v11, v13, v10
	v_and_b32_e32 v10, v18, v9
	v_mbcnt_lo_u32_b32 v9, v10, 0
	v_mbcnt_hi_u32_b32 v13, v11, v9
	v_cmp_eq_u32_e64 s[12:13], 0, v13
	v_cmp_ne_u64_e64 s[14:15], 0, v[10:11]
	v_add_lshl_u32 v17, v27, v15, 2
	s_and_b64 s[14:15], s[14:15], s[12:13]
	s_and_saveexec_b64 s[12:13], s[14:15]
	s_cbranch_execz .LBB39_15
; %bb.14:
	v_bcnt_u32_b32 v9, v10, 0
	v_bcnt_u32_b32 v9, v11, v9
	ds_write_b32 v17, v9 offset:32
.LBB39_15:
	s_or_b64 exec, exec, s[12:13]
	v_xor_b32_e32 v14, 0x7f, v14
	v_lshrrev_b32_sdwa v9, s48, v14 dst_sel:DWORD dst_unused:UNUSED_PAD src0_sel:DWORD src1_sel:BYTE_0
	v_and_b32_e32 v10, s52, v9
	v_mul_u32_u24_e32 v9, 9, v10
	v_add_lshl_u32 v18, v27, v9, 2
	v_and_b32_e32 v9, 1, v10
	v_add_co_u32_e64 v11, s[12:13], -1, v9
	v_addc_co_u32_e64 v19, s[12:13], 0, -1, s[12:13]
	v_cmp_ne_u32_e64 s[12:13], 0, v9
	v_xor_b32_e32 v9, s13, v19
	v_and_b32_e32 v19, exec_hi, v9
	v_lshlrev_b32_e32 v9, 30, v10
	v_xor_b32_e32 v11, s12, v11
	v_cmp_gt_i64_e64 s[12:13], 0, v[8:9]
	v_not_b32_e32 v9, v9
	v_ashrrev_i32_e32 v9, 31, v9
	v_and_b32_e32 v11, exec_lo, v11
	v_xor_b32_e32 v22, s13, v9
	v_xor_b32_e32 v9, s12, v9
	v_and_b32_e32 v11, v11, v9
	v_lshlrev_b32_e32 v9, 29, v10
	v_cmp_gt_i64_e64 s[12:13], 0, v[8:9]
	v_not_b32_e32 v9, v9
	v_ashrrev_i32_e32 v9, 31, v9
	v_and_b32_e32 v19, v19, v22
	v_xor_b32_e32 v22, s13, v9
	v_xor_b32_e32 v9, s12, v9
	v_and_b32_e32 v11, v11, v9
	v_lshlrev_b32_e32 v9, 28, v10
	v_cmp_gt_i64_e64 s[12:13], 0, v[8:9]
	v_not_b32_e32 v9, v9
	v_ashrrev_i32_e32 v9, 31, v9
	v_and_b32_e32 v19, v19, v22
	;; [unrolled: 8-line block ×5, first 2 shown]
	v_xor_b32_e32 v22, s13, v9
	v_xor_b32_e32 v9, s12, v9
	v_and_b32_e32 v11, v11, v9
	v_lshlrev_b32_e32 v9, 24, v10
	v_cmp_gt_i64_e64 s[12:13], 0, v[8:9]
	v_not_b32_e32 v8, v9
	v_ashrrev_i32_e32 v8, 31, v8
	v_xor_b32_e32 v9, s13, v8
	v_xor_b32_e32 v8, s12, v8
	; wave barrier
	ds_read_b32 v15, v18 offset:32
	v_and_b32_e32 v19, v19, v22
	v_and_b32_e32 v8, v11, v8
	;; [unrolled: 1-line block ×3, first 2 shown]
	v_mbcnt_lo_u32_b32 v10, v8, 0
	v_mbcnt_hi_u32_b32 v19, v9, v10
	v_cmp_eq_u32_e64 s[12:13], 0, v19
	v_cmp_ne_u64_e64 s[14:15], 0, v[8:9]
	s_and_b64 s[14:15], s[14:15], s[12:13]
	; wave barrier
	s_and_saveexec_b64 s[12:13], s[14:15]
	s_cbranch_execz .LBB39_17
; %bb.16:
	v_bcnt_u32_b32 v8, v8, 0
	v_bcnt_u32_b32 v8, v9, v8
	s_waitcnt lgkmcnt(0)
	v_add_u32_e32 v8, v15, v8
	ds_write_b32 v18, v8 offset:32
.LBB39_17:
	s_or_b64 exec, exec, s[12:13]
	v_xor_b32_e32 v21, 0x7f, v21
	v_lshrrev_b32_sdwa v8, s48, v21 dst_sel:DWORD dst_unused:UNUSED_PAD src0_sel:DWORD src1_sel:BYTE_0
	v_and_b32_e32 v10, s52, v8
	v_and_b32_e32 v9, 1, v10
	v_add_co_u32_e64 v11, s[12:13], -1, v9
	v_addc_co_u32_e64 v24, s[12:13], 0, -1, s[12:13]
	v_cmp_ne_u32_e64 s[12:13], 0, v9
	v_mul_u32_u24_e32 v8, 9, v10
	v_xor_b32_e32 v9, s13, v24
	v_add_lshl_u32 v23, v27, v8, 2
	v_mov_b32_e32 v8, 0
	v_and_b32_e32 v24, exec_hi, v9
	v_lshlrev_b32_e32 v9, 30, v10
	v_xor_b32_e32 v11, s12, v11
	v_cmp_gt_i64_e64 s[12:13], 0, v[8:9]
	v_not_b32_e32 v9, v9
	v_ashrrev_i32_e32 v9, 31, v9
	v_and_b32_e32 v11, exec_lo, v11
	v_xor_b32_e32 v25, s13, v9
	v_xor_b32_e32 v9, s12, v9
	v_and_b32_e32 v11, v11, v9
	v_lshlrev_b32_e32 v9, 29, v10
	v_cmp_gt_i64_e64 s[12:13], 0, v[8:9]
	v_not_b32_e32 v9, v9
	v_ashrrev_i32_e32 v9, 31, v9
	v_and_b32_e32 v24, v24, v25
	v_xor_b32_e32 v25, s13, v9
	v_xor_b32_e32 v9, s12, v9
	v_and_b32_e32 v11, v11, v9
	v_lshlrev_b32_e32 v9, 28, v10
	v_cmp_gt_i64_e64 s[12:13], 0, v[8:9]
	v_not_b32_e32 v9, v9
	v_ashrrev_i32_e32 v9, 31, v9
	v_and_b32_e32 v24, v24, v25
	;; [unrolled: 8-line block ×5, first 2 shown]
	v_xor_b32_e32 v25, s13, v9
	v_xor_b32_e32 v9, s12, v9
	v_and_b32_e32 v24, v24, v25
	v_and_b32_e32 v25, v11, v9
	v_lshlrev_b32_e32 v9, 24, v10
	v_cmp_gt_i64_e64 s[12:13], 0, v[8:9]
	v_not_b32_e32 v9, v9
	v_ashrrev_i32_e32 v9, 31, v9
	v_xor_b32_e32 v10, s13, v9
	v_xor_b32_e32 v9, s12, v9
	; wave barrier
	ds_read_b32 v22, v23 offset:32
	v_and_b32_e32 v11, v24, v10
	v_and_b32_e32 v10, v25, v9
	v_mbcnt_lo_u32_b32 v9, v10, 0
	v_mbcnt_hi_u32_b32 v24, v11, v9
	v_cmp_eq_u32_e64 s[12:13], 0, v24
	v_cmp_ne_u64_e64 s[14:15], 0, v[10:11]
	s_and_b64 s[14:15], s[14:15], s[12:13]
	; wave barrier
	s_and_saveexec_b64 s[12:13], s[14:15]
	s_cbranch_execz .LBB39_19
; %bb.18:
	v_bcnt_u32_b32 v9, v10, 0
	v_bcnt_u32_b32 v9, v11, v9
	s_waitcnt lgkmcnt(0)
	v_add_u32_e32 v9, v22, v9
	ds_write_b32 v23, v9 offset:32
.LBB39_19:
	s_or_b64 exec, exec, s[12:13]
	v_xor_b32_e32 v25, 0x7f, v20
	v_lshrrev_b32_sdwa v9, s48, v25 dst_sel:DWORD dst_unused:UNUSED_PAD src0_sel:DWORD src1_sel:BYTE_0
	v_and_b32_e32 v10, s52, v9
	v_mul_u32_u24_e32 v9, 9, v10
	v_add_lshl_u32 v20, v27, v9, 2
	v_and_b32_e32 v9, 1, v10
	v_add_co_u32_e64 v11, s[12:13], -1, v9
	v_addc_co_u32_e64 v28, s[12:13], 0, -1, s[12:13]
	v_cmp_ne_u32_e64 s[12:13], 0, v9
	v_xor_b32_e32 v9, s13, v28
	v_and_b32_e32 v28, exec_hi, v9
	v_lshlrev_b32_e32 v9, 30, v10
	v_xor_b32_e32 v11, s12, v11
	v_cmp_gt_i64_e64 s[12:13], 0, v[8:9]
	v_not_b32_e32 v9, v9
	v_ashrrev_i32_e32 v9, 31, v9
	v_and_b32_e32 v11, exec_lo, v11
	v_xor_b32_e32 v29, s13, v9
	v_xor_b32_e32 v9, s12, v9
	v_and_b32_e32 v11, v11, v9
	v_lshlrev_b32_e32 v9, 29, v10
	v_cmp_gt_i64_e64 s[12:13], 0, v[8:9]
	v_not_b32_e32 v9, v9
	v_ashrrev_i32_e32 v9, 31, v9
	v_and_b32_e32 v28, v28, v29
	v_xor_b32_e32 v29, s13, v9
	v_xor_b32_e32 v9, s12, v9
	v_and_b32_e32 v11, v11, v9
	v_lshlrev_b32_e32 v9, 28, v10
	v_cmp_gt_i64_e64 s[12:13], 0, v[8:9]
	v_not_b32_e32 v9, v9
	v_ashrrev_i32_e32 v9, 31, v9
	v_and_b32_e32 v28, v28, v29
	;; [unrolled: 8-line block ×5, first 2 shown]
	v_xor_b32_e32 v29, s13, v9
	v_xor_b32_e32 v9, s12, v9
	v_and_b32_e32 v11, v11, v9
	v_lshlrev_b32_e32 v9, 24, v10
	v_cmp_gt_i64_e64 s[12:13], 0, v[8:9]
	v_not_b32_e32 v8, v9
	v_ashrrev_i32_e32 v8, 31, v8
	v_xor_b32_e32 v9, s13, v8
	v_xor_b32_e32 v8, s12, v8
	; wave barrier
	ds_read_b32 v26, v20 offset:32
	v_and_b32_e32 v28, v28, v29
	v_and_b32_e32 v8, v11, v8
	;; [unrolled: 1-line block ×3, first 2 shown]
	v_mbcnt_lo_u32_b32 v10, v8, 0
	v_mbcnt_hi_u32_b32 v29, v9, v10
	v_cmp_eq_u32_e64 s[12:13], 0, v29
	v_cmp_ne_u64_e64 s[14:15], 0, v[8:9]
	s_and_b64 s[14:15], s[14:15], s[12:13]
	; wave barrier
	s_and_saveexec_b64 s[12:13], s[14:15]
	s_cbranch_execz .LBB39_21
; %bb.20:
	v_bcnt_u32_b32 v8, v8, 0
	v_bcnt_u32_b32 v8, v9, v8
	s_waitcnt lgkmcnt(0)
	v_add_u32_e32 v8, v26, v8
	ds_write_b32 v20, v8 offset:32
.LBB39_21:
	s_or_b64 exec, exec, s[12:13]
	v_xor_b32_e32 v16, 0x7f, v16
	v_lshrrev_b32_sdwa v8, s48, v16 dst_sel:DWORD dst_unused:UNUSED_PAD src0_sel:DWORD src1_sel:BYTE_0
	v_and_b32_e32 v10, s52, v8
	v_and_b32_e32 v9, 1, v10
	v_add_co_u32_e64 v11, s[12:13], -1, v9
	v_addc_co_u32_e64 v31, s[12:13], 0, -1, s[12:13]
	v_cmp_ne_u32_e64 s[12:13], 0, v9
	v_mul_u32_u24_e32 v8, 9, v10
	v_xor_b32_e32 v9, s13, v31
	v_add_lshl_u32 v28, v27, v8, 2
	v_mov_b32_e32 v8, 0
	v_and_b32_e32 v31, exec_hi, v9
	v_lshlrev_b32_e32 v9, 30, v10
	v_xor_b32_e32 v11, s12, v11
	v_cmp_gt_i64_e64 s[12:13], 0, v[8:9]
	v_not_b32_e32 v9, v9
	v_ashrrev_i32_e32 v9, 31, v9
	v_and_b32_e32 v11, exec_lo, v11
	v_xor_b32_e32 v32, s13, v9
	v_xor_b32_e32 v9, s12, v9
	v_and_b32_e32 v11, v11, v9
	v_lshlrev_b32_e32 v9, 29, v10
	v_cmp_gt_i64_e64 s[12:13], 0, v[8:9]
	v_not_b32_e32 v9, v9
	v_ashrrev_i32_e32 v9, 31, v9
	v_and_b32_e32 v31, v31, v32
	v_xor_b32_e32 v32, s13, v9
	v_xor_b32_e32 v9, s12, v9
	v_and_b32_e32 v11, v11, v9
	v_lshlrev_b32_e32 v9, 28, v10
	v_cmp_gt_i64_e64 s[12:13], 0, v[8:9]
	v_not_b32_e32 v9, v9
	v_ashrrev_i32_e32 v9, 31, v9
	v_and_b32_e32 v31, v31, v32
	;; [unrolled: 8-line block ×5, first 2 shown]
	v_xor_b32_e32 v32, s13, v9
	v_xor_b32_e32 v9, s12, v9
	v_and_b32_e32 v31, v31, v32
	v_and_b32_e32 v32, v11, v9
	v_lshlrev_b32_e32 v9, 24, v10
	v_cmp_gt_i64_e64 s[12:13], 0, v[8:9]
	v_not_b32_e32 v9, v9
	v_ashrrev_i32_e32 v9, 31, v9
	v_xor_b32_e32 v10, s13, v9
	v_xor_b32_e32 v9, s12, v9
	; wave barrier
	ds_read_b32 v30, v28 offset:32
	v_and_b32_e32 v11, v31, v10
	v_and_b32_e32 v10, v32, v9
	v_mbcnt_lo_u32_b32 v9, v10, 0
	v_mbcnt_hi_u32_b32 v31, v11, v9
	v_cmp_eq_u32_e64 s[12:13], 0, v31
	v_cmp_ne_u64_e64 s[14:15], 0, v[10:11]
	s_and_b64 s[14:15], s[14:15], s[12:13]
	; wave barrier
	s_and_saveexec_b64 s[12:13], s[14:15]
	s_cbranch_execz .LBB39_23
; %bb.22:
	v_bcnt_u32_b32 v9, v10, 0
	v_bcnt_u32_b32 v9, v11, v9
	s_waitcnt lgkmcnt(0)
	v_add_u32_e32 v9, v30, v9
	ds_write_b32 v28, v9 offset:32
.LBB39_23:
	s_or_b64 exec, exec, s[12:13]
	v_xor_b32_e32 v12, 0x7f, v12
	v_lshrrev_b32_sdwa v9, s48, v12 dst_sel:DWORD dst_unused:UNUSED_PAD src0_sel:DWORD src1_sel:BYTE_0
	v_and_b32_e32 v10, s52, v9
	v_mul_u32_u24_e32 v9, 9, v10
	v_add_lshl_u32 v27, v27, v9, 2
	v_and_b32_e32 v9, 1, v10
	v_add_co_u32_e64 v11, s[12:13], -1, v9
	v_addc_co_u32_e64 v34, s[12:13], 0, -1, s[12:13]
	v_cmp_ne_u32_e64 s[12:13], 0, v9
	v_xor_b32_e32 v9, s13, v34
	v_and_b32_e32 v34, exec_hi, v9
	v_lshlrev_b32_e32 v9, 30, v10
	v_xor_b32_e32 v11, s12, v11
	v_cmp_gt_i64_e64 s[12:13], 0, v[8:9]
	v_not_b32_e32 v9, v9
	v_ashrrev_i32_e32 v9, 31, v9
	v_and_b32_e32 v11, exec_lo, v11
	v_xor_b32_e32 v35, s13, v9
	v_xor_b32_e32 v9, s12, v9
	v_and_b32_e32 v11, v11, v9
	v_lshlrev_b32_e32 v9, 29, v10
	v_cmp_gt_i64_e64 s[12:13], 0, v[8:9]
	v_not_b32_e32 v9, v9
	v_ashrrev_i32_e32 v9, 31, v9
	v_and_b32_e32 v34, v34, v35
	v_xor_b32_e32 v35, s13, v9
	v_xor_b32_e32 v9, s12, v9
	v_and_b32_e32 v11, v11, v9
	v_lshlrev_b32_e32 v9, 28, v10
	v_cmp_gt_i64_e64 s[12:13], 0, v[8:9]
	v_not_b32_e32 v9, v9
	v_ashrrev_i32_e32 v9, 31, v9
	v_and_b32_e32 v34, v34, v35
	;; [unrolled: 8-line block ×5, first 2 shown]
	v_xor_b32_e32 v35, s13, v9
	v_xor_b32_e32 v9, s12, v9
	v_and_b32_e32 v11, v11, v9
	v_lshlrev_b32_e32 v9, 24, v10
	v_cmp_gt_i64_e64 s[12:13], 0, v[8:9]
	v_not_b32_e32 v8, v9
	v_ashrrev_i32_e32 v8, 31, v8
	v_xor_b32_e32 v9, s13, v8
	v_xor_b32_e32 v8, s12, v8
	; wave barrier
	ds_read_b32 v32, v27 offset:32
	v_and_b32_e32 v34, v34, v35
	v_and_b32_e32 v8, v11, v8
	;; [unrolled: 1-line block ×3, first 2 shown]
	v_mbcnt_lo_u32_b32 v10, v8, 0
	v_mbcnt_hi_u32_b32 v34, v9, v10
	v_cmp_eq_u32_e64 s[12:13], 0, v34
	v_cmp_ne_u64_e64 s[14:15], 0, v[8:9]
	v_add_u32_e32 v33, 32, v7
	s_and_b64 s[14:15], s[14:15], s[12:13]
	; wave barrier
	s_and_saveexec_b64 s[12:13], s[14:15]
	s_cbranch_execz .LBB39_25
; %bb.24:
	v_bcnt_u32_b32 v8, v8, 0
	v_bcnt_u32_b32 v8, v9, v8
	s_waitcnt lgkmcnt(0)
	v_add_u32_e32 v8, v32, v8
	ds_write_b32 v27, v8 offset:32
.LBB39_25:
	s_or_b64 exec, exec, s[12:13]
	; wave barrier
	s_waitcnt lgkmcnt(0)
	s_barrier
	ds_read2_b32 v[10:11], v7 offset0:8 offset1:9
	ds_read2_b32 v[8:9], v33 offset0:2 offset1:3
	ds_read_b32 v35, v33 offset:16
	v_min_u32_e32 v3, 0x1c0, v3
	v_or_b32_e32 v3, 63, v3
	s_waitcnt lgkmcnt(1)
	v_add3_u32 v36, v11, v10, v8
	s_waitcnt lgkmcnt(0)
	v_add3_u32 v35, v36, v9, v35
	v_and_b32_e32 v36, 15, v6
	v_cmp_ne_u32_e64 s[12:13], 0, v36
	v_mov_b32_dpp v37, v35 row_shr:1 row_mask:0xf bank_mask:0xf
	v_cndmask_b32_e64 v37, 0, v37, s[12:13]
	v_add_u32_e32 v35, v37, v35
	v_cmp_lt_u32_e64 s[12:13], 1, v36
	s_nop 0
	v_mov_b32_dpp v37, v35 row_shr:2 row_mask:0xf bank_mask:0xf
	v_cndmask_b32_e64 v37, 0, v37, s[12:13]
	v_add_u32_e32 v35, v35, v37
	v_cmp_lt_u32_e64 s[12:13], 3, v36
	s_nop 0
	;; [unrolled: 5-line block ×3, first 2 shown]
	v_mov_b32_dpp v37, v35 row_shr:8 row_mask:0xf bank_mask:0xf
	v_cndmask_b32_e64 v36, 0, v37, s[12:13]
	v_add_u32_e32 v35, v35, v36
	v_bfe_i32 v37, v6, 4, 1
	v_cmp_lt_u32_e64 s[12:13], 31, v6
	v_mov_b32_dpp v36, v35 row_bcast:15 row_mask:0xf bank_mask:0xf
	v_and_b32_e32 v36, v37, v36
	v_add_u32_e32 v35, v35, v36
	s_nop 1
	v_mov_b32_dpp v36, v35 row_bcast:31 row_mask:0xf bank_mask:0xf
	v_cndmask_b32_e64 v36, 0, v36, s[12:13]
	v_add_u32_e32 v35, v35, v36
	v_lshrrev_b32_e32 v36, 6, v2
	v_cmp_eq_u32_e64 s[12:13], v3, v2
	s_and_saveexec_b64 s[14:15], s[12:13]
	s_cbranch_execz .LBB39_27
; %bb.26:
	v_lshlrev_b32_e32 v3, 2, v36
	ds_write_b32 v3, v35
.LBB39_27:
	s_or_b64 exec, exec, s[14:15]
	v_cmp_gt_u32_e64 s[12:13], 8, v2
	s_waitcnt lgkmcnt(0)
	s_barrier
	s_and_saveexec_b64 s[14:15], s[12:13]
	s_cbranch_execz .LBB39_29
; %bb.28:
	v_lshlrev_b32_e32 v3, 2, v2
	ds_read_b32 v37, v3
	v_and_b32_e32 v38, 7, v6
	v_cmp_ne_u32_e64 s[12:13], 0, v38
	s_waitcnt lgkmcnt(0)
	v_mov_b32_dpp v39, v37 row_shr:1 row_mask:0xf bank_mask:0xf
	v_cndmask_b32_e64 v39, 0, v39, s[12:13]
	v_add_u32_e32 v37, v39, v37
	v_cmp_lt_u32_e64 s[12:13], 1, v38
	s_nop 0
	v_mov_b32_dpp v39, v37 row_shr:2 row_mask:0xf bank_mask:0xf
	v_cndmask_b32_e64 v39, 0, v39, s[12:13]
	v_add_u32_e32 v37, v37, v39
	v_cmp_lt_u32_e64 s[12:13], 3, v38
	s_nop 0
	v_mov_b32_dpp v39, v37 row_shr:4 row_mask:0xf bank_mask:0xf
	v_cndmask_b32_e64 v38, 0, v39, s[12:13]
	v_add_u32_e32 v37, v37, v38
	ds_write_b32 v3, v37
.LBB39_29:
	s_or_b64 exec, exec, s[14:15]
	v_cmp_lt_u32_e64 s[12:13], 63, v2
	v_mov_b32_e32 v3, 0
	s_waitcnt lgkmcnt(0)
	s_barrier
	s_and_saveexec_b64 s[14:15], s[12:13]
	s_cbranch_execz .LBB39_31
; %bb.30:
	v_lshl_add_u32 v3, v36, 2, -4
	ds_read_b32 v3, v3
.LBB39_31:
	s_or_b64 exec, exec, s[14:15]
	v_add_u32_e32 v36, -1, v6
	v_and_b32_e32 v37, 64, v6
	v_cmp_lt_i32_e64 s[12:13], v36, v37
	v_cndmask_b32_e64 v36, v36, v6, s[12:13]
	s_waitcnt lgkmcnt(0)
	v_add_u32_e32 v35, v3, v35
	v_lshlrev_b32_e32 v36, 2, v36
	ds_bpermute_b32 v35, v36, v35
	v_cmp_eq_u32_e64 s[12:13], 0, v6
	s_waitcnt lgkmcnt(0)
	v_cndmask_b32_e64 v3, v35, v3, s[12:13]
	v_cmp_ne_u32_e64 s[12:13], 0, v2
	v_cndmask_b32_e64 v3, 0, v3, s[12:13]
	v_add_u32_e32 v10, v3, v10
	v_add_u32_e32 v11, v10, v11
	;; [unrolled: 1-line block ×4, first 2 shown]
	ds_write2_b32 v7, v3, v10 offset0:8 offset1:9
	ds_write2_b32 v33, v11, v8 offset0:2 offset1:3
	ds_write_b32 v33, v9 offset:16
	s_waitcnt lgkmcnt(0)
	s_barrier
	ds_read_b32 v3, v17 offset:32
	ds_read_b32 v7, v18 offset:32
	;; [unrolled: 1-line block ×6, first 2 shown]
	s_movk_i32 s12, 0x100
	v_cmp_gt_u32_e64 s[12:13], s12, v2
	v_pk_mov_b32 v[8:9], 0, 0
                                        ; implicit-def: $vgpr20
	s_and_saveexec_b64 s[16:17], s[12:13]
	s_cbranch_execz .LBB39_35
; %bb.32:
	v_mul_u32_u24_e32 v8, 9, v2
	v_lshlrev_b32_e32 v20, 2, v8
	ds_read_b32 v8, v20 offset:32
	s_movk_i32 s14, 0xff
	v_cmp_ne_u32_e64 s[14:15], s14, v2
	v_mov_b32_e32 v9, 0xc00
	s_and_saveexec_b64 s[18:19], s[14:15]
	s_cbranch_execz .LBB39_34
; %bb.33:
	ds_read_b32 v9, v20 offset:68
.LBB39_34:
	s_or_b64 exec, exec, s[18:19]
	s_waitcnt lgkmcnt(0)
	v_sub_u32_e32 v20, v9, v8
	v_mov_b32_e32 v9, 0
.LBB39_35:
	s_or_b64 exec, exec, s[16:17]
	s_waitcnt lgkmcnt(5)
	v_add_u32_e32 v28, v3, v13
	s_waitcnt lgkmcnt(4)
	v_add3_u32 v27, v19, v15, v7
	s_waitcnt lgkmcnt(3)
	v_add3_u32 v24, v24, v22, v10
	;; [unrolled: 2-line block ×5, first 2 shown]
	s_barrier
	ds_write_b8 v28, v5 offset:2048
	ds_write_b8 v27, v14 offset:2048
	;; [unrolled: 1-line block ×6, first 2 shown]
	s_waitcnt lgkmcnt(0)
	s_barrier
	s_and_saveexec_b64 s[16:17], s[12:13]
	s_cbranch_execz .LBB39_45
; %bb.36:
	v_lshl_or_b32 v10, s6, 8, v2
	v_mov_b32_e32 v11, 0
	v_lshlrev_b64 v[12:13], 2, v[10:11]
	v_mov_b32_e32 v5, s35
	v_add_co_u32_e64 v12, s[14:15], s34, v12
	v_addc_co_u32_e64 v13, s[14:15], v5, v13, s[14:15]
	v_or_b32_e32 v7, 2.0, v20
	global_store_dword v[12:13], v7, off
	s_mov_b64 s[18:19], 0
	s_brev_b32 s24, 1
	s_mov_b32 s25, s6
	v_mov_b32_e32 v7, 0
                                        ; implicit-def: $sgpr14_sgpr15
	s_branch .LBB39_38
.LBB39_37:                              ;   in Loop: Header=BB39_38 Depth=1
	s_or_b64 exec, exec, s[20:21]
	v_and_b32_e32 v14, 0x3fffffff, v16
	v_add_u32_e32 v7, v14, v7
	v_cmp_eq_u32_e64 s[14:15], s24, v10
	s_and_b64 s[20:21], exec, s[14:15]
	s_or_b64 s[18:19], s[20:21], s[18:19]
	s_andn2_b64 exec, exec, s[18:19]
	s_cbranch_execz .LBB39_44
.LBB39_38:                              ; =>This Loop Header: Depth=1
                                        ;     Child Loop BB39_41 Depth 2
	s_or_b64 s[14:15], s[14:15], exec
	s_cmp_eq_u32 s25, 0
	s_cbranch_scc1 .LBB39_43
; %bb.39:                               ;   in Loop: Header=BB39_38 Depth=1
	s_add_i32 s25, s25, -1
	v_lshl_or_b32 v10, s25, 8, v2
	v_lshlrev_b64 v[14:15], 2, v[10:11]
	v_add_co_u32_e64 v14, s[14:15], s34, v14
	v_addc_co_u32_e64 v15, s[14:15], v5, v15, s[14:15]
	global_load_dword v16, v[14:15], off glc
	s_waitcnt vmcnt(0)
	v_and_b32_e32 v10, -2.0, v16
	v_cmp_eq_u32_e64 s[14:15], 0, v10
	s_and_saveexec_b64 s[20:21], s[14:15]
	s_cbranch_execz .LBB39_37
; %bb.40:                               ;   in Loop: Header=BB39_38 Depth=1
	s_mov_b64 s[22:23], 0
.LBB39_41:                              ;   Parent Loop BB39_38 Depth=1
                                        ; =>  This Inner Loop Header: Depth=2
	global_load_dword v16, v[14:15], off glc
	s_waitcnt vmcnt(0)
	v_and_b32_e32 v10, -2.0, v16
	v_cmp_ne_u32_e64 s[14:15], 0, v10
	s_or_b64 s[22:23], s[14:15], s[22:23]
	s_andn2_b64 exec, exec, s[22:23]
	s_cbranch_execnz .LBB39_41
; %bb.42:                               ;   in Loop: Header=BB39_38 Depth=1
	s_or_b64 exec, exec, s[22:23]
	s_branch .LBB39_37
.LBB39_43:                              ;   in Loop: Header=BB39_38 Depth=1
                                        ; implicit-def: $sgpr25
	s_and_b64 s[20:21], exec, s[14:15]
	s_or_b64 s[18:19], s[20:21], s[18:19]
	s_andn2_b64 exec, exec, s[18:19]
	s_cbranch_execnz .LBB39_38
.LBB39_44:
	s_or_b64 exec, exec, s[18:19]
	v_add_u32_e32 v5, v7, v20
	v_or_b32_e32 v5, 0x80000000, v5
	global_store_dword v[12:13], v5, off
	v_lshlrev_b32_e32 v5, 3, v2
	global_load_dwordx2 v[10:11], v5, s[44:45]
	v_sub_co_u32_e64 v7, s[14:15], v7, v8
	v_subb_co_u32_e64 v12, s[14:15], 0, v9, s[14:15]
	s_waitcnt vmcnt(0)
	v_add_co_u32_e64 v10, s[14:15], v7, v10
	v_addc_co_u32_e64 v11, s[14:15], v12, v11, s[14:15]
	ds_write_b64 v5, v[10:11]
.LBB39_45:
	s_or_b64 exec, exec, s[16:17]
	v_cmp_gt_u32_e64 s[14:15], s33, v2
	s_waitcnt lgkmcnt(0)
	s_barrier
	s_and_saveexec_b64 s[18:19], s[14:15]
	s_cbranch_execz .LBB39_47
; %bb.46:
	ds_read_u8 v5, v2 offset:2048
	s_waitcnt lgkmcnt(0)
	v_lshrrev_b32_sdwa v7, s48, v5 dst_sel:DWORD dst_unused:UNUSED_PAD src0_sel:DWORD src1_sel:BYTE_0
	v_and_b32_e32 v7, s52, v7
	v_lshlrev_b32_e32 v7, 3, v7
	ds_read_b64 v[10:11], v7
	v_mov_b32_e32 v7, s39
	v_xor_b32_e32 v5, 0x7f, v5
	s_waitcnt lgkmcnt(0)
	v_add_co_u32_e64 v10, s[16:17], s38, v10
	v_addc_co_u32_e64 v7, s[16:17], v7, v11, s[16:17]
	v_add_co_u32_e64 v10, s[16:17], v10, v2
	v_addc_co_u32_e64 v11, s[16:17], 0, v7, s[16:17]
	global_store_byte v[10:11], v5, off
.LBB39_47:
	s_or_b64 exec, exec, s[18:19]
	v_add_u32_e32 v21, 0x200, v2
	v_cmp_gt_u32_e64 s[16:17], s33, v21
	s_and_saveexec_b64 s[20:21], s[16:17]
	s_cbranch_execz .LBB39_49
; %bb.48:
	ds_read_u8 v5, v2 offset:2560
	s_waitcnt lgkmcnt(0)
	v_lshrrev_b32_sdwa v7, s48, v5 dst_sel:DWORD dst_unused:UNUSED_PAD src0_sel:DWORD src1_sel:BYTE_0
	v_and_b32_e32 v7, s52, v7
	v_lshlrev_b32_e32 v7, 3, v7
	ds_read_b64 v[10:11], v7
	v_mov_b32_e32 v7, s39
	v_xor_b32_e32 v5, 0x7f, v5
	s_waitcnt lgkmcnt(0)
	v_add_co_u32_e64 v10, s[18:19], s38, v10
	v_addc_co_u32_e64 v7, s[18:19], v7, v11, s[18:19]
	v_add_co_u32_e64 v10, s[18:19], v10, v2
	v_addc_co_u32_e64 v11, s[18:19], 0, v7, s[18:19]
	global_store_byte v[10:11], v5, off offset:512
.LBB39_49:
	s_or_b64 exec, exec, s[20:21]
	v_or_b32_e32 v25, 0x400, v2
	v_cmp_gt_u32_e64 s[18:19], s33, v25
	s_and_saveexec_b64 s[22:23], s[18:19]
	s_cbranch_execz .LBB39_51
; %bb.50:
	ds_read_u8 v5, v2 offset:3072
	s_waitcnt lgkmcnt(0)
	v_lshrrev_b32_sdwa v7, s48, v5 dst_sel:DWORD dst_unused:UNUSED_PAD src0_sel:DWORD src1_sel:BYTE_0
	v_and_b32_e32 v7, s52, v7
	v_lshlrev_b32_e32 v7, 3, v7
	ds_read_b64 v[10:11], v7
	v_mov_b32_e32 v7, s39
	v_xor_b32_e32 v5, 0x7f, v5
	s_waitcnt lgkmcnt(0)
	v_add_co_u32_e64 v10, s[20:21], s38, v10
	v_addc_co_u32_e64 v7, s[20:21], v7, v11, s[20:21]
	v_add_co_u32_e64 v10, s[20:21], v10, v2
	v_addc_co_u32_e64 v11, s[20:21], 0, v7, s[20:21]
	global_store_byte v[10:11], v5, off offset:1024
.LBB39_51:
	s_or_b64 exec, exec, s[22:23]
	v_add_u32_e32 v26, 0x600, v2
	v_cmp_gt_u32_e64 s[20:21], s33, v26
	s_and_saveexec_b64 s[24:25], s[20:21]
	s_cbranch_execz .LBB39_53
; %bb.52:
	ds_read_u8 v5, v2 offset:3584
	s_waitcnt lgkmcnt(0)
	v_lshrrev_b32_sdwa v7, s48, v5 dst_sel:DWORD dst_unused:UNUSED_PAD src0_sel:DWORD src1_sel:BYTE_0
	v_and_b32_e32 v7, s52, v7
	v_lshlrev_b32_e32 v7, 3, v7
	ds_read_b64 v[10:11], v7
	v_mov_b32_e32 v7, s39
	v_xor_b32_e32 v5, 0x7f, v5
	s_waitcnt lgkmcnt(0)
	v_add_co_u32_e64 v10, s[22:23], s38, v10
	v_addc_co_u32_e64 v7, s[22:23], v7, v11, s[22:23]
	v_add_co_u32_e64 v10, s[22:23], v10, v2
	v_addc_co_u32_e64 v11, s[22:23], 0, v7, s[22:23]
	global_store_byte v[10:11], v5, off offset:1536
.LBB39_53:
	s_or_b64 exec, exec, s[24:25]
	v_or_b32_e32 v29, 0x800, v2
	v_cmp_gt_u32_e64 s[22:23], s33, v29
	s_and_saveexec_b64 s[28:29], s[22:23]
	s_cbranch_execz .LBB39_55
; %bb.54:
	ds_read_u8 v5, v2 offset:4096
	s_waitcnt lgkmcnt(0)
	v_lshrrev_b32_sdwa v7, s48, v5 dst_sel:DWORD dst_unused:UNUSED_PAD src0_sel:DWORD src1_sel:BYTE_0
	v_and_b32_e32 v7, s52, v7
	v_lshlrev_b32_e32 v7, 3, v7
	ds_read_b64 v[10:11], v7
	v_mov_b32_e32 v7, s39
	v_xor_b32_e32 v5, 0x7f, v5
	s_waitcnt lgkmcnt(0)
	v_add_co_u32_e64 v10, s[24:25], s38, v10
	v_addc_co_u32_e64 v7, s[24:25], v7, v11, s[24:25]
	v_add_co_u32_e64 v10, s[24:25], v10, v2
	v_addc_co_u32_e64 v11, s[24:25], 0, v7, s[24:25]
	global_store_byte v[10:11], v5, off offset:2048
.LBB39_55:
	s_or_b64 exec, exec, s[28:29]
	v_add_u32_e32 v30, 0xa00, v2
	v_cmp_gt_u32_e64 s[24:25], s33, v30
	s_and_saveexec_b64 s[50:51], s[24:25]
	s_cbranch_execz .LBB39_57
; %bb.56:
	ds_read_u8 v5, v2 offset:4608
	s_waitcnt lgkmcnt(0)
	v_lshrrev_b32_sdwa v7, s48, v5 dst_sel:DWORD dst_unused:UNUSED_PAD src0_sel:DWORD src1_sel:BYTE_0
	v_and_b32_e32 v7, s52, v7
	v_lshlrev_b32_e32 v7, 3, v7
	ds_read_b64 v[10:11], v7
	v_mov_b32_e32 v7, s39
	v_xor_b32_e32 v5, 0x7f, v5
	s_waitcnt lgkmcnt(0)
	v_add_co_u32_e64 v10, s[28:29], s38, v10
	v_addc_co_u32_e64 v7, s[28:29], v7, v11, s[28:29]
	v_add_co_u32_e64 v10, s[28:29], v10, v2
	v_addc_co_u32_e64 v11, s[28:29], 0, v7, s[28:29]
	global_store_byte v[10:11], v5, off offset:2560
.LBB39_57:
	s_or_b64 exec, exec, s[50:51]
	s_lshl_b64 s[28:29], s[30:31], 3
	s_add_u32 s28, s40, s28
	s_addc_u32 s29, s41, s29
	v_lshlrev_b32_e32 v5, 3, v6
	v_mov_b32_e32 v6, s29
	v_add_co_u32_e64 v5, s[28:29], s28, v5
	v_addc_co_u32_e64 v6, s[28:29], 0, v6, s[28:29]
	v_lshlrev_b32_e32 v4, 3, v4
	v_add_co_u32_e64 v18, s[28:29], v5, v4
	v_addc_co_u32_e64 v19, s[28:29], 0, v6, s[28:29]
                                        ; implicit-def: $vgpr4_vgpr5
	s_and_saveexec_b64 s[28:29], vcc
	s_xor_b64 s[28:29], exec, s[28:29]
	s_cbranch_execnz .LBB39_127
; %bb.58:
	s_or_b64 exec, exec, s[28:29]
                                        ; implicit-def: $vgpr6_vgpr7
	s_and_saveexec_b64 s[28:29], s[0:1]
	s_cbranch_execnz .LBB39_128
.LBB39_59:
	s_or_b64 exec, exec, s[28:29]
                                        ; implicit-def: $vgpr10_vgpr11
	s_and_saveexec_b64 s[0:1], s[2:3]
	s_cbranch_execnz .LBB39_129
.LBB39_60:
	s_or_b64 exec, exec, s[0:1]
                                        ; implicit-def: $vgpr12_vgpr13
	s_and_saveexec_b64 s[0:1], s[26:27]
	s_cbranch_execnz .LBB39_130
.LBB39_61:
	s_or_b64 exec, exec, s[0:1]
                                        ; implicit-def: $vgpr14_vgpr15
	s_and_saveexec_b64 s[0:1], s[8:9]
	s_cbranch_execnz .LBB39_131
.LBB39_62:
	s_or_b64 exec, exec, s[0:1]
                                        ; implicit-def: $vgpr16_vgpr17
	s_and_saveexec_b64 s[0:1], s[10:11]
	s_cbranch_execz .LBB39_64
.LBB39_63:
	global_load_dwordx2 v[16:17], v[18:19], off offset:2560
.LBB39_64:
	s_or_b64 exec, exec, s[0:1]
	v_mov_b32_e32 v32, 0
	v_mov_b32_e32 v34, 0
	s_and_saveexec_b64 s[0:1], s[14:15]
	s_cbranch_execz .LBB39_66
; %bb.65:
	ds_read_u8 v18, v2 offset:2048
	s_waitcnt lgkmcnt(0)
	v_lshrrev_b32_e32 v18, s48, v18
	v_and_b32_e32 v34, s52, v18
.LBB39_66:
	s_or_b64 exec, exec, s[0:1]
	s_and_saveexec_b64 s[0:1], s[16:17]
	s_cbranch_execz .LBB39_68
; %bb.67:
	ds_read_u8 v18, v2 offset:2560
	s_waitcnt lgkmcnt(0)
	v_lshrrev_b32_e32 v18, s48, v18
	v_and_b32_e32 v32, s52, v18
.LBB39_68:
	s_or_b64 exec, exec, s[0:1]
	v_mov_b32_e32 v19, 0
	v_mov_b32_e32 v33, 0
	s_and_saveexec_b64 s[0:1], s[18:19]
	s_cbranch_execz .LBB39_70
; %bb.69:
	ds_read_u8 v18, v2 offset:3072
	s_waitcnt lgkmcnt(0)
	v_lshrrev_b32_e32 v18, s48, v18
	v_and_b32_e32 v33, s52, v18
.LBB39_70:
	s_or_b64 exec, exec, s[0:1]
	s_and_saveexec_b64 s[0:1], s[20:21]
	s_cbranch_execz .LBB39_72
; %bb.71:
	ds_read_u8 v18, v2 offset:3584
	s_waitcnt lgkmcnt(0)
	v_lshrrev_b32_e32 v18, s48, v18
	v_and_b32_e32 v19, s52, v18
.LBB39_72:
	;; [unrolled: 20-line block ×3, first 2 shown]
	s_or_b64 exec, exec, s[0:1]
	v_lshlrev_b32_e32 v28, 3, v28
	s_barrier
	s_waitcnt vmcnt(0)
	ds_write_b64 v28, v[4:5] offset:2048
	v_lshlrev_b32_e32 v4, 3, v27
	ds_write_b64 v4, v[6:7] offset:2048
	v_lshlrev_b32_e32 v4, 3, v24
	ds_write_b64 v4, v[10:11] offset:2048
	v_lshlrev_b32_e32 v4, 3, v23
	ds_write_b64 v4, v[12:13] offset:2048
	v_lshlrev_b32_e32 v4, 3, v22
	v_lshlrev_b32_e32 v3, 3, v3
	ds_write_b64 v4, v[14:15] offset:2048
	ds_write_b64 v3, v[16:17] offset:2048
	v_lshlrev_b32_e32 v3, 3, v2
	s_waitcnt lgkmcnt(0)
	s_barrier
	s_and_saveexec_b64 s[0:1], s[14:15]
	s_cbranch_execnz .LBB39_132
; %bb.77:
	s_or_b64 exec, exec, s[0:1]
	s_and_saveexec_b64 s[0:1], s[16:17]
	s_cbranch_execnz .LBB39_133
.LBB39_78:
	s_or_b64 exec, exec, s[0:1]
	s_and_saveexec_b64 s[0:1], s[18:19]
	s_cbranch_execnz .LBB39_134
.LBB39_79:
	s_or_b64 exec, exec, s[0:1]
	s_and_saveexec_b64 s[0:1], s[20:21]
	s_cbranch_execnz .LBB39_135
.LBB39_80:
	s_or_b64 exec, exec, s[0:1]
	s_and_saveexec_b64 s[0:1], s[22:23]
	s_cbranch_execnz .LBB39_136
.LBB39_81:
	s_or_b64 exec, exec, s[0:1]
	s_and_saveexec_b64 s[0:1], s[24:25]
	s_cbranch_execz .LBB39_83
.LBB39_82:
	v_lshlrev_b32_e32 v4, 3, v18
	ds_read_b64 v[4:5], v4
	ds_read_b64 v[6:7], v3 offset:22528
	v_mov_b32_e32 v3, s43
	s_waitcnt lgkmcnt(1)
	v_lshlrev_b64 v[4:5], 3, v[4:5]
	v_add_co_u32_e32 v4, vcc, s42, v4
	v_addc_co_u32_e32 v3, vcc, v3, v5, vcc
	v_lshlrev_b32_e32 v5, 3, v30
	v_add_co_u32_e32 v4, vcc, v4, v5
	v_addc_co_u32_e32 v5, vcc, 0, v3, vcc
	s_waitcnt lgkmcnt(0)
	global_store_dwordx2 v[4:5], v[6:7], off
.LBB39_83:
	s_or_b64 exec, exec, s[0:1]
	s_add_i32 s7, s7, -1
	s_cmp_eq_u32 s6, s7
	s_cselect_b64 s[0:1], -1, 0
	s_and_b64 s[2:3], s[12:13], s[0:1]
	s_mov_b64 s[0:1], 0
	s_mov_b64 s[8:9], 0
                                        ; implicit-def: $vgpr4_vgpr5
	s_and_saveexec_b64 s[10:11], s[2:3]
	s_xor_b64 s[2:3], exec, s[10:11]
; %bb.84:
	v_add_co_u32_e32 v4, vcc, v8, v20
	s_mov_b64 s[8:9], exec
	v_mov_b32_e32 v3, 0
	v_addc_co_u32_e32 v5, vcc, 0, v9, vcc
; %bb.85:
	s_or_b64 exec, exec, s[2:3]
	s_and_b64 vcc, exec, s[0:1]
	s_cbranch_vccnz .LBB39_87
	s_branch .LBB39_124
.LBB39_86:
	s_mov_b64 s[8:9], 0
                                        ; implicit-def: $vgpr4_vgpr5
                                        ; implicit-def: $vgpr2_vgpr3
	s_cbranch_execz .LBB39_124
.LBB39_87:
	s_add_u32 s0, s36, s30
	v_and_b32_e32 v2, 0x3ff, v0
	s_addc_u32 s1, s37, 0
	v_mbcnt_hi_u32_b32 v6, -1, v1
	v_and_b32_e32 v7, 0x1c0, v2
	v_mov_b32_e32 v1, s1
	v_add_co_u32_e32 v3, vcc, s0, v6
	v_mul_u32_u24_e32 v4, 6, v7
	v_addc_co_u32_e32 v1, vcc, 0, v1, vcc
	v_add_co_u32_e32 v10, vcc, v3, v4
	v_addc_co_u32_e32 v11, vcc, 0, v1, vcc
	global_load_ubyte v1, v[10:11], off
	s_load_dword s0, s[4:5], 0x5c
	s_load_dword s7, s[4:5], 0x50
	s_add_u32 s1, s4, 0x50
	s_addc_u32 s2, s5, 0
	v_mov_b32_e32 v8, 0
	s_waitcnt lgkmcnt(0)
	s_lshr_b32 s3, s0, 16
	s_cmp_lt_u32 s6, s7
	s_cselect_b32 s0, 12, 18
	s_add_u32 s0, s1, s0
	s_addc_u32 s1, s2, 0
	global_load_ushort v13, v8, s[0:1]
	v_mul_u32_u24_e32 v5, 5, v2
	v_lshlrev_b32_e32 v5, 2, v5
	ds_write2_b32 v5, v8, v8 offset0:8 offset1:9
	ds_write2_b32 v5, v8, v8 offset0:10 offset1:11
	ds_write_b32 v5, v8 offset:48
	global_load_ubyte v12, v[10:11], off offset:64
	global_load_ubyte v16, v[10:11], off offset:128
	global_load_ubyte v22, v[10:11], off offset:192
	global_load_ubyte v24, v[10:11], off offset:256
	global_load_ubyte v18, v[10:11], off offset:320
	v_bfe_u32 v3, v0, 10, 10
	v_bfe_u32 v0, v0, 20, 10
	v_mad_u32_u24 v0, v0, s3, v3
	s_lshl_b32 s0, -1, s49
	s_not_b32 s14, s0
	s_mov_b32 s31, 0
	s_waitcnt lgkmcnt(0)
	s_barrier
	s_waitcnt lgkmcnt(0)
	; wave barrier
	s_waitcnt vmcnt(6)
	v_xor_b32_e32 v3, 0x7f, v1
	v_lshrrev_b32_e32 v1, s48, v3
	v_and_b32_e32 v11, s14, v1
	v_and_b32_e32 v1, 1, v11
	v_add_co_u32_e32 v14, vcc, -1, v1
	v_lshlrev_b32_e32 v9, 30, v11
	v_addc_co_u32_e64 v15, s[0:1], 0, -1, vcc
	v_cmp_ne_u32_e32 vcc, 0, v1
	v_cmp_gt_i64_e64 s[0:1], 0, v[8:9]
	v_not_b32_e32 v17, v9
	v_lshlrev_b32_e32 v9, 29, v11
	s_waitcnt vmcnt(5)
	v_mad_u64_u32 v[0:1], s[2:3], v0, v13, v[2:3]
	v_xor_b32_e32 v1, vcc_hi, v15
	v_xor_b32_e32 v13, vcc_lo, v14
	v_ashrrev_i32_e32 v14, 31, v17
	v_cmp_gt_i64_e32 vcc, 0, v[8:9]
	v_not_b32_e32 v15, v9
	v_lshlrev_b32_e32 v9, 28, v11
	v_lshrrev_b32_e32 v20, 6, v0
	v_and_b32_e32 v0, exec_hi, v1
	v_and_b32_e32 v1, exec_lo, v13
	v_xor_b32_e32 v13, s1, v14
	v_xor_b32_e32 v14, s0, v14
	v_ashrrev_i32_e32 v15, 31, v15
	v_cmp_gt_i64_e64 s[0:1], 0, v[8:9]
	v_not_b32_e32 v17, v9
	v_lshlrev_b32_e32 v9, 27, v11
	v_and_b32_e32 v0, v0, v13
	v_and_b32_e32 v1, v1, v14
	v_xor_b32_e32 v13, vcc_hi, v15
	v_xor_b32_e32 v14, vcc_lo, v15
	v_ashrrev_i32_e32 v15, 31, v17
	v_cmp_gt_i64_e32 vcc, 0, v[8:9]
	v_not_b32_e32 v9, v9
	v_and_b32_e32 v0, v0, v13
	v_and_b32_e32 v1, v1, v14
	v_xor_b32_e32 v13, s1, v15
	v_xor_b32_e32 v14, s0, v15
	v_ashrrev_i32_e32 v9, 31, v9
	v_and_b32_e32 v0, v0, v13
	v_and_b32_e32 v1, v1, v14
	v_xor_b32_e32 v13, vcc_hi, v9
	v_xor_b32_e32 v9, vcc_lo, v9
	v_and_b32_e32 v1, v1, v9
	v_lshlrev_b32_e32 v9, 26, v11
	v_cmp_gt_i64_e32 vcc, 0, v[8:9]
	v_not_b32_e32 v9, v9
	v_ashrrev_i32_e32 v9, 31, v9
	v_and_b32_e32 v0, v0, v13
	v_xor_b32_e32 v13, vcc_hi, v9
	v_xor_b32_e32 v9, vcc_lo, v9
	v_and_b32_e32 v1, v1, v9
	v_lshlrev_b32_e32 v9, 25, v11
	v_cmp_gt_i64_e32 vcc, 0, v[8:9]
	v_not_b32_e32 v9, v9
	v_ashrrev_i32_e32 v9, 31, v9
	v_and_b32_e32 v0, v0, v13
	v_xor_b32_e32 v13, vcc_hi, v9
	v_xor_b32_e32 v9, vcc_lo, v9
	v_and_b32_e32 v0, v0, v13
	v_and_b32_e32 v13, v1, v9
	v_lshlrev_b32_e32 v9, 24, v11
	v_not_b32_e32 v1, v9
	v_cmp_gt_i64_e32 vcc, 0, v[8:9]
	v_ashrrev_i32_e32 v1, 31, v1
	v_mul_u32_u24_e32 v10, 9, v11
	v_xor_b32_e32 v9, vcc_hi, v1
	v_xor_b32_e32 v11, vcc_lo, v1
	v_and_b32_e32 v1, v0, v9
	v_and_b32_e32 v0, v13, v11
	v_mbcnt_lo_u32_b32 v9, v0, 0
	v_mbcnt_hi_u32_b32 v11, v1, v9
	v_cmp_eq_u32_e32 vcc, 0, v11
	v_cmp_ne_u64_e64 s[0:1], 0, v[0:1]
	v_add_lshl_u32 v10, v20, v10, 2
	s_and_b64 s[2:3], s[0:1], vcc
	s_and_saveexec_b64 s[0:1], s[2:3]
	s_cbranch_execz .LBB39_89
; %bb.88:
	v_bcnt_u32_b32 v0, v0, 0
	v_bcnt_u32_b32 v0, v1, v0
	ds_write_b32 v10, v0 offset:32
.LBB39_89:
	s_or_b64 exec, exec, s[0:1]
	s_waitcnt vmcnt(4)
	v_xor_b32_e32 v12, 0x7f, v12
	v_lshrrev_b32_sdwa v0, s48, v12 dst_sel:DWORD dst_unused:UNUSED_PAD src0_sel:DWORD src1_sel:BYTE_0
	v_and_b32_e32 v0, s14, v0
	v_mul_u32_u24_e32 v1, 9, v0
	v_add_lshl_u32 v14, v20, v1, 2
	v_and_b32_e32 v1, 1, v0
	v_add_co_u32_e32 v9, vcc, -1, v1
	v_addc_co_u32_e64 v15, s[0:1], 0, -1, vcc
	v_cmp_ne_u32_e32 vcc, 0, v1
	v_xor_b32_e32 v9, vcc_lo, v9
	v_xor_b32_e32 v1, vcc_hi, v15
	v_and_b32_e32 v15, exec_lo, v9
	v_lshlrev_b32_e32 v9, 30, v0
	v_cmp_gt_i64_e32 vcc, 0, v[8:9]
	v_not_b32_e32 v9, v9
	v_ashrrev_i32_e32 v9, 31, v9
	v_xor_b32_e32 v17, vcc_hi, v9
	v_xor_b32_e32 v9, vcc_lo, v9
	v_and_b32_e32 v15, v15, v9
	v_lshlrev_b32_e32 v9, 29, v0
	v_cmp_gt_i64_e32 vcc, 0, v[8:9]
	v_not_b32_e32 v9, v9
	v_and_b32_e32 v1, exec_hi, v1
	v_ashrrev_i32_e32 v9, 31, v9
	v_and_b32_e32 v1, v1, v17
	v_xor_b32_e32 v17, vcc_hi, v9
	v_xor_b32_e32 v9, vcc_lo, v9
	v_and_b32_e32 v15, v15, v9
	v_lshlrev_b32_e32 v9, 28, v0
	v_cmp_gt_i64_e32 vcc, 0, v[8:9]
	v_not_b32_e32 v9, v9
	v_ashrrev_i32_e32 v9, 31, v9
	v_and_b32_e32 v1, v1, v17
	v_xor_b32_e32 v17, vcc_hi, v9
	v_xor_b32_e32 v9, vcc_lo, v9
	v_and_b32_e32 v15, v15, v9
	v_lshlrev_b32_e32 v9, 27, v0
	v_cmp_gt_i64_e32 vcc, 0, v[8:9]
	v_not_b32_e32 v9, v9
	;; [unrolled: 8-line block ×4, first 2 shown]
	v_ashrrev_i32_e32 v9, 31, v9
	v_and_b32_e32 v1, v1, v17
	v_xor_b32_e32 v17, vcc_hi, v9
	v_xor_b32_e32 v9, vcc_lo, v9
	v_and_b32_e32 v15, v15, v9
	v_lshlrev_b32_e32 v9, 24, v0
	v_not_b32_e32 v0, v9
	v_cmp_gt_i64_e32 vcc, 0, v[8:9]
	v_ashrrev_i32_e32 v0, 31, v0
	v_xor_b32_e32 v8, vcc_hi, v0
	v_xor_b32_e32 v0, vcc_lo, v0
	; wave barrier
	ds_read_b32 v13, v14 offset:32
	v_and_b32_e32 v1, v1, v17
	v_and_b32_e32 v0, v15, v0
	;; [unrolled: 1-line block ×3, first 2 shown]
	v_mbcnt_lo_u32_b32 v8, v0, 0
	v_mbcnt_hi_u32_b32 v15, v1, v8
	v_cmp_eq_u32_e32 vcc, 0, v15
	v_cmp_ne_u64_e64 s[0:1], 0, v[0:1]
	s_and_b64 s[2:3], s[0:1], vcc
	; wave barrier
	s_and_saveexec_b64 s[0:1], s[2:3]
	s_cbranch_execz .LBB39_91
; %bb.90:
	v_bcnt_u32_b32 v0, v0, 0
	v_bcnt_u32_b32 v0, v1, v0
	s_waitcnt lgkmcnt(0)
	v_add_u32_e32 v0, v13, v0
	ds_write_b32 v14, v0 offset:32
.LBB39_91:
	s_or_b64 exec, exec, s[0:1]
	s_waitcnt vmcnt(3)
	v_xor_b32_e32 v16, 0x7f, v16
	v_lshrrev_b32_sdwa v0, s48, v16 dst_sel:DWORD dst_unused:UNUSED_PAD src0_sel:DWORD src1_sel:BYTE_0
	v_and_b32_e32 v8, s14, v0
	v_and_b32_e32 v1, 1, v8
	v_add_co_u32_e32 v9, vcc, -1, v1
	v_addc_co_u32_e64 v21, s[0:1], 0, -1, vcc
	v_cmp_ne_u32_e32 vcc, 0, v1
	v_mul_u32_u24_e32 v0, 9, v8
	v_xor_b32_e32 v1, vcc_hi, v21
	v_add_lshl_u32 v19, v20, v0, 2
	v_mov_b32_e32 v0, 0
	v_and_b32_e32 v21, exec_hi, v1
	v_lshlrev_b32_e32 v1, 30, v8
	v_xor_b32_e32 v9, vcc_lo, v9
	v_cmp_gt_i64_e32 vcc, 0, v[0:1]
	v_not_b32_e32 v1, v1
	v_ashrrev_i32_e32 v1, 31, v1
	v_and_b32_e32 v9, exec_lo, v9
	v_xor_b32_e32 v23, vcc_hi, v1
	v_xor_b32_e32 v1, vcc_lo, v1
	v_and_b32_e32 v9, v9, v1
	v_lshlrev_b32_e32 v1, 29, v8
	v_cmp_gt_i64_e32 vcc, 0, v[0:1]
	v_not_b32_e32 v1, v1
	v_ashrrev_i32_e32 v1, 31, v1
	v_and_b32_e32 v21, v21, v23
	v_xor_b32_e32 v23, vcc_hi, v1
	v_xor_b32_e32 v1, vcc_lo, v1
	v_and_b32_e32 v9, v9, v1
	v_lshlrev_b32_e32 v1, 28, v8
	v_cmp_gt_i64_e32 vcc, 0, v[0:1]
	v_not_b32_e32 v1, v1
	v_ashrrev_i32_e32 v1, 31, v1
	v_and_b32_e32 v21, v21, v23
	;; [unrolled: 8-line block ×5, first 2 shown]
	v_xor_b32_e32 v23, vcc_hi, v1
	v_xor_b32_e32 v1, vcc_lo, v1
	v_and_b32_e32 v21, v21, v23
	v_and_b32_e32 v23, v9, v1
	v_lshlrev_b32_e32 v1, 24, v8
	v_cmp_gt_i64_e32 vcc, 0, v[0:1]
	v_not_b32_e32 v1, v1
	v_ashrrev_i32_e32 v1, 31, v1
	v_xor_b32_e32 v8, vcc_hi, v1
	v_xor_b32_e32 v1, vcc_lo, v1
	; wave barrier
	ds_read_b32 v17, v19 offset:32
	v_and_b32_e32 v9, v21, v8
	v_and_b32_e32 v8, v23, v1
	v_mbcnt_lo_u32_b32 v1, v8, 0
	v_mbcnt_hi_u32_b32 v21, v9, v1
	v_cmp_eq_u32_e32 vcc, 0, v21
	v_cmp_ne_u64_e64 s[0:1], 0, v[8:9]
	s_and_b64 s[2:3], s[0:1], vcc
	; wave barrier
	s_and_saveexec_b64 s[0:1], s[2:3]
	s_cbranch_execz .LBB39_93
; %bb.92:
	v_bcnt_u32_b32 v1, v8, 0
	v_bcnt_u32_b32 v1, v9, v1
	s_waitcnt lgkmcnt(0)
	v_add_u32_e32 v1, v17, v1
	ds_write_b32 v19, v1 offset:32
.LBB39_93:
	s_or_b64 exec, exec, s[0:1]
	s_waitcnt vmcnt(2)
	v_xor_b32_e32 v22, 0x7f, v22
	v_lshrrev_b32_sdwa v1, s48, v22 dst_sel:DWORD dst_unused:UNUSED_PAD src0_sel:DWORD src1_sel:BYTE_0
	v_and_b32_e32 v8, s14, v1
	v_mul_u32_u24_e32 v1, 9, v8
	v_add_lshl_u32 v25, v20, v1, 2
	v_and_b32_e32 v1, 1, v8
	v_add_co_u32_e32 v9, vcc, -1, v1
	v_addc_co_u32_e64 v26, s[0:1], 0, -1, vcc
	v_cmp_ne_u32_e32 vcc, 0, v1
	v_xor_b32_e32 v1, vcc_hi, v26
	v_and_b32_e32 v26, exec_hi, v1
	v_lshlrev_b32_e32 v1, 30, v8
	v_xor_b32_e32 v9, vcc_lo, v9
	v_cmp_gt_i64_e32 vcc, 0, v[0:1]
	v_not_b32_e32 v1, v1
	v_ashrrev_i32_e32 v1, 31, v1
	v_and_b32_e32 v9, exec_lo, v9
	v_xor_b32_e32 v27, vcc_hi, v1
	v_xor_b32_e32 v1, vcc_lo, v1
	v_and_b32_e32 v9, v9, v1
	v_lshlrev_b32_e32 v1, 29, v8
	v_cmp_gt_i64_e32 vcc, 0, v[0:1]
	v_not_b32_e32 v1, v1
	v_ashrrev_i32_e32 v1, 31, v1
	v_and_b32_e32 v26, v26, v27
	v_xor_b32_e32 v27, vcc_hi, v1
	v_xor_b32_e32 v1, vcc_lo, v1
	v_and_b32_e32 v9, v9, v1
	v_lshlrev_b32_e32 v1, 28, v8
	v_cmp_gt_i64_e32 vcc, 0, v[0:1]
	v_not_b32_e32 v1, v1
	v_ashrrev_i32_e32 v1, 31, v1
	v_and_b32_e32 v26, v26, v27
	;; [unrolled: 8-line block ×5, first 2 shown]
	v_xor_b32_e32 v27, vcc_hi, v1
	v_xor_b32_e32 v1, vcc_lo, v1
	v_and_b32_e32 v9, v9, v1
	v_lshlrev_b32_e32 v1, 24, v8
	v_cmp_gt_i64_e32 vcc, 0, v[0:1]
	v_not_b32_e32 v0, v1
	v_ashrrev_i32_e32 v0, 31, v0
	v_xor_b32_e32 v1, vcc_hi, v0
	v_xor_b32_e32 v0, vcc_lo, v0
	; wave barrier
	ds_read_b32 v23, v25 offset:32
	v_and_b32_e32 v26, v26, v27
	v_and_b32_e32 v0, v9, v0
	;; [unrolled: 1-line block ×3, first 2 shown]
	v_mbcnt_lo_u32_b32 v8, v0, 0
	v_mbcnt_hi_u32_b32 v26, v1, v8
	v_cmp_eq_u32_e32 vcc, 0, v26
	v_cmp_ne_u64_e64 s[0:1], 0, v[0:1]
	s_and_b64 s[2:3], s[0:1], vcc
	; wave barrier
	s_and_saveexec_b64 s[0:1], s[2:3]
	s_cbranch_execz .LBB39_95
; %bb.94:
	v_bcnt_u32_b32 v0, v0, 0
	v_bcnt_u32_b32 v0, v1, v0
	s_waitcnt lgkmcnt(0)
	v_add_u32_e32 v0, v23, v0
	ds_write_b32 v25, v0 offset:32
.LBB39_95:
	s_or_b64 exec, exec, s[0:1]
	s_waitcnt vmcnt(1)
	v_xor_b32_e32 v24, 0x7f, v24
	v_lshrrev_b32_sdwa v0, s48, v24 dst_sel:DWORD dst_unused:UNUSED_PAD src0_sel:DWORD src1_sel:BYTE_0
	v_and_b32_e32 v8, s14, v0
	v_and_b32_e32 v1, 1, v8
	v_add_co_u32_e32 v9, vcc, -1, v1
	v_addc_co_u32_e64 v29, s[0:1], 0, -1, vcc
	v_cmp_ne_u32_e32 vcc, 0, v1
	v_mul_u32_u24_e32 v0, 9, v8
	v_xor_b32_e32 v1, vcc_hi, v29
	v_add_lshl_u32 v28, v20, v0, 2
	v_mov_b32_e32 v0, 0
	v_and_b32_e32 v29, exec_hi, v1
	v_lshlrev_b32_e32 v1, 30, v8
	v_xor_b32_e32 v9, vcc_lo, v9
	v_cmp_gt_i64_e32 vcc, 0, v[0:1]
	v_not_b32_e32 v1, v1
	v_ashrrev_i32_e32 v1, 31, v1
	v_and_b32_e32 v9, exec_lo, v9
	v_xor_b32_e32 v30, vcc_hi, v1
	v_xor_b32_e32 v1, vcc_lo, v1
	v_and_b32_e32 v9, v9, v1
	v_lshlrev_b32_e32 v1, 29, v8
	v_cmp_gt_i64_e32 vcc, 0, v[0:1]
	v_not_b32_e32 v1, v1
	v_ashrrev_i32_e32 v1, 31, v1
	v_and_b32_e32 v29, v29, v30
	v_xor_b32_e32 v30, vcc_hi, v1
	v_xor_b32_e32 v1, vcc_lo, v1
	v_and_b32_e32 v9, v9, v1
	v_lshlrev_b32_e32 v1, 28, v8
	v_cmp_gt_i64_e32 vcc, 0, v[0:1]
	v_not_b32_e32 v1, v1
	v_ashrrev_i32_e32 v1, 31, v1
	v_and_b32_e32 v29, v29, v30
	;; [unrolled: 8-line block ×5, first 2 shown]
	v_xor_b32_e32 v30, vcc_hi, v1
	v_xor_b32_e32 v1, vcc_lo, v1
	v_and_b32_e32 v29, v29, v30
	v_and_b32_e32 v30, v9, v1
	v_lshlrev_b32_e32 v1, 24, v8
	v_cmp_gt_i64_e32 vcc, 0, v[0:1]
	v_not_b32_e32 v1, v1
	v_ashrrev_i32_e32 v1, 31, v1
	v_xor_b32_e32 v8, vcc_hi, v1
	v_xor_b32_e32 v1, vcc_lo, v1
	; wave barrier
	ds_read_b32 v27, v28 offset:32
	v_and_b32_e32 v9, v29, v8
	v_and_b32_e32 v8, v30, v1
	v_mbcnt_lo_u32_b32 v1, v8, 0
	v_mbcnt_hi_u32_b32 v29, v9, v1
	v_cmp_eq_u32_e32 vcc, 0, v29
	v_cmp_ne_u64_e64 s[0:1], 0, v[8:9]
	s_and_b64 s[2:3], s[0:1], vcc
	; wave barrier
	s_and_saveexec_b64 s[0:1], s[2:3]
	s_cbranch_execz .LBB39_97
; %bb.96:
	v_bcnt_u32_b32 v1, v8, 0
	v_bcnt_u32_b32 v1, v9, v1
	s_waitcnt lgkmcnt(0)
	v_add_u32_e32 v1, v27, v1
	ds_write_b32 v28, v1 offset:32
.LBB39_97:
	s_or_b64 exec, exec, s[0:1]
	s_waitcnt vmcnt(0)
	v_xor_b32_e32 v30, 0x7f, v18
	v_lshrrev_b32_sdwa v1, s48, v30 dst_sel:DWORD dst_unused:UNUSED_PAD src0_sel:DWORD src1_sel:BYTE_0
	v_and_b32_e32 v8, s14, v1
	v_mul_u32_u24_e32 v1, 9, v8
	v_add_lshl_u32 v18, v20, v1, 2
	v_and_b32_e32 v1, 1, v8
	v_add_co_u32_e32 v9, vcc, -1, v1
	v_addc_co_u32_e64 v32, s[0:1], 0, -1, vcc
	v_cmp_ne_u32_e32 vcc, 0, v1
	v_xor_b32_e32 v1, vcc_hi, v32
	v_and_b32_e32 v32, exec_hi, v1
	v_lshlrev_b32_e32 v1, 30, v8
	v_xor_b32_e32 v9, vcc_lo, v9
	v_cmp_gt_i64_e32 vcc, 0, v[0:1]
	v_not_b32_e32 v1, v1
	v_ashrrev_i32_e32 v1, 31, v1
	v_and_b32_e32 v9, exec_lo, v9
	v_xor_b32_e32 v33, vcc_hi, v1
	v_xor_b32_e32 v1, vcc_lo, v1
	v_and_b32_e32 v9, v9, v1
	v_lshlrev_b32_e32 v1, 29, v8
	v_cmp_gt_i64_e32 vcc, 0, v[0:1]
	v_not_b32_e32 v1, v1
	v_ashrrev_i32_e32 v1, 31, v1
	v_and_b32_e32 v32, v32, v33
	v_xor_b32_e32 v33, vcc_hi, v1
	v_xor_b32_e32 v1, vcc_lo, v1
	v_and_b32_e32 v9, v9, v1
	v_lshlrev_b32_e32 v1, 28, v8
	v_cmp_gt_i64_e32 vcc, 0, v[0:1]
	v_not_b32_e32 v1, v1
	v_ashrrev_i32_e32 v1, 31, v1
	v_and_b32_e32 v32, v32, v33
	;; [unrolled: 8-line block ×5, first 2 shown]
	v_xor_b32_e32 v33, vcc_hi, v1
	v_xor_b32_e32 v1, vcc_lo, v1
	v_and_b32_e32 v9, v9, v1
	v_lshlrev_b32_e32 v1, 24, v8
	v_cmp_gt_i64_e32 vcc, 0, v[0:1]
	v_not_b32_e32 v0, v1
	v_ashrrev_i32_e32 v0, 31, v0
	v_xor_b32_e32 v1, vcc_hi, v0
	v_xor_b32_e32 v0, vcc_lo, v0
	; wave barrier
	ds_read_b32 v20, v18 offset:32
	v_and_b32_e32 v32, v32, v33
	v_and_b32_e32 v0, v9, v0
	;; [unrolled: 1-line block ×3, first 2 shown]
	v_mbcnt_lo_u32_b32 v8, v0, 0
	v_mbcnt_hi_u32_b32 v32, v1, v8
	v_cmp_eq_u32_e32 vcc, 0, v32
	v_cmp_ne_u64_e64 s[0:1], 0, v[0:1]
	v_add_u32_e32 v31, 32, v5
	s_and_b64 s[2:3], s[0:1], vcc
	; wave barrier
	s_and_saveexec_b64 s[0:1], s[2:3]
	s_cbranch_execz .LBB39_99
; %bb.98:
	v_bcnt_u32_b32 v0, v0, 0
	v_bcnt_u32_b32 v0, v1, v0
	s_waitcnt lgkmcnt(0)
	v_add_u32_e32 v0, v20, v0
	ds_write_b32 v18, v0 offset:32
.LBB39_99:
	s_or_b64 exec, exec, s[0:1]
	; wave barrier
	s_waitcnt lgkmcnt(0)
	s_barrier
	ds_read2_b32 v[8:9], v5 offset0:8 offset1:9
	ds_read2_b32 v[0:1], v31 offset0:2 offset1:3
	ds_read_b32 v33, v31 offset:16
	v_min_u32_e32 v7, 0x1c0, v7
	v_or_b32_e32 v7, 63, v7
	s_waitcnt lgkmcnt(1)
	v_add3_u32 v34, v9, v8, v0
	s_waitcnt lgkmcnt(0)
	v_add3_u32 v33, v34, v1, v33
	v_and_b32_e32 v34, 15, v6
	v_cmp_ne_u32_e32 vcc, 0, v34
	v_mov_b32_dpp v35, v33 row_shr:1 row_mask:0xf bank_mask:0xf
	v_cndmask_b32_e32 v35, 0, v35, vcc
	v_add_u32_e32 v33, v35, v33
	v_cmp_lt_u32_e32 vcc, 1, v34
	s_nop 0
	v_mov_b32_dpp v35, v33 row_shr:2 row_mask:0xf bank_mask:0xf
	v_cndmask_b32_e32 v35, 0, v35, vcc
	v_add_u32_e32 v33, v33, v35
	v_cmp_lt_u32_e32 vcc, 3, v34
	s_nop 0
	;; [unrolled: 5-line block ×3, first 2 shown]
	v_mov_b32_dpp v35, v33 row_shr:8 row_mask:0xf bank_mask:0xf
	v_cndmask_b32_e32 v34, 0, v35, vcc
	v_add_u32_e32 v33, v33, v34
	v_bfe_i32 v35, v6, 4, 1
	v_cmp_lt_u32_e32 vcc, 31, v6
	v_mov_b32_dpp v34, v33 row_bcast:15 row_mask:0xf bank_mask:0xf
	v_and_b32_e32 v34, v35, v34
	v_add_u32_e32 v33, v33, v34
	s_nop 1
	v_mov_b32_dpp v34, v33 row_bcast:31 row_mask:0xf bank_mask:0xf
	v_cndmask_b32_e32 v34, 0, v34, vcc
	v_add_u32_e32 v33, v33, v34
	v_lshrrev_b32_e32 v34, 6, v2
	v_cmp_eq_u32_e32 vcc, v7, v2
	s_and_saveexec_b64 s[0:1], vcc
	s_cbranch_execz .LBB39_101
; %bb.100:
	v_lshlrev_b32_e32 v7, 2, v34
	ds_write_b32 v7, v33
.LBB39_101:
	s_or_b64 exec, exec, s[0:1]
	v_cmp_gt_u32_e32 vcc, 8, v2
	s_waitcnt lgkmcnt(0)
	s_barrier
	s_and_saveexec_b64 s[0:1], vcc
	s_cbranch_execz .LBB39_103
; %bb.102:
	v_lshlrev_b32_e32 v7, 2, v2
	ds_read_b32 v35, v7
	v_and_b32_e32 v36, 7, v6
	v_cmp_ne_u32_e32 vcc, 0, v36
	s_waitcnt lgkmcnt(0)
	v_mov_b32_dpp v37, v35 row_shr:1 row_mask:0xf bank_mask:0xf
	v_cndmask_b32_e32 v37, 0, v37, vcc
	v_add_u32_e32 v35, v37, v35
	v_cmp_lt_u32_e32 vcc, 1, v36
	s_nop 0
	v_mov_b32_dpp v37, v35 row_shr:2 row_mask:0xf bank_mask:0xf
	v_cndmask_b32_e32 v37, 0, v37, vcc
	v_add_u32_e32 v35, v35, v37
	v_cmp_lt_u32_e32 vcc, 3, v36
	s_nop 0
	v_mov_b32_dpp v37, v35 row_shr:4 row_mask:0xf bank_mask:0xf
	v_cndmask_b32_e32 v36, 0, v37, vcc
	v_add_u32_e32 v35, v35, v36
	ds_write_b32 v7, v35
.LBB39_103:
	s_or_b64 exec, exec, s[0:1]
	v_cmp_lt_u32_e32 vcc, 63, v2
	v_mov_b32_e32 v7, 0
	s_waitcnt lgkmcnt(0)
	s_barrier
	s_and_saveexec_b64 s[0:1], vcc
	s_cbranch_execz .LBB39_105
; %bb.104:
	v_lshl_add_u32 v7, v34, 2, -4
	ds_read_b32 v7, v7
.LBB39_105:
	s_or_b64 exec, exec, s[0:1]
	v_add_u32_e32 v34, -1, v6
	v_and_b32_e32 v35, 64, v6
	v_cmp_lt_i32_e32 vcc, v34, v35
	v_cndmask_b32_e32 v34, v34, v6, vcc
	s_waitcnt lgkmcnt(0)
	v_add_u32_e32 v33, v7, v33
	v_lshlrev_b32_e32 v34, 2, v34
	ds_bpermute_b32 v33, v34, v33
	v_cmp_eq_u32_e32 vcc, 0, v6
	s_movk_i32 s2, 0xff
	s_movk_i32 s3, 0x100
	v_cmp_lt_u32_e64 s[0:1], s2, v2
	s_waitcnt lgkmcnt(0)
	v_cndmask_b32_e32 v7, v33, v7, vcc
	v_cmp_ne_u32_e32 vcc, 0, v2
	v_cndmask_b32_e32 v7, 0, v7, vcc
	v_add_u32_e32 v8, v7, v8
	v_add_u32_e32 v9, v8, v9
	;; [unrolled: 1-line block ×4, first 2 shown]
	ds_write2_b32 v5, v7, v8 offset0:8 offset1:9
	ds_write2_b32 v31, v9, v0 offset0:2 offset1:3
	ds_write_b32 v31, v1 offset:16
	s_waitcnt lgkmcnt(0)
	s_barrier
	ds_read_b32 v5, v10 offset:32
	ds_read_b32 v8, v14 offset:32
	;; [unrolled: 1-line block ×6, first 2 shown]
	v_cmp_gt_u32_e32 vcc, s3, v2
	v_pk_mov_b32 v[0:1], 0, 0
                                        ; implicit-def: $vgpr7
	s_and_saveexec_b64 s[4:5], vcc
	s_cbranch_execz .LBB39_109
; %bb.106:
	v_mul_u32_u24_e32 v0, 9, v2
	v_lshlrev_b32_e32 v7, 2, v0
	ds_read_b32 v0, v7 offset:32
	v_cmp_ne_u32_e64 s[2:3], s2, v2
	v_mov_b32_e32 v1, 0xc00
	s_and_saveexec_b64 s[10:11], s[2:3]
	s_cbranch_execz .LBB39_108
; %bb.107:
	ds_read_b32 v1, v7 offset:68
.LBB39_108:
	s_or_b64 exec, exec, s[10:11]
	s_waitcnt lgkmcnt(0)
	v_sub_u32_e32 v7, v1, v0
	v_mov_b32_e32 v1, 0
.LBB39_109:
	s_or_b64 exec, exec, s[4:5]
	s_waitcnt lgkmcnt(5)
	v_add_u32_e32 v19, v5, v11
	s_waitcnt lgkmcnt(4)
	v_add3_u32 v18, v15, v13, v8
	s_waitcnt lgkmcnt(3)
	v_add3_u32 v17, v21, v17, v9
	;; [unrolled: 2-line block ×5, first 2 shown]
	s_barrier
	ds_write_b8 v19, v3 offset:2048
	ds_write_b8 v18, v12 offset:2048
	;; [unrolled: 1-line block ×6, first 2 shown]
	s_waitcnt lgkmcnt(0)
	s_barrier
	s_and_saveexec_b64 s[2:3], s[0:1]
	s_xor_b64 s[0:1], exec, s[2:3]
; %bb.110:
	v_mov_b32_e32 v3, 0
; %bb.111:
	s_andn2_saveexec_b64 s[2:3], s[0:1]
	s_cbranch_execz .LBB39_121
; %bb.112:
	v_lshl_or_b32 v8, s6, 8, v2
	v_mov_b32_e32 v9, 0
	v_lshlrev_b64 v[10:11], 2, v[8:9]
	v_mov_b32_e32 v3, s35
	v_add_co_u32_e64 v10, s[0:1], s34, v10
	v_addc_co_u32_e64 v11, s[0:1], v3, v11, s[0:1]
	v_or_b32_e32 v8, 2.0, v7
	s_mov_b64 s[4:5], 0
	s_brev_b32 s15, 1
	s_mov_b32 s16, s6
	v_mov_b32_e32 v16, 0
	global_store_dword v[10:11], v8, off
                                        ; implicit-def: $sgpr0_sgpr1
	s_branch .LBB39_115
.LBB39_113:                             ;   in Loop: Header=BB39_115 Depth=1
	s_or_b64 exec, exec, s[12:13]
.LBB39_114:                             ;   in Loop: Header=BB39_115 Depth=1
	s_or_b64 exec, exec, s[10:11]
	v_and_b32_e32 v12, 0x3fffffff, v20
	v_add_u32_e32 v16, v12, v16
	v_cmp_eq_u32_e64 s[0:1], s15, v8
	s_and_b64 s[10:11], exec, s[0:1]
	s_or_b64 s[4:5], s[10:11], s[4:5]
	s_andn2_b64 exec, exec, s[4:5]
	s_cbranch_execz .LBB39_120
.LBB39_115:                             ; =>This Loop Header: Depth=1
                                        ;     Child Loop BB39_118 Depth 2
	s_or_b64 s[0:1], s[0:1], exec
	s_cmp_eq_u32 s16, 0
	s_cbranch_scc1 .LBB39_119
; %bb.116:                              ;   in Loop: Header=BB39_115 Depth=1
	s_add_i32 s16, s16, -1
	v_lshl_or_b32 v8, s16, 8, v2
	v_lshlrev_b64 v[12:13], 2, v[8:9]
	v_add_co_u32_e64 v12, s[0:1], s34, v12
	v_addc_co_u32_e64 v13, s[0:1], v3, v13, s[0:1]
	global_load_dword v20, v[12:13], off glc
	s_waitcnt vmcnt(0)
	v_and_b32_e32 v8, -2.0, v20
	v_cmp_eq_u32_e64 s[0:1], 0, v8
	s_and_saveexec_b64 s[10:11], s[0:1]
	s_cbranch_execz .LBB39_114
; %bb.117:                              ;   in Loop: Header=BB39_115 Depth=1
	s_mov_b64 s[12:13], 0
.LBB39_118:                             ;   Parent Loop BB39_115 Depth=1
                                        ; =>  This Inner Loop Header: Depth=2
	global_load_dword v20, v[12:13], off glc
	s_waitcnt vmcnt(0)
	v_and_b32_e32 v8, -2.0, v20
	v_cmp_ne_u32_e64 s[0:1], 0, v8
	s_or_b64 s[12:13], s[0:1], s[12:13]
	s_andn2_b64 exec, exec, s[12:13]
	s_cbranch_execnz .LBB39_118
	s_branch .LBB39_113
.LBB39_119:                             ;   in Loop: Header=BB39_115 Depth=1
                                        ; implicit-def: $sgpr16
	s_and_b64 s[10:11], exec, s[0:1]
	s_or_b64 s[4:5], s[10:11], s[4:5]
	s_andn2_b64 exec, exec, s[4:5]
	s_cbranch_execnz .LBB39_115
.LBB39_120:
	s_or_b64 exec, exec, s[4:5]
	v_add_u32_e32 v3, v16, v7
	v_or_b32_e32 v3, 0x80000000, v3
	global_store_dword v[10:11], v3, off
	v_lshlrev_b32_e32 v10, 3, v2
	global_load_dwordx2 v[8:9], v10, s[44:45]
	v_sub_co_u32_e64 v11, s[0:1], v16, v0
	v_subb_co_u32_e64 v12, s[0:1], 0, v1, s[0:1]
	v_mov_b32_e32 v3, 0
	s_waitcnt vmcnt(0)
	v_add_co_u32_e64 v8, s[0:1], v11, v8
	v_addc_co_u32_e64 v9, s[0:1], v12, v9, s[0:1]
	ds_write_b64 v10, v[8:9]
.LBB39_121:
	s_or_b64 exec, exec, s[2:3]
	s_waitcnt lgkmcnt(0)
	s_barrier
	ds_read_u8 v16, v2 offset:4096
	ds_read_u8 v26, v2 offset:3072
	;; [unrolled: 1-line block ×5, first 2 shown]
	s_waitcnt lgkmcnt(4)
	v_lshrrev_b32_sdwa v8, s48, v16 dst_sel:DWORD dst_unused:UNUSED_PAD src0_sel:DWORD src1_sel:BYTE_0
	v_and_b32_e32 v8, s14, v8
	v_lshlrev_b32_e32 v30, 3, v8
	ds_read_b64 v[8:9], v30
	ds_read_u8 v12, v2 offset:2048
	s_waitcnt lgkmcnt(2)
	v_lshrrev_b32_sdwa v10, s48, v29 dst_sel:DWORD dst_unused:UNUSED_PAD src0_sel:DWORD src1_sel:BYTE_0
	v_and_b32_e32 v10, s14, v10
	v_lshlrev_b32_e32 v31, 3, v10
	ds_read_b64 v[10:11], v31
	s_waitcnt lgkmcnt(1)
	v_lshrrev_b32_sdwa v13, s48, v12 dst_sel:DWORD dst_unused:UNUSED_PAD src0_sel:DWORD src1_sel:BYTE_0
	v_xor_b32_e32 v32, 0x7f, v12
	v_lshrrev_b32_sdwa v12, s48, v28 dst_sel:DWORD dst_unused:UNUSED_PAD src0_sel:DWORD src1_sel:BYTE_0
	v_and_b32_e32 v12, s14, v12
	v_lshlrev_b32_e32 v35, 3, v12
	v_lshrrev_b32_sdwa v12, s48, v26 dst_sel:DWORD dst_unused:UNUSED_PAD src0_sel:DWORD src1_sel:BYTE_0
	v_and_b32_e32 v12, s14, v12
	v_and_b32_e32 v13, s14, v13
	v_lshlrev_b32_e32 v36, 3, v12
	v_lshrrev_b32_sdwa v12, s48, v27 dst_sel:DWORD dst_unused:UNUSED_PAD src0_sel:DWORD src1_sel:BYTE_0
	v_lshlrev_b32_e32 v33, 3, v13
	v_and_b32_e32 v12, s14, v12
	v_lshlrev_b32_e32 v37, 3, v12
	ds_read_b64 v[12:13], v33
	ds_read_b64 v[20:21], v35
	;; [unrolled: 1-line block ×4, first 2 shown]
	v_mov_b32_e32 v34, s39
	s_waitcnt lgkmcnt(3)
	v_add_co_u32_e64 v12, s[0:1], s38, v12
	v_addc_co_u32_e64 v13, s[0:1], v34, v13, s[0:1]
	v_add_co_u32_e64 v12, s[0:1], v12, v2
	v_addc_co_u32_e64 v13, s[0:1], v13, v3, s[0:1]
	global_store_byte v[12:13], v32, off
	v_mov_b32_e32 v12, s39
	s_waitcnt lgkmcnt(2)
	v_add_co_u32_e64 v13, s[0:1], s38, v20
	v_addc_co_u32_e64 v20, s[0:1], v12, v21, s[0:1]
	v_add_co_u32_e64 v12, s[0:1], v13, v2
	v_xor_b32_e32 v28, 0x7f, v28
	v_addc_co_u32_e64 v13, s[0:1], v20, v3, s[0:1]
	global_store_byte v[12:13], v28, off offset:512
	v_mov_b32_e32 v12, s39
	s_waitcnt lgkmcnt(1)
	v_add_co_u32_e64 v13, s[0:1], s38, v22
	v_addc_co_u32_e64 v21, s[0:1], v12, v23, s[0:1]
	v_add_co_u32_e64 v12, s[0:1], v13, v2
	v_xor_b32_e32 v20, 0x7f, v26
	v_addc_co_u32_e64 v13, s[0:1], v21, v3, s[0:1]
	global_store_byte v[12:13], v20, off offset:1024
	;; [unrolled: 8-line block ×3, first 2 shown]
	v_mov_b32_e32 v13, s39
	v_add_co_u32_e64 v8, s[0:1], s38, v8
	v_addc_co_u32_e64 v9, s[0:1], v13, v9, s[0:1]
	v_add_co_u32_e64 v8, s[0:1], v8, v2
	v_xor_b32_e32 v12, 0x7f, v16
	v_addc_co_u32_e64 v9, s[0:1], v9, v3, s[0:1]
	global_store_byte v[8:9], v12, off offset:2048
	v_mov_b32_e32 v8, s39
	v_add_co_u32_e64 v9, s[0:1], s38, v10
	v_addc_co_u32_e64 v10, s[0:1], v8, v11, s[0:1]
	v_add_co_u32_e64 v8, s[0:1], v9, v2
	v_addc_co_u32_e64 v9, s[0:1], v10, v3, s[0:1]
	s_lshl_b64 s[0:1], s[30:31], 3
	s_add_u32 s0, s40, s0
	v_xor_b32_e32 v12, 0x7f, v29
	s_addc_u32 s1, s41, s1
	v_lshlrev_b32_e32 v6, 3, v6
	global_store_byte v[8:9], v12, off offset:2560
	v_mov_b32_e32 v8, s1
	v_add_co_u32_e64 v6, s[0:1], s0, v6
	v_addc_co_u32_e64 v9, s[0:1], 0, v8, s[0:1]
	v_lshlrev_b32_e32 v4, 3, v4
	v_add_co_u32_e64 v8, s[0:1], v6, v4
	v_addc_co_u32_e64 v9, s[0:1], 0, v9, s[0:1]
	global_load_dwordx2 v[10:11], v[8:9], off
	global_load_dwordx2 v[12:13], v[8:9], off offset:512
	global_load_dwordx2 v[20:21], v[8:9], off offset:1024
	;; [unrolled: 1-line block ×5, first 2 shown]
	v_lshlrev_b32_e32 v4, 3, v19
	s_barrier
	v_mov_b32_e32 v9, s43
	v_lshlrev_b32_e32 v8, 3, v2
	v_or_b32_e32 v6, 0x800, v2
	v_mad_u32_u24 v6, v2, 7, v6
	v_lshlrev_b32_e32 v28, 3, v2
	s_add_i32 s7, s7, -1
	s_cmp_eq_u32 s6, s7
	s_waitcnt vmcnt(5)
	ds_write_b64 v4, v[10:11] offset:2048
	v_lshlrev_b32_e32 v4, 3, v18
	s_waitcnt vmcnt(4)
	ds_write_b64 v4, v[12:13] offset:2048
	v_lshlrev_b32_e32 v4, 3, v17
	;; [unrolled: 3-line block ×5, first 2 shown]
	s_waitcnt vmcnt(0)
	ds_write_b64 v4, v[26:27] offset:2048
	s_waitcnt lgkmcnt(0)
	s_barrier
	ds_read_b64 v[4:5], v33
	ds_read_b64 v[12:13], v35
	;; [unrolled: 1-line block ×4, first 2 shown]
	s_waitcnt lgkmcnt(3)
	v_lshlrev_b64 v[4:5], 3, v[4:5]
	v_add_co_u32_e64 v10, s[0:1], s42, v4
	v_addc_co_u32_e64 v9, s[0:1], v9, v5, s[0:1]
	v_lshlrev_b64 v[4:5], 3, v[2:3]
	v_add_co_u32_e64 v4, s[0:1], v10, v4
	v_addc_co_u32_e64 v5, s[0:1], v9, v5, s[0:1]
	ds_read_b64 v[8:9], v8 offset:2048
	ds_read_b64 v[18:19], v30
	ds_read_b64 v[20:21], v6 offset:20480
	ds_read_b64 v[22:23], v31
	s_waitcnt lgkmcnt(3)
	global_store_dwordx2 v[4:5], v[8:9], off
	ds_read2st64_b64 v[8:11], v6 offset0:8 offset1:16
	v_lshlrev_b64 v[4:5], 3, v[12:13]
	v_mov_b32_e32 v12, s43
	v_add_co_u32_e64 v4, s[0:1], s42, v4
	v_addc_co_u32_e64 v5, s[0:1], v12, v5, s[0:1]
	v_add_u32_e32 v12, 0x1000, v28
	v_add_co_u32_e64 v4, s[0:1], v4, v12
	v_addc_co_u32_e64 v5, s[0:1], 0, v5, s[0:1]
	s_waitcnt lgkmcnt(0)
	global_store_dwordx2 v[4:5], v[8:9], off
	v_lshlrev_b64 v[4:5], 3, v[14:15]
	v_mov_b32_e32 v8, s43
	v_add_co_u32_e64 v4, s[0:1], s42, v4
	v_addc_co_u32_e64 v5, s[0:1], v8, v5, s[0:1]
	v_or_b32_e32 v8, 0x2000, v28
	v_add_co_u32_e64 v4, s[0:1], v4, v8
	v_addc_co_u32_e64 v5, s[0:1], 0, v5, s[0:1]
	global_store_dwordx2 v[4:5], v[10:11], off
	ds_read2st64_b64 v[8:11], v6 offset0:24 offset1:32
	v_lshlrev_b64 v[4:5], 3, v[16:17]
	v_mov_b32_e32 v6, s43
	v_add_co_u32_e64 v4, s[0:1], s42, v4
	v_addc_co_u32_e64 v5, s[0:1], v6, v5, s[0:1]
	v_add_u32_e32 v6, 0x3000, v28
	v_add_co_u32_e64 v4, s[0:1], v4, v6
	v_addc_co_u32_e64 v5, s[0:1], 0, v5, s[0:1]
	s_waitcnt lgkmcnt(0)
	global_store_dwordx2 v[4:5], v[8:9], off
	v_lshlrev_b64 v[4:5], 3, v[18:19]
	v_mov_b32_e32 v6, s43
	v_add_co_u32_e64 v4, s[0:1], s42, v4
	v_addc_co_u32_e64 v5, s[0:1], v6, v5, s[0:1]
	v_or_b32_e32 v6, 0x4000, v28
	v_add_co_u32_e64 v4, s[0:1], v4, v6
	v_addc_co_u32_e64 v5, s[0:1], 0, v5, s[0:1]
	global_store_dwordx2 v[4:5], v[10:11], off
	v_lshlrev_b64 v[4:5], 3, v[22:23]
	v_mov_b32_e32 v6, s43
	v_add_co_u32_e64 v4, s[0:1], s42, v4
	v_addc_co_u32_e64 v5, s[0:1], v6, v5, s[0:1]
	v_add_u32_e32 v6, 0x5000, v28
	v_add_co_u32_e64 v4, s[0:1], v4, v6
	v_addc_co_u32_e64 v5, s[0:1], 0, v5, s[0:1]
	s_cselect_b64 s[0:1], -1, 0
	s_and_b64 s[2:3], vcc, s[0:1]
	global_store_dwordx2 v[4:5], v[20:21], off
                                        ; implicit-def: $vgpr4_vgpr5
	s_and_saveexec_b64 s[0:1], s[2:3]
; %bb.122:
	v_add_co_u32_e32 v4, vcc, v0, v7
	v_addc_co_u32_e32 v5, vcc, 0, v1, vcc
	s_or_b64 s[8:9], s[8:9], exec
; %bb.123:
	s_or_b64 exec, exec, s[0:1]
.LBB39_124:
	s_and_saveexec_b64 s[0:1], s[8:9]
	s_cbranch_execnz .LBB39_126
; %bb.125:
	s_endpgm
.LBB39_126:
	v_lshlrev_b32_e32 v6, 3, v2
	v_lshlrev_b64 v[0:1], 3, v[2:3]
	ds_read_b64 v[2:3], v6
	v_mov_b32_e32 v7, s47
	v_add_co_u32_e32 v0, vcc, s46, v0
	v_addc_co_u32_e32 v1, vcc, v7, v1, vcc
	s_waitcnt lgkmcnt(0)
	v_add_co_u32_e32 v2, vcc, v2, v4
	v_addc_co_u32_e32 v3, vcc, v3, v5, vcc
	global_store_dwordx2 v[0:1], v[2:3], off
	s_endpgm
.LBB39_127:
	global_load_dwordx2 v[4:5], v[18:19], off
	s_or_b64 exec, exec, s[28:29]
                                        ; implicit-def: $vgpr6_vgpr7
	s_and_saveexec_b64 s[28:29], s[0:1]
	s_cbranch_execz .LBB39_59
.LBB39_128:
	global_load_dwordx2 v[6:7], v[18:19], off offset:512
	s_or_b64 exec, exec, s[28:29]
                                        ; implicit-def: $vgpr10_vgpr11
	s_and_saveexec_b64 s[0:1], s[2:3]
	s_cbranch_execz .LBB39_60
.LBB39_129:
	global_load_dwordx2 v[10:11], v[18:19], off offset:1024
	s_or_b64 exec, exec, s[0:1]
                                        ; implicit-def: $vgpr12_vgpr13
	s_and_saveexec_b64 s[0:1], s[26:27]
	s_cbranch_execz .LBB39_61
.LBB39_130:
	global_load_dwordx2 v[12:13], v[18:19], off offset:1536
	s_or_b64 exec, exec, s[0:1]
                                        ; implicit-def: $vgpr14_vgpr15
	s_and_saveexec_b64 s[0:1], s[8:9]
	s_cbranch_execz .LBB39_62
.LBB39_131:
	global_load_dwordx2 v[14:15], v[18:19], off offset:2048
	s_or_b64 exec, exec, s[0:1]
                                        ; implicit-def: $vgpr16_vgpr17
	s_and_saveexec_b64 s[0:1], s[10:11]
	s_cbranch_execnz .LBB39_63
	s_branch .LBB39_64
.LBB39_132:
	v_lshlrev_b32_e32 v4, 3, v34
	ds_read_b64 v[4:5], v4
	ds_read_b64 v[6:7], v3 offset:2048
	v_mov_b32_e32 v10, s43
	s_waitcnt lgkmcnt(1)
	v_lshlrev_b64 v[4:5], 3, v[4:5]
	v_add_co_u32_e32 v4, vcc, s42, v4
	v_addc_co_u32_e32 v5, vcc, v10, v5, vcc
	v_add_co_u32_e32 v4, vcc, v4, v3
	v_addc_co_u32_e32 v5, vcc, 0, v5, vcc
	s_waitcnt lgkmcnt(0)
	global_store_dwordx2 v[4:5], v[6:7], off
	s_or_b64 exec, exec, s[0:1]
	s_and_saveexec_b64 s[0:1], s[16:17]
	s_cbranch_execz .LBB39_78
.LBB39_133:
	v_lshlrev_b32_e32 v4, 3, v32
	ds_read_b64 v[4:5], v4
	ds_read_b64 v[6:7], v3 offset:6144
	v_mov_b32_e32 v10, s43
	s_waitcnt lgkmcnt(1)
	v_lshlrev_b64 v[4:5], 3, v[4:5]
	v_add_co_u32_e32 v4, vcc, s42, v4
	v_addc_co_u32_e32 v5, vcc, v10, v5, vcc
	v_lshlrev_b32_e32 v10, 3, v21
	v_add_co_u32_e32 v4, vcc, v4, v10
	v_addc_co_u32_e32 v5, vcc, 0, v5, vcc
	s_waitcnt lgkmcnt(0)
	global_store_dwordx2 v[4:5], v[6:7], off
	s_or_b64 exec, exec, s[0:1]
	s_and_saveexec_b64 s[0:1], s[18:19]
	s_cbranch_execz .LBB39_79
.LBB39_134:
	v_lshlrev_b32_e32 v4, 3, v33
	ds_read_b64 v[4:5], v4
	ds_read_b64 v[6:7], v3 offset:10240
	v_mov_b32_e32 v10, s43
	s_waitcnt lgkmcnt(1)
	v_lshlrev_b64 v[4:5], 3, v[4:5]
	v_add_co_u32_e32 v4, vcc, s42, v4
	v_addc_co_u32_e32 v5, vcc, v10, v5, vcc
	v_lshlrev_b32_e32 v10, 3, v25
	v_add_co_u32_e32 v4, vcc, v4, v10
	v_addc_co_u32_e32 v5, vcc, 0, v5, vcc
	s_waitcnt lgkmcnt(0)
	global_store_dwordx2 v[4:5], v[6:7], off
	s_or_b64 exec, exec, s[0:1]
	s_and_saveexec_b64 s[0:1], s[20:21]
	s_cbranch_execz .LBB39_80
.LBB39_135:
	v_lshlrev_b32_e32 v4, 3, v19
	ds_read_b64 v[4:5], v4
	ds_read_b64 v[6:7], v3 offset:14336
	v_mov_b32_e32 v10, s43
	s_waitcnt lgkmcnt(1)
	v_lshlrev_b64 v[4:5], 3, v[4:5]
	v_add_co_u32_e32 v4, vcc, s42, v4
	v_addc_co_u32_e32 v5, vcc, v10, v5, vcc
	v_lshlrev_b32_e32 v10, 3, v26
	v_add_co_u32_e32 v4, vcc, v4, v10
	v_addc_co_u32_e32 v5, vcc, 0, v5, vcc
	s_waitcnt lgkmcnt(0)
	global_store_dwordx2 v[4:5], v[6:7], off
	s_or_b64 exec, exec, s[0:1]
	s_and_saveexec_b64 s[0:1], s[22:23]
	s_cbranch_execz .LBB39_81
.LBB39_136:
	v_lshlrev_b32_e32 v4, 3, v31
	ds_read_b64 v[4:5], v4
	ds_read_b64 v[6:7], v3 offset:18432
	v_mov_b32_e32 v10, s43
	s_waitcnt lgkmcnt(1)
	v_lshlrev_b64 v[4:5], 3, v[4:5]
	v_add_co_u32_e32 v4, vcc, s42, v4
	v_addc_co_u32_e32 v5, vcc, v10, v5, vcc
	v_lshlrev_b32_e32 v10, 3, v29
	v_add_co_u32_e32 v4, vcc, v4, v10
	v_addc_co_u32_e32 v5, vcc, 0, v5, vcc
	s_waitcnt lgkmcnt(0)
	global_store_dwordx2 v[4:5], v[6:7], off
	s_or_b64 exec, exec, s[0:1]
	s_and_saveexec_b64 s[0:1], s[24:25]
	s_cbranch_execnz .LBB39_82
	s_branch .LBB39_83
	.section	.rodata,"a",@progbits
	.p2align	6, 0x0
	.amdhsa_kernel _ZN7rocprim17ROCPRIM_304000_NS6detail25onesweep_iteration_kernelINS1_34wrapped_radix_sort_onesweep_configINS0_14default_configEaN2at4cuda3cub6detail10OpaqueTypeILi8EEEEELb1EPaSC_PSA_SD_mNS0_19identity_decomposerEEEvT1_T2_T3_T4_jPT5_SK_PNS1_23onesweep_lookback_stateET6_jjj
		.amdhsa_group_segment_fixed_size 26624
		.amdhsa_private_segment_fixed_size 0
		.amdhsa_kernarg_size 336
		.amdhsa_user_sgpr_count 6
		.amdhsa_user_sgpr_private_segment_buffer 1
		.amdhsa_user_sgpr_dispatch_ptr 0
		.amdhsa_user_sgpr_queue_ptr 0
		.amdhsa_user_sgpr_kernarg_segment_ptr 1
		.amdhsa_user_sgpr_dispatch_id 0
		.amdhsa_user_sgpr_flat_scratch_init 0
		.amdhsa_user_sgpr_kernarg_preload_length 0
		.amdhsa_user_sgpr_kernarg_preload_offset 0
		.amdhsa_user_sgpr_private_segment_size 0
		.amdhsa_uses_dynamic_stack 0
		.amdhsa_system_sgpr_private_segment_wavefront_offset 0
		.amdhsa_system_sgpr_workgroup_id_x 1
		.amdhsa_system_sgpr_workgroup_id_y 0
		.amdhsa_system_sgpr_workgroup_id_z 0
		.amdhsa_system_sgpr_workgroup_info 0
		.amdhsa_system_vgpr_workitem_id 2
		.amdhsa_next_free_vgpr 40
		.amdhsa_next_free_sgpr 53
		.amdhsa_accum_offset 40
		.amdhsa_reserve_vcc 1
		.amdhsa_reserve_flat_scratch 0
		.amdhsa_float_round_mode_32 0
		.amdhsa_float_round_mode_16_64 0
		.amdhsa_float_denorm_mode_32 3
		.amdhsa_float_denorm_mode_16_64 3
		.amdhsa_dx10_clamp 1
		.amdhsa_ieee_mode 1
		.amdhsa_fp16_overflow 0
		.amdhsa_tg_split 0
		.amdhsa_exception_fp_ieee_invalid_op 0
		.amdhsa_exception_fp_denorm_src 0
		.amdhsa_exception_fp_ieee_div_zero 0
		.amdhsa_exception_fp_ieee_overflow 0
		.amdhsa_exception_fp_ieee_underflow 0
		.amdhsa_exception_fp_ieee_inexact 0
		.amdhsa_exception_int_div_zero 0
	.end_amdhsa_kernel
	.section	.text._ZN7rocprim17ROCPRIM_304000_NS6detail25onesweep_iteration_kernelINS1_34wrapped_radix_sort_onesweep_configINS0_14default_configEaN2at4cuda3cub6detail10OpaqueTypeILi8EEEEELb1EPaSC_PSA_SD_mNS0_19identity_decomposerEEEvT1_T2_T3_T4_jPT5_SK_PNS1_23onesweep_lookback_stateET6_jjj,"axG",@progbits,_ZN7rocprim17ROCPRIM_304000_NS6detail25onesweep_iteration_kernelINS1_34wrapped_radix_sort_onesweep_configINS0_14default_configEaN2at4cuda3cub6detail10OpaqueTypeILi8EEEEELb1EPaSC_PSA_SD_mNS0_19identity_decomposerEEEvT1_T2_T3_T4_jPT5_SK_PNS1_23onesweep_lookback_stateET6_jjj,comdat
.Lfunc_end39:
	.size	_ZN7rocprim17ROCPRIM_304000_NS6detail25onesweep_iteration_kernelINS1_34wrapped_radix_sort_onesweep_configINS0_14default_configEaN2at4cuda3cub6detail10OpaqueTypeILi8EEEEELb1EPaSC_PSA_SD_mNS0_19identity_decomposerEEEvT1_T2_T3_T4_jPT5_SK_PNS1_23onesweep_lookback_stateET6_jjj, .Lfunc_end39-_ZN7rocprim17ROCPRIM_304000_NS6detail25onesweep_iteration_kernelINS1_34wrapped_radix_sort_onesweep_configINS0_14default_configEaN2at4cuda3cub6detail10OpaqueTypeILi8EEEEELb1EPaSC_PSA_SD_mNS0_19identity_decomposerEEEvT1_T2_T3_T4_jPT5_SK_PNS1_23onesweep_lookback_stateET6_jjj
                                        ; -- End function
	.section	.AMDGPU.csdata,"",@progbits
; Kernel info:
; codeLenInByte = 11244
; NumSgprs: 57
; NumVgprs: 40
; NumAgprs: 0
; TotalNumVgprs: 40
; ScratchSize: 0
; MemoryBound: 0
; FloatMode: 240
; IeeeMode: 1
; LDSByteSize: 26624 bytes/workgroup (compile time only)
; SGPRBlocks: 7
; VGPRBlocks: 4
; NumSGPRsForWavesPerEU: 57
; NumVGPRsForWavesPerEU: 40
; AccumOffset: 40
; Occupancy: 4
; WaveLimiterHint : 1
; COMPUTE_PGM_RSRC2:SCRATCH_EN: 0
; COMPUTE_PGM_RSRC2:USER_SGPR: 6
; COMPUTE_PGM_RSRC2:TRAP_HANDLER: 0
; COMPUTE_PGM_RSRC2:TGID_X_EN: 1
; COMPUTE_PGM_RSRC2:TGID_Y_EN: 0
; COMPUTE_PGM_RSRC2:TGID_Z_EN: 0
; COMPUTE_PGM_RSRC2:TIDIG_COMP_CNT: 2
; COMPUTE_PGM_RSRC3_GFX90A:ACCUM_OFFSET: 9
; COMPUTE_PGM_RSRC3_GFX90A:TG_SPLIT: 0
	.section	.text._ZN7rocprim17ROCPRIM_304000_NS6detail28radix_sort_block_sort_kernelINS1_36wrapped_radix_sort_block_sort_configINS0_13kernel_configILj256ELj4ELj4294967295EEEaN2at4cuda3cub6detail10OpaqueTypeILi8EEEEELb0EPKaPaPKSB_PSB_NS0_19identity_decomposerEEEvT1_T2_T3_T4_jT5_jj,"axG",@progbits,_ZN7rocprim17ROCPRIM_304000_NS6detail28radix_sort_block_sort_kernelINS1_36wrapped_radix_sort_block_sort_configINS0_13kernel_configILj256ELj4ELj4294967295EEEaN2at4cuda3cub6detail10OpaqueTypeILi8EEEEELb0EPKaPaPKSB_PSB_NS0_19identity_decomposerEEEvT1_T2_T3_T4_jT5_jj,comdat
	.protected	_ZN7rocprim17ROCPRIM_304000_NS6detail28radix_sort_block_sort_kernelINS1_36wrapped_radix_sort_block_sort_configINS0_13kernel_configILj256ELj4ELj4294967295EEEaN2at4cuda3cub6detail10OpaqueTypeILi8EEEEELb0EPKaPaPKSB_PSB_NS0_19identity_decomposerEEEvT1_T2_T3_T4_jT5_jj ; -- Begin function _ZN7rocprim17ROCPRIM_304000_NS6detail28radix_sort_block_sort_kernelINS1_36wrapped_radix_sort_block_sort_configINS0_13kernel_configILj256ELj4ELj4294967295EEEaN2at4cuda3cub6detail10OpaqueTypeILi8EEEEELb0EPKaPaPKSB_PSB_NS0_19identity_decomposerEEEvT1_T2_T3_T4_jT5_jj
	.globl	_ZN7rocprim17ROCPRIM_304000_NS6detail28radix_sort_block_sort_kernelINS1_36wrapped_radix_sort_block_sort_configINS0_13kernel_configILj256ELj4ELj4294967295EEEaN2at4cuda3cub6detail10OpaqueTypeILi8EEEEELb0EPKaPaPKSB_PSB_NS0_19identity_decomposerEEEvT1_T2_T3_T4_jT5_jj
	.p2align	8
	.type	_ZN7rocprim17ROCPRIM_304000_NS6detail28radix_sort_block_sort_kernelINS1_36wrapped_radix_sort_block_sort_configINS0_13kernel_configILj256ELj4ELj4294967295EEEaN2at4cuda3cub6detail10OpaqueTypeILi8EEEEELb0EPKaPaPKSB_PSB_NS0_19identity_decomposerEEEvT1_T2_T3_T4_jT5_jj,@function
_ZN7rocprim17ROCPRIM_304000_NS6detail28radix_sort_block_sort_kernelINS1_36wrapped_radix_sort_block_sort_configINS0_13kernel_configILj256ELj4ELj4294967295EEEaN2at4cuda3cub6detail10OpaqueTypeILi8EEEEELb0EPKaPaPKSB_PSB_NS0_19identity_decomposerEEEvT1_T2_T3_T4_jT5_jj: ; @_ZN7rocprim17ROCPRIM_304000_NS6detail28radix_sort_block_sort_kernelINS1_36wrapped_radix_sort_block_sort_configINS0_13kernel_configILj256ELj4ELj4294967295EEEaN2at4cuda3cub6detail10OpaqueTypeILi8EEEEELb0EPKaPaPKSB_PSB_NS0_19identity_decomposerEEEvT1_T2_T3_T4_jT5_jj
; %bb.0:
	s_load_dword s2, s[4:5], 0x20
	s_load_dwordx8 s[36:43], s[4:5], 0x0
	s_lshl_b32 s28, s6, 10
	v_mbcnt_lo_u32_b32 v1, -1, 0
	v_and_b32_e32 v8, 0x3ff, v0
	s_waitcnt lgkmcnt(0)
	s_lshr_b32 s0, s2, 10
	s_cmp_lg_u32 s6, s0
	s_cselect_b64 s[30:31], -1, 0
	s_add_u32 s1, s36, s28
	s_addc_u32 s3, s37, 0
	v_mbcnt_hi_u32_b32 v2, -1, v1
	v_lshlrev_b32_e32 v1, 2, v8
	v_mov_b32_e32 v3, s3
	v_add_co_u32_e32 v4, vcc, s1, v2
	v_and_b32_e32 v6, 0x300, v1
	v_addc_co_u32_e32 v3, vcc, 0, v3, vcc
	v_add_co_u32_e32 v4, vcc, v4, v6
	s_mov_b32 s29, 0
	s_cmp_eq_u32 s6, s0
	v_addc_co_u32_e32 v5, vcc, 0, v3, vcc
	v_lshlrev_b32_e32 v14, 3, v2
	v_lshlrev_b32_e32 v13, 3, v6
	v_add_u32_e32 v12, v2, v6
	s_cbranch_scc1 .LBB40_2
; %bb.1:
	s_lshl_b64 s[0:1], s[28:29], 3
	s_add_u32 s0, s40, s0
	s_addc_u32 s1, s41, s1
	v_mov_b32_e32 v9, s1
	v_add_co_u32_e32 v15, vcc, s0, v14
	v_addc_co_u32_e32 v9, vcc, 0, v9, vcc
	v_add_co_u32_e32 v16, vcc, v15, v13
	v_addc_co_u32_e32 v17, vcc, 0, v9, vcc
	global_load_ubyte v3, v[4:5], off offset:192
	global_load_ubyte v10, v[4:5], off offset:128
	;; [unrolled: 1-line block ×3, first 2 shown]
	global_load_ubyte v11, v[4:5], off
	global_load_dwordx2 v[20:21], v[16:17], off
	global_load_dwordx2 v[22:23], v[16:17], off offset:512
	global_load_dwordx2 v[24:25], v[16:17], off offset:1024
	;; [unrolled: 1-line block ×3, first 2 shown]
	v_add_u32_e32 v32, v2, v6
	v_add_u32_e32 v9, 64, v32
	v_add_u32_e32 v29, 0x80, v32
	v_add_u32_e32 v31, 0xc0, v32
	s_sub_i32 s33, s2, s28
	s_cbranch_execz .LBB40_3
	s_branch .LBB40_17
.LBB40_2:
                                        ; implicit-def: $vgpr11
                                        ; implicit-def: $vgpr7
                                        ; implicit-def: $vgpr10
                                        ; implicit-def: $vgpr3
                                        ; implicit-def: $vgpr20_vgpr21
                                        ; implicit-def: $vgpr22_vgpr23
                                        ; implicit-def: $vgpr24_vgpr25
                                        ; implicit-def: $vgpr26_vgpr27
                                        ; implicit-def: $vgpr32
                                        ; implicit-def: $vgpr9
                                        ; implicit-def: $vgpr29
                                        ; implicit-def: $vgpr31
	s_sub_i32 s33, s2, s28
.LBB40_3:
	v_cmp_gt_u32_e32 vcc, s33, v12
	s_waitcnt vmcnt(4)
	v_mov_b32_e32 v11, 0x7f
	v_mov_b32_e32 v3, 0x7f
	v_mov_b32_e32 v7, 0x7f
	v_mov_b32_e32 v10, 0x7f
	s_and_saveexec_b64 s[0:1], vcc
	s_cbranch_execz .LBB40_5
; %bb.4:
	global_load_ubyte v11, v[4:5], off
	v_mov_b32_e32 v7, 0x7f
	v_mov_b32_e32 v10, 0x7f
	;; [unrolled: 1-line block ×3, first 2 shown]
.LBB40_5:
	s_or_b64 exec, exec, s[0:1]
	v_add_u32_e32 v9, 64, v12
	v_cmp_gt_u32_e64 s[0:1], s33, v9
	s_and_saveexec_b64 s[2:3], s[0:1]
	s_cbranch_execz .LBB40_7
; %bb.6:
	global_load_ubyte v7, v[4:5], off offset:64
.LBB40_7:
	s_or_b64 exec, exec, s[2:3]
	v_add_u32_e32 v29, 0x80, v12
	v_cmp_gt_u32_e64 s[2:3], s33, v29
	s_and_saveexec_b64 s[6:7], s[2:3]
	s_cbranch_execz .LBB40_9
; %bb.8:
	global_load_ubyte v10, v[4:5], off offset:128
.LBB40_9:
	;; [unrolled: 8-line block ×3, first 2 shown]
	s_or_b64 exec, exec, s[8:9]
	s_lshl_b64 s[8:9], s[28:29], 3
	s_add_u32 s8, s40, s8
	s_addc_u32 s9, s41, s9
	v_mov_b32_e32 v4, s9
	v_add_co_u32_e64 v5, s[8:9], s8, v14
	v_addc_co_u32_e64 v6, s[8:9], 0, v4, s[8:9]
	v_add_co_u32_e64 v4, s[8:9], v5, v13
	v_addc_co_u32_e64 v5, s[8:9], 0, v6, s[8:9]
                                        ; implicit-def: $vgpr20_vgpr21
	s_and_saveexec_b64 s[8:9], vcc
	s_cbranch_execnz .LBB40_54
; %bb.12:
	s_or_b64 exec, exec, s[8:9]
                                        ; implicit-def: $vgpr22_vgpr23
	s_and_saveexec_b64 s[8:9], s[0:1]
	s_cbranch_execnz .LBB40_55
.LBB40_13:
	s_or_b64 exec, exec, s[8:9]
                                        ; implicit-def: $vgpr24_vgpr25
	s_and_saveexec_b64 s[0:1], s[2:3]
	s_cbranch_execnz .LBB40_56
.LBB40_14:
	s_or_b64 exec, exec, s[0:1]
                                        ; implicit-def: $vgpr26_vgpr27
	s_and_saveexec_b64 s[0:1], s[6:7]
	s_cbranch_execz .LBB40_16
.LBB40_15:
	global_load_dwordx2 v[26:27], v[4:5], off offset:1536
.LBB40_16:
	s_or_b64 exec, exec, s[0:1]
	v_mov_b32_e32 v32, v12
.LBB40_17:
	s_load_dwordx2 s[34:35], s[4:5], 0x28
	s_load_dword s1, s[4:5], 0x3c
	s_movk_i32 s0, 0x80
	s_waitcnt vmcnt(0)
	v_xor_b32_e32 v4, 0x80, v11
	v_xor_b32_sdwa v5, v7, s0 dst_sel:BYTE_1 dst_unused:UNUSED_PAD src0_sel:DWORD src1_sel:DWORD
	v_xor_b32_e32 v6, 0x80, v10
	v_xor_b32_sdwa v3, v3, s0 dst_sel:BYTE_1 dst_unused:UNUSED_PAD src0_sel:DWORD src1_sel:DWORD
	v_or_b32_sdwa v4, v4, v5 dst_sel:DWORD dst_unused:UNUSED_PAD src0_sel:BYTE_0 src1_sel:DWORD
	v_or_b32_sdwa v3, v6, v3 dst_sel:WORD_1 dst_unused:UNUSED_PAD src0_sel:BYTE_0 src1_sel:DWORD
	v_or_b32_sdwa v35, v4, v3 dst_sel:DWORD dst_unused:UNUSED_PAD src0_sel:WORD_0 src1_sel:DWORD
	s_waitcnt lgkmcnt(0)
	s_lshr_b32 s0, s1, 16
	v_bfe_u32 v3, v0, 10, 10
	v_bfe_u32 v0, v0, 20, 10
	s_and_b32 s1, s1, 0xffff
	v_mad_u32_u24 v0, v0, s0, v3
	v_mad_u64_u32 v[4:5], s[0:1], v0, s1, v[8:9]
	v_and_b32_e32 v0, 15, v2
	v_cmp_eq_u32_e64 s[0:1], 0, v0
	v_cmp_lt_u32_e64 s[2:3], 1, v0
	v_cmp_lt_u32_e64 s[4:5], 3, v0
	;; [unrolled: 1-line block ×3, first 2 shown]
	v_and_b32_e32 v0, 16, v2
	v_cmp_eq_u32_e64 s[8:9], 0, v0
	v_and_b32_e32 v0, 0x3c0, v8
	v_min_u32_e32 v0, 0xc0, v0
	v_or_b32_e32 v0, 63, v0
	v_lshlrev_b32_e32 v33, 2, v1
	v_cmp_eq_u32_e64 s[12:13], v0, v8
	v_add_u32_e32 v0, -1, v2
	v_and_b32_e32 v1, 64, v2
	v_cmp_lt_i32_e32 vcc, v0, v1
	v_cndmask_b32_e32 v0, v0, v2, vcc
	s_mov_b32 s26, 0
	v_lshlrev_b32_e32 v36, 2, v0
	v_lshrrev_b32_e32 v0, 4, v8
	v_and_b32_e32 v1, 3, v2
	v_lshrrev_b32_e32 v34, 6, v4
	v_cmp_lt_u32_e64 s[10:11], 31, v2
	v_cmp_eq_u32_e64 s[18:19], 0, v2
	v_and_b32_e32 v37, 60, v0
	v_mul_i32_i24_e32 v0, -12, v8
	v_cmp_eq_u32_e64 s[22:23], 0, v1
	v_cmp_lt_u32_e64 s[24:25], 1, v1
	v_mul_lo_u32 v1, v32, 7
	v_mul_lo_u32 v2, v9, 7
	;; [unrolled: 1-line block ×4, first 2 shown]
	s_mov_b32 s27, s26
	s_mov_b32 s40, s26
	s_mov_b32 s41, s26
	s_add_i32 s36, s35, s34
	v_cmp_gt_u32_e64 s[14:15], 4, v8
	v_cmp_lt_u32_e64 s[16:17], 63, v8
	v_cmp_eq_u32_e64 s[20:21], 0, v8
	v_add_u32_e32 v38, -4, v37
	v_pk_mov_b32 v[14:15], s[26:27], s[26:27] op_sel:[0,1]
	v_pk_mov_b32 v[16:17], s[40:41], s[40:41] op_sel:[0,1]
	v_add_u32_e32 v39, v33, v0
	v_add_u32_e32 v40, v32, v1
	;; [unrolled: 1-line block ×5, first 2 shown]
	v_mov_b32_e32 v18, 0
	s_branch .LBB40_19
.LBB40_18:                              ;   in Loop: Header=BB40_19 Depth=1
	s_barrier
	ds_write_b8 v30, v35
	ds_write_b8 v28, v19
	;; [unrolled: 1-line block ×4, first 2 shown]
	s_waitcnt lgkmcnt(0)
	s_barrier
	ds_read_u8 v20, v9
	ds_read_u8 v21, v32
	;; [unrolled: 1-line block ×4, first 2 shown]
	s_waitcnt lgkmcnt(0)
	v_lshlrev_b16_e32 v20, 8, v20
	v_or_b32_e32 v20, v21, v20
	v_lshlrev_b16_e32 v21, 8, v22
	v_or_b32_sdwa v21, v23, v21 dst_sel:WORD_1 dst_unused:UNUSED_PAD src0_sel:DWORD src1_sel:DWORD
	v_or_b32_sdwa v35, v20, v21 dst_sel:DWORD dst_unused:UNUSED_PAD src0_sel:WORD_0 src1_sel:DWORD
	v_mad_u64_u32 v[20:21], s[26:27], v30, 7, v[30:31]
	s_barrier
	ds_write_b64 v20, v[12:13]
	v_mad_u64_u32 v[20:21], s[26:27], v28, 7, v[28:29]
	ds_write_b64 v20, v[10:11]
	v_mad_u64_u32 v[20:21], s[26:27], v2, 7, v[2:3]
	;; [unrolled: 2-line block ×3, first 2 shown]
	ds_write_b64 v20, v[4:5]
	s_waitcnt lgkmcnt(0)
	s_barrier
	ds_read_b64 v[20:21], v40
	ds_read_b64 v[22:23], v41
	;; [unrolled: 1-line block ×4, first 2 shown]
	s_add_i32 s35, s35, -8
	s_waitcnt lgkmcnt(0)
	s_barrier
	s_cbranch_execz .LBB40_35
.LBB40_19:                              ; =>This Inner Loop Header: Depth=1
	s_min_u32 s26, s35, 8
	s_lshl_b32 s26, -1, s26
	s_not_b32 s37, s26
	v_lshrrev_b32_sdwa v0, s34, v35 dst_sel:DWORD dst_unused:UNUSED_PAD src0_sel:DWORD src1_sel:BYTE_0
	v_and_b32_e32 v0, s37, v0
	v_lshl_add_u32 v1, v0, 2, v34
	v_pk_mov_b32 v[12:13], v[20:21], v[20:21] op_sel:[0,1]
	v_lshl_add_u32 v20, v1, 2, 16
	v_and_b32_e32 v1, 1, v0
	v_add_co_u32_e32 v2, vcc, -1, v1
	v_addc_co_u32_e64 v3, s[26:27], 0, -1, vcc
	v_cmp_ne_u32_e32 vcc, 0, v1
	v_lshlrev_b32_e32 v19, 30, v0
	v_xor_b32_e32 v1, vcc_hi, v3
	v_not_b32_e32 v3, v19
	v_xor_b32_e32 v2, vcc_lo, v2
	v_cmp_gt_i64_e32 vcc, 0, v[18:19]
	v_ashrrev_i32_e32 v3, 31, v3
	v_and_b32_e32 v1, exec_hi, v1
	v_xor_b32_e32 v19, vcc_hi, v3
	v_and_b32_e32 v2, exec_lo, v2
	v_xor_b32_e32 v3, vcc_lo, v3
	v_and_b32_e32 v1, v1, v19
	v_lshlrev_b32_e32 v19, 29, v0
	v_and_b32_e32 v2, v2, v3
	v_not_b32_e32 v3, v19
	v_cmp_gt_i64_e32 vcc, 0, v[18:19]
	v_ashrrev_i32_e32 v3, 31, v3
	v_xor_b32_e32 v19, vcc_hi, v3
	v_xor_b32_e32 v3, vcc_lo, v3
	v_and_b32_e32 v1, v1, v19
	v_lshlrev_b32_e32 v19, 28, v0
	v_and_b32_e32 v2, v2, v3
	v_not_b32_e32 v3, v19
	v_cmp_gt_i64_e32 vcc, 0, v[18:19]
	v_ashrrev_i32_e32 v3, 31, v3
	v_xor_b32_e32 v19, vcc_hi, v3
	;; [unrolled: 8-line block ×5, first 2 shown]
	v_and_b32_e32 v1, v1, v19
	v_lshlrev_b32_e32 v19, 24, v0
	v_not_b32_e32 v0, v19
	v_xor_b32_e32 v3, vcc_lo, v3
	v_cmp_gt_i64_e32 vcc, 0, v[18:19]
	v_ashrrev_i32_e32 v0, 31, v0
	v_and_b32_e32 v2, v2, v3
	v_xor_b32_e32 v3, vcc_hi, v0
	v_xor_b32_e32 v0, vcc_lo, v0
	v_and_b32_e32 v0, v2, v0
	v_and_b32_e32 v1, v1, v3
	v_mbcnt_lo_u32_b32 v2, v0, 0
	v_mbcnt_hi_u32_b32 v21, v1, v2
	v_cmp_eq_u32_e32 vcc, 0, v21
	v_cmp_ne_u64_e64 s[26:27], 0, v[0:1]
	v_pk_mov_b32 v[10:11], v[22:23], v[22:23] op_sel:[0,1]
	v_pk_mov_b32 v[6:7], v[24:25], v[24:25] op_sel:[0,1]
	;; [unrolled: 1-line block ×3, first 2 shown]
	s_and_b64 s[40:41], s[26:27], vcc
	ds_write2_b64 v33, v[14:15], v[16:17] offset0:2 offset1:3
	s_waitcnt lgkmcnt(0)
	s_barrier
	s_waitcnt lgkmcnt(0)
	; wave barrier
	s_and_saveexec_b64 s[26:27], s[40:41]
	s_cbranch_execz .LBB40_21
; %bb.20:                               ;   in Loop: Header=BB40_19 Depth=1
	v_bcnt_u32_b32 v0, v0, 0
	v_bcnt_u32_b32 v0, v1, v0
	ds_write_b32 v20, v0
.LBB40_21:                              ;   in Loop: Header=BB40_19 Depth=1
	s_or_b64 exec, exec, s[26:27]
	v_lshrrev_b32_sdwa v0, s34, v35 dst_sel:DWORD dst_unused:UNUSED_PAD src0_sel:DWORD src1_sel:BYTE_1
	v_and_b32_e32 v0, s37, v0
	v_lshlrev_b32_e32 v1, 2, v0
	v_add_lshl_u32 v1, v1, v34, 2
	; wave barrier
	v_add_u32_e32 v23, 16, v1
	ds_read_b32 v22, v1 offset:16
	v_and_b32_e32 v1, 1, v0
	v_add_co_u32_e32 v2, vcc, -1, v1
	v_addc_co_u32_e64 v3, s[26:27], 0, -1, vcc
	v_cmp_ne_u32_e32 vcc, 0, v1
	v_lshlrev_b32_e32 v19, 30, v0
	v_xor_b32_e32 v1, vcc_hi, v3
	v_not_b32_e32 v3, v19
	v_xor_b32_e32 v2, vcc_lo, v2
	v_cmp_gt_i64_e32 vcc, 0, v[18:19]
	v_ashrrev_i32_e32 v3, 31, v3
	v_and_b32_e32 v1, exec_hi, v1
	v_xor_b32_e32 v19, vcc_hi, v3
	v_and_b32_e32 v2, exec_lo, v2
	v_xor_b32_e32 v3, vcc_lo, v3
	v_and_b32_e32 v1, v1, v19
	v_lshlrev_b32_e32 v19, 29, v0
	v_and_b32_e32 v2, v2, v3
	v_not_b32_e32 v3, v19
	v_cmp_gt_i64_e32 vcc, 0, v[18:19]
	v_ashrrev_i32_e32 v3, 31, v3
	v_xor_b32_e32 v19, vcc_hi, v3
	v_xor_b32_e32 v3, vcc_lo, v3
	v_and_b32_e32 v1, v1, v19
	v_lshlrev_b32_e32 v19, 28, v0
	v_and_b32_e32 v2, v2, v3
	v_not_b32_e32 v3, v19
	v_cmp_gt_i64_e32 vcc, 0, v[18:19]
	v_ashrrev_i32_e32 v3, 31, v3
	v_xor_b32_e32 v19, vcc_hi, v3
	;; [unrolled: 8-line block ×5, first 2 shown]
	v_and_b32_e32 v1, v1, v19
	v_lshlrev_b32_e32 v19, 24, v0
	v_not_b32_e32 v0, v19
	v_xor_b32_e32 v3, vcc_lo, v3
	v_cmp_gt_i64_e32 vcc, 0, v[18:19]
	v_ashrrev_i32_e32 v0, 31, v0
	v_and_b32_e32 v2, v2, v3
	v_xor_b32_e32 v3, vcc_hi, v0
	v_xor_b32_e32 v0, vcc_lo, v0
	v_and_b32_e32 v0, v2, v0
	v_and_b32_e32 v1, v1, v3
	v_mbcnt_lo_u32_b32 v2, v0, 0
	v_mbcnt_hi_u32_b32 v24, v1, v2
	v_cmp_eq_u32_e32 vcc, 0, v24
	v_cmp_ne_u64_e64 s[26:27], 0, v[0:1]
	s_and_b64 s[40:41], s[26:27], vcc
	; wave barrier
	s_and_saveexec_b64 s[26:27], s[40:41]
	s_cbranch_execz .LBB40_23
; %bb.22:                               ;   in Loop: Header=BB40_19 Depth=1
	v_bcnt_u32_b32 v0, v0, 0
	v_bcnt_u32_b32 v0, v1, v0
	s_waitcnt lgkmcnt(0)
	v_add_u32_e32 v0, v22, v0
	ds_write_b32 v23, v0
.LBB40_23:                              ;   in Loop: Header=BB40_19 Depth=1
	s_or_b64 exec, exec, s[26:27]
	v_lshrrev_b32_sdwa v0, s34, v35 dst_sel:DWORD dst_unused:UNUSED_PAD src0_sel:DWORD src1_sel:BYTE_2
	v_and_b32_e32 v0, s37, v0
	v_lshlrev_b32_e32 v1, 2, v0
	v_add_lshl_u32 v1, v1, v34, 2
	; wave barrier
	v_add_u32_e32 v26, 16, v1
	ds_read_b32 v25, v1 offset:16
	v_and_b32_e32 v1, 1, v0
	v_add_co_u32_e32 v2, vcc, -1, v1
	v_addc_co_u32_e64 v3, s[26:27], 0, -1, vcc
	v_cmp_ne_u32_e32 vcc, 0, v1
	v_lshlrev_b32_e32 v19, 30, v0
	v_xor_b32_e32 v1, vcc_hi, v3
	v_not_b32_e32 v3, v19
	v_xor_b32_e32 v2, vcc_lo, v2
	v_cmp_gt_i64_e32 vcc, 0, v[18:19]
	v_ashrrev_i32_e32 v3, 31, v3
	v_and_b32_e32 v1, exec_hi, v1
	v_xor_b32_e32 v19, vcc_hi, v3
	v_and_b32_e32 v2, exec_lo, v2
	v_xor_b32_e32 v3, vcc_lo, v3
	v_and_b32_e32 v1, v1, v19
	v_lshlrev_b32_e32 v19, 29, v0
	v_and_b32_e32 v2, v2, v3
	v_not_b32_e32 v3, v19
	v_cmp_gt_i64_e32 vcc, 0, v[18:19]
	v_ashrrev_i32_e32 v3, 31, v3
	v_xor_b32_e32 v19, vcc_hi, v3
	v_xor_b32_e32 v3, vcc_lo, v3
	v_and_b32_e32 v1, v1, v19
	v_lshlrev_b32_e32 v19, 28, v0
	v_and_b32_e32 v2, v2, v3
	v_not_b32_e32 v3, v19
	v_cmp_gt_i64_e32 vcc, 0, v[18:19]
	v_ashrrev_i32_e32 v3, 31, v3
	v_xor_b32_e32 v19, vcc_hi, v3
	;; [unrolled: 8-line block ×5, first 2 shown]
	v_and_b32_e32 v1, v1, v19
	v_lshlrev_b32_e32 v19, 24, v0
	v_not_b32_e32 v0, v19
	v_xor_b32_e32 v3, vcc_lo, v3
	v_cmp_gt_i64_e32 vcc, 0, v[18:19]
	v_ashrrev_i32_e32 v0, 31, v0
	v_and_b32_e32 v2, v2, v3
	v_xor_b32_e32 v3, vcc_hi, v0
	v_xor_b32_e32 v0, vcc_lo, v0
	v_and_b32_e32 v0, v2, v0
	v_and_b32_e32 v1, v1, v3
	v_mbcnt_lo_u32_b32 v2, v0, 0
	v_mbcnt_hi_u32_b32 v27, v1, v2
	v_cmp_eq_u32_e32 vcc, 0, v27
	v_cmp_ne_u64_e64 s[26:27], 0, v[0:1]
	s_and_b64 s[40:41], s[26:27], vcc
	; wave barrier
	s_and_saveexec_b64 s[26:27], s[40:41]
	s_cbranch_execz .LBB40_25
; %bb.24:                               ;   in Loop: Header=BB40_19 Depth=1
	v_bcnt_u32_b32 v0, v0, 0
	v_bcnt_u32_b32 v0, v1, v0
	s_waitcnt lgkmcnt(0)
	v_add_u32_e32 v0, v25, v0
	ds_write_b32 v26, v0
.LBB40_25:                              ;   in Loop: Header=BB40_19 Depth=1
	s_or_b64 exec, exec, s[26:27]
	v_lshrrev_b32_e32 v44, 24, v35
	v_lshrrev_b32_e32 v0, s34, v44
	v_and_b32_e32 v0, s37, v0
	v_lshlrev_b32_e32 v1, 2, v0
	v_add_lshl_u32 v1, v1, v34, 2
	; wave barrier
	v_add_u32_e32 v28, 16, v1
	ds_read_b32 v45, v1 offset:16
	v_and_b32_e32 v1, 1, v0
	v_add_co_u32_e32 v2, vcc, -1, v1
	v_addc_co_u32_e64 v3, s[26:27], 0, -1, vcc
	v_cmp_ne_u32_e32 vcc, 0, v1
	v_lshlrev_b32_e32 v19, 30, v0
	v_xor_b32_e32 v1, vcc_hi, v3
	v_not_b32_e32 v3, v19
	v_xor_b32_e32 v2, vcc_lo, v2
	v_cmp_gt_i64_e32 vcc, 0, v[18:19]
	v_ashrrev_i32_e32 v3, 31, v3
	v_and_b32_e32 v1, exec_hi, v1
	v_xor_b32_e32 v19, vcc_hi, v3
	v_and_b32_e32 v2, exec_lo, v2
	v_xor_b32_e32 v3, vcc_lo, v3
	v_and_b32_e32 v1, v1, v19
	v_lshlrev_b32_e32 v19, 29, v0
	v_and_b32_e32 v2, v2, v3
	v_not_b32_e32 v3, v19
	v_cmp_gt_i64_e32 vcc, 0, v[18:19]
	v_ashrrev_i32_e32 v3, 31, v3
	v_xor_b32_e32 v19, vcc_hi, v3
	v_xor_b32_e32 v3, vcc_lo, v3
	v_and_b32_e32 v1, v1, v19
	v_lshlrev_b32_e32 v19, 28, v0
	v_and_b32_e32 v2, v2, v3
	v_not_b32_e32 v3, v19
	v_cmp_gt_i64_e32 vcc, 0, v[18:19]
	v_ashrrev_i32_e32 v3, 31, v3
	v_xor_b32_e32 v19, vcc_hi, v3
	;; [unrolled: 8-line block ×5, first 2 shown]
	v_and_b32_e32 v1, v1, v19
	v_lshlrev_b32_e32 v19, 24, v0
	v_not_b32_e32 v0, v19
	v_xor_b32_e32 v3, vcc_lo, v3
	v_cmp_gt_i64_e32 vcc, 0, v[18:19]
	v_ashrrev_i32_e32 v0, 31, v0
	v_and_b32_e32 v2, v2, v3
	v_xor_b32_e32 v3, vcc_hi, v0
	v_xor_b32_e32 v0, vcc_lo, v0
	v_and_b32_e32 v0, v2, v0
	v_and_b32_e32 v1, v1, v3
	v_mbcnt_lo_u32_b32 v2, v0, 0
	v_mbcnt_hi_u32_b32 v46, v1, v2
	v_cmp_eq_u32_e32 vcc, 0, v46
	v_cmp_ne_u64_e64 s[26:27], 0, v[0:1]
	s_and_b64 s[40:41], s[26:27], vcc
	; wave barrier
	s_and_saveexec_b64 s[26:27], s[40:41]
	s_cbranch_execz .LBB40_27
; %bb.26:                               ;   in Loop: Header=BB40_19 Depth=1
	v_bcnt_u32_b32 v0, v0, 0
	v_bcnt_u32_b32 v0, v1, v0
	s_waitcnt lgkmcnt(0)
	v_add_u32_e32 v0, v45, v0
	ds_write_b32 v28, v0
.LBB40_27:                              ;   in Loop: Header=BB40_19 Depth=1
	s_or_b64 exec, exec, s[26:27]
	; wave barrier
	s_waitcnt lgkmcnt(0)
	s_barrier
	ds_read2_b64 v[0:3], v33 offset0:2 offset1:3
	s_waitcnt lgkmcnt(0)
	v_add_u32_e32 v19, v1, v0
	v_add3_u32 v3, v19, v2, v3
	s_nop 1
	v_mov_b32_dpp v19, v3 row_shr:1 row_mask:0xf bank_mask:0xf
	v_cndmask_b32_e64 v19, v19, 0, s[0:1]
	v_add_u32_e32 v3, v19, v3
	s_nop 1
	v_mov_b32_dpp v19, v3 row_shr:2 row_mask:0xf bank_mask:0xf
	v_cndmask_b32_e64 v19, 0, v19, s[2:3]
	v_add_u32_e32 v3, v3, v19
	s_nop 1
	v_mov_b32_dpp v19, v3 row_shr:4 row_mask:0xf bank_mask:0xf
	v_cndmask_b32_e64 v19, 0, v19, s[4:5]
	v_add_u32_e32 v3, v3, v19
	s_nop 1
	v_mov_b32_dpp v19, v3 row_shr:8 row_mask:0xf bank_mask:0xf
	v_cndmask_b32_e64 v19, 0, v19, s[6:7]
	v_add_u32_e32 v3, v3, v19
	s_nop 1
	v_mov_b32_dpp v19, v3 row_bcast:15 row_mask:0xf bank_mask:0xf
	v_cndmask_b32_e64 v19, v19, 0, s[8:9]
	v_add_u32_e32 v3, v3, v19
	s_nop 1
	v_mov_b32_dpp v19, v3 row_bcast:31 row_mask:0xf bank_mask:0xf
	v_cndmask_b32_e64 v19, 0, v19, s[10:11]
	v_add_u32_e32 v3, v3, v19
	s_and_saveexec_b64 s[26:27], s[12:13]
	s_cbranch_execz .LBB40_29
; %bb.28:                               ;   in Loop: Header=BB40_19 Depth=1
	ds_write_b32 v37, v3
.LBB40_29:                              ;   in Loop: Header=BB40_19 Depth=1
	s_or_b64 exec, exec, s[26:27]
	s_waitcnt lgkmcnt(0)
	s_barrier
	s_and_saveexec_b64 s[26:27], s[14:15]
	s_cbranch_execz .LBB40_31
; %bb.30:                               ;   in Loop: Header=BB40_19 Depth=1
	ds_read_b32 v19, v39
	s_waitcnt lgkmcnt(0)
	s_nop 0
	v_mov_b32_dpp v30, v19 row_shr:1 row_mask:0xf bank_mask:0xf
	v_cndmask_b32_e64 v30, v30, 0, s[22:23]
	v_add_u32_e32 v19, v30, v19
	s_nop 1
	v_mov_b32_dpp v30, v19 row_shr:2 row_mask:0xf bank_mask:0xf
	v_cndmask_b32_e64 v30, 0, v30, s[24:25]
	v_add_u32_e32 v19, v19, v30
	ds_write_b32 v39, v19
.LBB40_31:                              ;   in Loop: Header=BB40_19 Depth=1
	s_or_b64 exec, exec, s[26:27]
	v_mov_b32_e32 v30, 0
	s_waitcnt lgkmcnt(0)
	s_barrier
	s_and_saveexec_b64 s[26:27], s[16:17]
	s_cbranch_execz .LBB40_33
; %bb.32:                               ;   in Loop: Header=BB40_19 Depth=1
	ds_read_b32 v30, v38
.LBB40_33:                              ;   in Loop: Header=BB40_19 Depth=1
	s_or_b64 exec, exec, s[26:27]
	s_waitcnt lgkmcnt(0)
	v_add_u32_e32 v3, v30, v3
	ds_bpermute_b32 v47, v36, v3
	s_add_i32 s34, s34, 8
	v_mov_b32_e32 v3, v35
	v_lshrrev_b32_e32 v19, 8, v35
	s_cmp_ge_u32 s34, s36
	s_waitcnt lgkmcnt(0)
	v_cndmask_b32_e64 v30, v47, v30, s[18:19]
	v_cndmask_b32_e64 v48, v30, 0, s[20:21]
	v_add_u32_e32 v49, v48, v0
	v_add_u32_e32 v0, v49, v1
	;; [unrolled: 1-line block ×3, first 2 shown]
	ds_write2_b64 v33, v[48:49], v[0:1] offset0:2 offset1:3
	s_waitcnt lgkmcnt(0)
	s_barrier
	ds_read_b32 v0, v20
	ds_read_b32 v2, v23
	ds_read_b32 v20, v26
	ds_read_b32 v23, v28
	v_lshrrev_b32_e32 v1, 16, v35
	s_waitcnt lgkmcnt(3)
	v_add_u32_e32 v30, v0, v21
	s_waitcnt lgkmcnt(2)
	v_add3_u32 v28, v24, v22, v2
	s_waitcnt lgkmcnt(1)
	v_add3_u32 v2, v27, v25, v20
	;; [unrolled: 2-line block ×3, first 2 shown]
	s_cbranch_scc0 .LBB40_18
; %bb.34:
                                        ; implicit-def: $sgpr34
                                        ; implicit-def: $vgpr35
                                        ; implicit-def: $vgpr20_vgpr21
                                        ; implicit-def: $vgpr22_vgpr23
                                        ; implicit-def: $vgpr24_vgpr25
                                        ; implicit-def: $vgpr26_vgpr27
.LBB40_35:
	v_mad_u64_u32 v[14:15], s[0:1], v30, 7, v[30:31]
	s_barrier
	ds_write_b8 v30, v3
	ds_write_b8 v28, v19
	;; [unrolled: 1-line block ×4, first 2 shown]
	s_waitcnt lgkmcnt(0)
	s_barrier
	ds_read_u8 v9, v8
	ds_read_u8 v16, v8 offset:256
	ds_read_u8 v17, v8 offset:512
	;; [unrolled: 1-line block ×3, first 2 shown]
	s_waitcnt lgkmcnt(0)
	s_barrier
	ds_write_b64 v14, v[12:13]
	v_mad_u64_u32 v[12:13], s[0:1], v28, 7, v[28:29]
	v_mad_u64_u32 v[2:3], s[0:1], v2, 7, v[2:3]
	;; [unrolled: 1-line block ×3, first 2 shown]
	ds_write_b64 v12, v[10:11]
	ds_write_b64 v2, v[6:7]
	;; [unrolled: 1-line block ×3, first 2 shown]
	v_mad_u32_u24 v0, v8, 7, v8
	s_waitcnt lgkmcnt(0)
	s_barrier
	ds_read2st64_b64 v[4:7], v0 offset1:4
	ds_read2st64_b64 v[0:3], v0 offset0:8 offset1:12
	s_add_u32 s0, s38, s28
	s_addc_u32 s1, s39, 0
	v_mov_b32_e32 v11, s1
	v_add_co_u32_e32 v10, vcc, s0, v8
	v_addc_co_u32_e32 v11, vcc, 0, v11, vcc
	v_xor_b32_e32 v15, 0xffffff80, v9
	v_xor_b32_e32 v14, 0xffffff80, v16
	;; [unrolled: 1-line block ×4, first 2 shown]
	s_andn2_b64 vcc, exec, s[30:31]
	v_lshlrev_b32_e32 v12, 3, v8
	s_cbranch_vccnz .LBB40_37
; %bb.36:
	s_lshl_b64 s[0:1], s[28:29], 3
	s_add_u32 s0, s42, s0
	s_addc_u32 s1, s43, s1
	v_mov_b32_e32 v16, s1
	v_add_co_u32_e32 v17, vcc, s0, v12
	v_addc_co_u32_e32 v18, vcc, 0, v16, vcc
	v_add_co_u32_e32 v16, vcc, 0x1000, v17
	global_store_byte v[10:11], v15, off
	global_store_byte v[10:11], v14, off offset:256
	global_store_byte v[10:11], v13, off offset:512
	;; [unrolled: 1-line block ×3, first 2 shown]
	s_waitcnt lgkmcnt(1)
	global_store_dwordx2 v12, v[4:5], s[0:1]
	global_store_dwordx2 v12, v[6:7], s[0:1] offset:2048
	v_addc_co_u32_e32 v17, vcc, 0, v18, vcc
	s_mov_b64 s[6:7], -1
	s_waitcnt lgkmcnt(0)
	global_store_dwordx2 v[16:17], v[0:1], off
	s_cbranch_execz .LBB40_38
	s_branch .LBB40_51
.LBB40_37:
	s_mov_b64 s[6:7], 0
.LBB40_38:
	v_cmp_gt_u32_e32 vcc, s33, v8
	s_and_saveexec_b64 s[0:1], vcc
	s_cbranch_execz .LBB40_40
; %bb.39:
	global_store_byte v[10:11], v15, off
.LBB40_40:
	s_or_b64 exec, exec, s[0:1]
	v_add_u32_e32 v15, 0x100, v8
	v_cmp_gt_u32_e64 s[0:1], s33, v15
	s_and_saveexec_b64 s[2:3], s[0:1]
	s_cbranch_execz .LBB40_42
; %bb.41:
	global_store_byte v[10:11], v14, off offset:256
.LBB40_42:
	s_or_b64 exec, exec, s[2:3]
	v_add_u32_e32 v14, 0x200, v8
	v_cmp_gt_u32_e64 s[2:3], s33, v14
	s_and_saveexec_b64 s[4:5], s[2:3]
	s_cbranch_execz .LBB40_44
; %bb.43:
	global_store_byte v[10:11], v13, off offset:512
.LBB40_44:
	;; [unrolled: 8-line block ×3, first 2 shown]
	s_or_b64 exec, exec, s[4:5]
	s_lshl_b64 s[4:5], s[28:29], 3
	s_add_u32 s4, s42, s4
	s_addc_u32 s5, s43, s5
	v_mov_b32_e32 v9, s5
	v_add_co_u32_e64 v8, s[4:5], s4, v12
	v_addc_co_u32_e64 v9, s[4:5], 0, v9, s[4:5]
	s_and_saveexec_b64 s[4:5], vcc
	s_cbranch_execnz .LBB40_57
; %bb.47:
	s_or_b64 exec, exec, s[4:5]
	s_and_saveexec_b64 s[4:5], s[0:1]
	s_cbranch_execnz .LBB40_58
.LBB40_48:
	s_or_b64 exec, exec, s[4:5]
	s_and_saveexec_b64 s[0:1], s[2:3]
	s_cbranch_execz .LBB40_50
.LBB40_49:
	s_waitcnt lgkmcnt(1)
	v_add_co_u32_e32 v4, vcc, 0x1000, v8
	v_addc_co_u32_e32 v5, vcc, 0, v9, vcc
	s_waitcnt lgkmcnt(0)
	global_store_dwordx2 v[4:5], v[0:1], off
.LBB40_50:
	s_or_b64 exec, exec, s[0:1]
.LBB40_51:
	s_and_saveexec_b64 s[0:1], s[6:7]
	s_cbranch_execnz .LBB40_53
; %bb.52:
	s_endpgm
.LBB40_53:
	s_lshl_b64 s[0:1], s[28:29], 3
	s_add_u32 s0, s42, s0
	s_addc_u32 s1, s43, s1
	s_waitcnt lgkmcnt(0)
	v_mov_b32_e32 v0, s1
	v_add_co_u32_e32 v1, vcc, s0, v12
	v_addc_co_u32_e32 v4, vcc, 0, v0, vcc
	v_add_co_u32_e32 v0, vcc, 0x1000, v1
	v_addc_co_u32_e32 v1, vcc, 0, v4, vcc
	global_store_dwordx2 v[0:1], v[2:3], off offset:2048
	s_endpgm
.LBB40_54:
	global_load_dwordx2 v[20:21], v[4:5], off
	s_or_b64 exec, exec, s[8:9]
                                        ; implicit-def: $vgpr22_vgpr23
	s_and_saveexec_b64 s[8:9], s[0:1]
	s_cbranch_execz .LBB40_13
.LBB40_55:
	global_load_dwordx2 v[22:23], v[4:5], off offset:512
	s_or_b64 exec, exec, s[8:9]
                                        ; implicit-def: $vgpr24_vgpr25
	s_and_saveexec_b64 s[0:1], s[2:3]
	s_cbranch_execz .LBB40_14
.LBB40_56:
	global_load_dwordx2 v[24:25], v[4:5], off offset:1024
	s_or_b64 exec, exec, s[0:1]
                                        ; implicit-def: $vgpr26_vgpr27
	s_and_saveexec_b64 s[0:1], s[6:7]
	s_cbranch_execnz .LBB40_15
	s_branch .LBB40_16
.LBB40_57:
	s_waitcnt lgkmcnt(1)
	global_store_dwordx2 v[8:9], v[4:5], off
	s_or_b64 exec, exec, s[4:5]
	s_and_saveexec_b64 s[4:5], s[0:1]
	s_cbranch_execz .LBB40_48
.LBB40_58:
	s_waitcnt lgkmcnt(1)
	global_store_dwordx2 v[8:9], v[6:7], off offset:2048
	s_or_b64 exec, exec, s[4:5]
	s_and_saveexec_b64 s[0:1], s[2:3]
	s_cbranch_execnz .LBB40_49
	s_branch .LBB40_50
	.section	.rodata,"a",@progbits
	.p2align	6, 0x0
	.amdhsa_kernel _ZN7rocprim17ROCPRIM_304000_NS6detail28radix_sort_block_sort_kernelINS1_36wrapped_radix_sort_block_sort_configINS0_13kernel_configILj256ELj4ELj4294967295EEEaN2at4cuda3cub6detail10OpaqueTypeILi8EEEEELb0EPKaPaPKSB_PSB_NS0_19identity_decomposerEEEvT1_T2_T3_T4_jT5_jj
		.amdhsa_group_segment_fixed_size 8192
		.amdhsa_private_segment_fixed_size 0
		.amdhsa_kernarg_size 304
		.amdhsa_user_sgpr_count 6
		.amdhsa_user_sgpr_private_segment_buffer 1
		.amdhsa_user_sgpr_dispatch_ptr 0
		.amdhsa_user_sgpr_queue_ptr 0
		.amdhsa_user_sgpr_kernarg_segment_ptr 1
		.amdhsa_user_sgpr_dispatch_id 0
		.amdhsa_user_sgpr_flat_scratch_init 0
		.amdhsa_user_sgpr_kernarg_preload_length 0
		.amdhsa_user_sgpr_kernarg_preload_offset 0
		.amdhsa_user_sgpr_private_segment_size 0
		.amdhsa_uses_dynamic_stack 0
		.amdhsa_system_sgpr_private_segment_wavefront_offset 0
		.amdhsa_system_sgpr_workgroup_id_x 1
		.amdhsa_system_sgpr_workgroup_id_y 0
		.amdhsa_system_sgpr_workgroup_id_z 0
		.amdhsa_system_sgpr_workgroup_info 0
		.amdhsa_system_vgpr_workitem_id 2
		.amdhsa_next_free_vgpr 50
		.amdhsa_next_free_sgpr 44
		.amdhsa_accum_offset 52
		.amdhsa_reserve_vcc 1
		.amdhsa_reserve_flat_scratch 0
		.amdhsa_float_round_mode_32 0
		.amdhsa_float_round_mode_16_64 0
		.amdhsa_float_denorm_mode_32 3
		.amdhsa_float_denorm_mode_16_64 3
		.amdhsa_dx10_clamp 1
		.amdhsa_ieee_mode 1
		.amdhsa_fp16_overflow 0
		.amdhsa_tg_split 0
		.amdhsa_exception_fp_ieee_invalid_op 0
		.amdhsa_exception_fp_denorm_src 0
		.amdhsa_exception_fp_ieee_div_zero 0
		.amdhsa_exception_fp_ieee_overflow 0
		.amdhsa_exception_fp_ieee_underflow 0
		.amdhsa_exception_fp_ieee_inexact 0
		.amdhsa_exception_int_div_zero 0
	.end_amdhsa_kernel
	.section	.text._ZN7rocprim17ROCPRIM_304000_NS6detail28radix_sort_block_sort_kernelINS1_36wrapped_radix_sort_block_sort_configINS0_13kernel_configILj256ELj4ELj4294967295EEEaN2at4cuda3cub6detail10OpaqueTypeILi8EEEEELb0EPKaPaPKSB_PSB_NS0_19identity_decomposerEEEvT1_T2_T3_T4_jT5_jj,"axG",@progbits,_ZN7rocprim17ROCPRIM_304000_NS6detail28radix_sort_block_sort_kernelINS1_36wrapped_radix_sort_block_sort_configINS0_13kernel_configILj256ELj4ELj4294967295EEEaN2at4cuda3cub6detail10OpaqueTypeILi8EEEEELb0EPKaPaPKSB_PSB_NS0_19identity_decomposerEEEvT1_T2_T3_T4_jT5_jj,comdat
.Lfunc_end40:
	.size	_ZN7rocprim17ROCPRIM_304000_NS6detail28radix_sort_block_sort_kernelINS1_36wrapped_radix_sort_block_sort_configINS0_13kernel_configILj256ELj4ELj4294967295EEEaN2at4cuda3cub6detail10OpaqueTypeILi8EEEEELb0EPKaPaPKSB_PSB_NS0_19identity_decomposerEEEvT1_T2_T3_T4_jT5_jj, .Lfunc_end40-_ZN7rocprim17ROCPRIM_304000_NS6detail28radix_sort_block_sort_kernelINS1_36wrapped_radix_sort_block_sort_configINS0_13kernel_configILj256ELj4ELj4294967295EEEaN2at4cuda3cub6detail10OpaqueTypeILi8EEEEELb0EPKaPaPKSB_PSB_NS0_19identity_decomposerEEEvT1_T2_T3_T4_jT5_jj
                                        ; -- End function
	.section	.AMDGPU.csdata,"",@progbits
; Kernel info:
; codeLenInByte = 3976
; NumSgprs: 48
; NumVgprs: 50
; NumAgprs: 0
; TotalNumVgprs: 50
; ScratchSize: 0
; MemoryBound: 0
; FloatMode: 240
; IeeeMode: 1
; LDSByteSize: 8192 bytes/workgroup (compile time only)
; SGPRBlocks: 5
; VGPRBlocks: 6
; NumSGPRsForWavesPerEU: 48
; NumVGPRsForWavesPerEU: 50
; AccumOffset: 52
; Occupancy: 8
; WaveLimiterHint : 1
; COMPUTE_PGM_RSRC2:SCRATCH_EN: 0
; COMPUTE_PGM_RSRC2:USER_SGPR: 6
; COMPUTE_PGM_RSRC2:TRAP_HANDLER: 0
; COMPUTE_PGM_RSRC2:TGID_X_EN: 1
; COMPUTE_PGM_RSRC2:TGID_Y_EN: 0
; COMPUTE_PGM_RSRC2:TGID_Z_EN: 0
; COMPUTE_PGM_RSRC2:TIDIG_COMP_CNT: 2
; COMPUTE_PGM_RSRC3_GFX90A:ACCUM_OFFSET: 12
; COMPUTE_PGM_RSRC3_GFX90A:TG_SPLIT: 0
	.section	.text._ZN7rocprim17ROCPRIM_304000_NS6detail45device_block_merge_mergepath_partition_kernelINS1_37wrapped_merge_sort_block_merge_configINS0_14default_configEaN2at4cuda3cub6detail10OpaqueTypeILi8EEEEEPajNS1_19radix_merge_compareILb0ELb0EaNS0_19identity_decomposerEEEEEvT0_T1_jPSH_T2_SH_,"axG",@progbits,_ZN7rocprim17ROCPRIM_304000_NS6detail45device_block_merge_mergepath_partition_kernelINS1_37wrapped_merge_sort_block_merge_configINS0_14default_configEaN2at4cuda3cub6detail10OpaqueTypeILi8EEEEEPajNS1_19radix_merge_compareILb0ELb0EaNS0_19identity_decomposerEEEEEvT0_T1_jPSH_T2_SH_,comdat
	.protected	_ZN7rocprim17ROCPRIM_304000_NS6detail45device_block_merge_mergepath_partition_kernelINS1_37wrapped_merge_sort_block_merge_configINS0_14default_configEaN2at4cuda3cub6detail10OpaqueTypeILi8EEEEEPajNS1_19radix_merge_compareILb0ELb0EaNS0_19identity_decomposerEEEEEvT0_T1_jPSH_T2_SH_ ; -- Begin function _ZN7rocprim17ROCPRIM_304000_NS6detail45device_block_merge_mergepath_partition_kernelINS1_37wrapped_merge_sort_block_merge_configINS0_14default_configEaN2at4cuda3cub6detail10OpaqueTypeILi8EEEEEPajNS1_19radix_merge_compareILb0ELb0EaNS0_19identity_decomposerEEEEEvT0_T1_jPSH_T2_SH_
	.globl	_ZN7rocprim17ROCPRIM_304000_NS6detail45device_block_merge_mergepath_partition_kernelINS1_37wrapped_merge_sort_block_merge_configINS0_14default_configEaN2at4cuda3cub6detail10OpaqueTypeILi8EEEEEPajNS1_19radix_merge_compareILb0ELb0EaNS0_19identity_decomposerEEEEEvT0_T1_jPSH_T2_SH_
	.p2align	8
	.type	_ZN7rocprim17ROCPRIM_304000_NS6detail45device_block_merge_mergepath_partition_kernelINS1_37wrapped_merge_sort_block_merge_configINS0_14default_configEaN2at4cuda3cub6detail10OpaqueTypeILi8EEEEEPajNS1_19radix_merge_compareILb0ELb0EaNS0_19identity_decomposerEEEEEvT0_T1_jPSH_T2_SH_,@function
_ZN7rocprim17ROCPRIM_304000_NS6detail45device_block_merge_mergepath_partition_kernelINS1_37wrapped_merge_sort_block_merge_configINS0_14default_configEaN2at4cuda3cub6detail10OpaqueTypeILi8EEEEEPajNS1_19radix_merge_compareILb0ELb0EaNS0_19identity_decomposerEEEEEvT0_T1_jPSH_T2_SH_: ; @_ZN7rocprim17ROCPRIM_304000_NS6detail45device_block_merge_mergepath_partition_kernelINS1_37wrapped_merge_sort_block_merge_configINS0_14default_configEaN2at4cuda3cub6detail10OpaqueTypeILi8EEEEEPajNS1_19radix_merge_compareILb0ELb0EaNS0_19identity_decomposerEEEEEvT0_T1_jPSH_T2_SH_
; %bb.0:
	s_load_dwordx2 s[0:1], s[4:5], 0x8
	v_lshl_or_b32 v0, s6, 7, v0
	s_waitcnt lgkmcnt(0)
	v_cmp_gt_u32_e32 vcc, s1, v0
	s_and_saveexec_b64 s[2:3], vcc
	s_cbranch_execz .LBB41_6
; %bb.1:
	s_load_dword s1, s[4:5], 0x1c
	s_waitcnt lgkmcnt(0)
	s_lshr_b32 s2, s1, 9
	s_and_b32 s2, s2, 0x7ffffe
	s_add_i32 s3, s2, -1
	s_sub_i32 s2, 0, s2
	v_and_b32_e32 v1, s2, v0
	v_lshlrev_b32_e32 v3, 10, v1
	v_min_u32_e32 v1, s0, v3
	v_add_u32_e32 v3, s1, v3
	v_min_u32_e32 v7, s0, v3
	v_add_u32_e32 v3, s1, v7
	v_and_b32_e32 v2, s3, v0
	v_min_u32_e32 v4, s0, v3
	v_lshlrev_b32_e32 v2, 10, v2
	v_sub_u32_e32 v3, v4, v1
	v_min_u32_e32 v3, v3, v2
	v_sub_u32_e32 v5, v7, v1
	v_sub_u32_e32 v2, v4, v7
	v_sub_u32_e64 v2, v3, v2 clamp
	v_min_u32_e32 v4, v3, v5
	v_cmp_lt_u32_e32 vcc, v2, v4
	s_and_saveexec_b64 s[0:1], vcc
	s_cbranch_execz .LBB41_5
; %bb.2:
	s_load_dwordx2 s[2:3], s[4:5], 0x0
	s_waitcnt lgkmcnt(0)
	v_mov_b32_e32 v8, s3
	v_add_co_u32_e32 v5, vcc, s2, v1
	v_addc_co_u32_e32 v6, vcc, 0, v8, vcc
	v_add_co_u32_e32 v7, vcc, s2, v7
	v_addc_co_u32_e32 v8, vcc, 0, v8, vcc
	s_mov_b64 s[2:3], 0
.LBB41_3:                               ; =>This Inner Loop Header: Depth=1
	v_add_u32_e32 v9, v4, v2
	v_lshrrev_b32_e32 v9, 1, v9
	v_add_co_u32_e32 v10, vcc, v5, v9
	v_xad_u32 v12, v9, -1, v3
	v_addc_co_u32_e32 v11, vcc, 0, v6, vcc
	v_add_co_u32_e32 v12, vcc, v7, v12
	v_addc_co_u32_e32 v13, vcc, 0, v8, vcc
	global_load_sbyte v14, v[10:11], off
	global_load_sbyte v15, v[12:13], off
	v_add_u32_e32 v10, 1, v9
	s_waitcnt vmcnt(0)
	v_cmp_gt_i16_e32 vcc, v14, v15
	v_cndmask_b32_e32 v4, v4, v9, vcc
	v_cndmask_b32_e32 v2, v10, v2, vcc
	v_cmp_ge_u32_e32 vcc, v2, v4
	s_or_b64 s[2:3], vcc, s[2:3]
	s_andn2_b64 exec, exec, s[2:3]
	s_cbranch_execnz .LBB41_3
; %bb.4:
	s_or_b64 exec, exec, s[2:3]
.LBB41_5:
	s_or_b64 exec, exec, s[0:1]
	s_load_dwordx2 s[0:1], s[4:5], 0x10
	v_add_u32_e32 v2, v2, v1
	v_mov_b32_e32 v1, 0
	v_lshlrev_b64 v[0:1], 2, v[0:1]
	s_waitcnt lgkmcnt(0)
	v_mov_b32_e32 v3, s1
	v_add_co_u32_e32 v0, vcc, s0, v0
	v_addc_co_u32_e32 v1, vcc, v3, v1, vcc
	global_store_dword v[0:1], v2, off
.LBB41_6:
	s_endpgm
	.section	.rodata,"a",@progbits
	.p2align	6, 0x0
	.amdhsa_kernel _ZN7rocprim17ROCPRIM_304000_NS6detail45device_block_merge_mergepath_partition_kernelINS1_37wrapped_merge_sort_block_merge_configINS0_14default_configEaN2at4cuda3cub6detail10OpaqueTypeILi8EEEEEPajNS1_19radix_merge_compareILb0ELb0EaNS0_19identity_decomposerEEEEEvT0_T1_jPSH_T2_SH_
		.amdhsa_group_segment_fixed_size 0
		.amdhsa_private_segment_fixed_size 0
		.amdhsa_kernarg_size 32
		.amdhsa_user_sgpr_count 6
		.amdhsa_user_sgpr_private_segment_buffer 1
		.amdhsa_user_sgpr_dispatch_ptr 0
		.amdhsa_user_sgpr_queue_ptr 0
		.amdhsa_user_sgpr_kernarg_segment_ptr 1
		.amdhsa_user_sgpr_dispatch_id 0
		.amdhsa_user_sgpr_flat_scratch_init 0
		.amdhsa_user_sgpr_kernarg_preload_length 0
		.amdhsa_user_sgpr_kernarg_preload_offset 0
		.amdhsa_user_sgpr_private_segment_size 0
		.amdhsa_uses_dynamic_stack 0
		.amdhsa_system_sgpr_private_segment_wavefront_offset 0
		.amdhsa_system_sgpr_workgroup_id_x 1
		.amdhsa_system_sgpr_workgroup_id_y 0
		.amdhsa_system_sgpr_workgroup_id_z 0
		.amdhsa_system_sgpr_workgroup_info 0
		.amdhsa_system_vgpr_workitem_id 0
		.amdhsa_next_free_vgpr 16
		.amdhsa_next_free_sgpr 7
		.amdhsa_accum_offset 16
		.amdhsa_reserve_vcc 1
		.amdhsa_reserve_flat_scratch 0
		.amdhsa_float_round_mode_32 0
		.amdhsa_float_round_mode_16_64 0
		.amdhsa_float_denorm_mode_32 3
		.amdhsa_float_denorm_mode_16_64 3
		.amdhsa_dx10_clamp 1
		.amdhsa_ieee_mode 1
		.amdhsa_fp16_overflow 0
		.amdhsa_tg_split 0
		.amdhsa_exception_fp_ieee_invalid_op 0
		.amdhsa_exception_fp_denorm_src 0
		.amdhsa_exception_fp_ieee_div_zero 0
		.amdhsa_exception_fp_ieee_overflow 0
		.amdhsa_exception_fp_ieee_underflow 0
		.amdhsa_exception_fp_ieee_inexact 0
		.amdhsa_exception_int_div_zero 0
	.end_amdhsa_kernel
	.section	.text._ZN7rocprim17ROCPRIM_304000_NS6detail45device_block_merge_mergepath_partition_kernelINS1_37wrapped_merge_sort_block_merge_configINS0_14default_configEaN2at4cuda3cub6detail10OpaqueTypeILi8EEEEEPajNS1_19radix_merge_compareILb0ELb0EaNS0_19identity_decomposerEEEEEvT0_T1_jPSH_T2_SH_,"axG",@progbits,_ZN7rocprim17ROCPRIM_304000_NS6detail45device_block_merge_mergepath_partition_kernelINS1_37wrapped_merge_sort_block_merge_configINS0_14default_configEaN2at4cuda3cub6detail10OpaqueTypeILi8EEEEEPajNS1_19radix_merge_compareILb0ELb0EaNS0_19identity_decomposerEEEEEvT0_T1_jPSH_T2_SH_,comdat
.Lfunc_end41:
	.size	_ZN7rocprim17ROCPRIM_304000_NS6detail45device_block_merge_mergepath_partition_kernelINS1_37wrapped_merge_sort_block_merge_configINS0_14default_configEaN2at4cuda3cub6detail10OpaqueTypeILi8EEEEEPajNS1_19radix_merge_compareILb0ELb0EaNS0_19identity_decomposerEEEEEvT0_T1_jPSH_T2_SH_, .Lfunc_end41-_ZN7rocprim17ROCPRIM_304000_NS6detail45device_block_merge_mergepath_partition_kernelINS1_37wrapped_merge_sort_block_merge_configINS0_14default_configEaN2at4cuda3cub6detail10OpaqueTypeILi8EEEEEPajNS1_19radix_merge_compareILb0ELb0EaNS0_19identity_decomposerEEEEEvT0_T1_jPSH_T2_SH_
                                        ; -- End function
	.section	.AMDGPU.csdata,"",@progbits
; Kernel info:
; codeLenInByte = 320
; NumSgprs: 11
; NumVgprs: 16
; NumAgprs: 0
; TotalNumVgprs: 16
; ScratchSize: 0
; MemoryBound: 0
; FloatMode: 240
; IeeeMode: 1
; LDSByteSize: 0 bytes/workgroup (compile time only)
; SGPRBlocks: 1
; VGPRBlocks: 1
; NumSGPRsForWavesPerEU: 11
; NumVGPRsForWavesPerEU: 16
; AccumOffset: 16
; Occupancy: 8
; WaveLimiterHint : 0
; COMPUTE_PGM_RSRC2:SCRATCH_EN: 0
; COMPUTE_PGM_RSRC2:USER_SGPR: 6
; COMPUTE_PGM_RSRC2:TRAP_HANDLER: 0
; COMPUTE_PGM_RSRC2:TGID_X_EN: 1
; COMPUTE_PGM_RSRC2:TGID_Y_EN: 0
; COMPUTE_PGM_RSRC2:TGID_Z_EN: 0
; COMPUTE_PGM_RSRC2:TIDIG_COMP_CNT: 0
; COMPUTE_PGM_RSRC3_GFX90A:ACCUM_OFFSET: 3
; COMPUTE_PGM_RSRC3_GFX90A:TG_SPLIT: 0
	.section	.text._ZN7rocprim17ROCPRIM_304000_NS6detail35device_block_merge_mergepath_kernelINS1_37wrapped_merge_sort_block_merge_configINS0_14default_configEaN2at4cuda3cub6detail10OpaqueTypeILi8EEEEEPaSC_PSA_SD_jNS1_19radix_merge_compareILb0ELb0EaNS0_19identity_decomposerEEEEEvT0_T1_T2_T3_T4_SL_jT5_PKSL_NS1_7vsmem_tE,"axG",@progbits,_ZN7rocprim17ROCPRIM_304000_NS6detail35device_block_merge_mergepath_kernelINS1_37wrapped_merge_sort_block_merge_configINS0_14default_configEaN2at4cuda3cub6detail10OpaqueTypeILi8EEEEEPaSC_PSA_SD_jNS1_19radix_merge_compareILb0ELb0EaNS0_19identity_decomposerEEEEEvT0_T1_T2_T3_T4_SL_jT5_PKSL_NS1_7vsmem_tE,comdat
	.protected	_ZN7rocprim17ROCPRIM_304000_NS6detail35device_block_merge_mergepath_kernelINS1_37wrapped_merge_sort_block_merge_configINS0_14default_configEaN2at4cuda3cub6detail10OpaqueTypeILi8EEEEEPaSC_PSA_SD_jNS1_19radix_merge_compareILb0ELb0EaNS0_19identity_decomposerEEEEEvT0_T1_T2_T3_T4_SL_jT5_PKSL_NS1_7vsmem_tE ; -- Begin function _ZN7rocprim17ROCPRIM_304000_NS6detail35device_block_merge_mergepath_kernelINS1_37wrapped_merge_sort_block_merge_configINS0_14default_configEaN2at4cuda3cub6detail10OpaqueTypeILi8EEEEEPaSC_PSA_SD_jNS1_19radix_merge_compareILb0ELb0EaNS0_19identity_decomposerEEEEEvT0_T1_T2_T3_T4_SL_jT5_PKSL_NS1_7vsmem_tE
	.globl	_ZN7rocprim17ROCPRIM_304000_NS6detail35device_block_merge_mergepath_kernelINS1_37wrapped_merge_sort_block_merge_configINS0_14default_configEaN2at4cuda3cub6detail10OpaqueTypeILi8EEEEEPaSC_PSA_SD_jNS1_19radix_merge_compareILb0ELb0EaNS0_19identity_decomposerEEEEEvT0_T1_T2_T3_T4_SL_jT5_PKSL_NS1_7vsmem_tE
	.p2align	8
	.type	_ZN7rocprim17ROCPRIM_304000_NS6detail35device_block_merge_mergepath_kernelINS1_37wrapped_merge_sort_block_merge_configINS0_14default_configEaN2at4cuda3cub6detail10OpaqueTypeILi8EEEEEPaSC_PSA_SD_jNS1_19radix_merge_compareILb0ELb0EaNS0_19identity_decomposerEEEEEvT0_T1_T2_T3_T4_SL_jT5_PKSL_NS1_7vsmem_tE,@function
_ZN7rocprim17ROCPRIM_304000_NS6detail35device_block_merge_mergepath_kernelINS1_37wrapped_merge_sort_block_merge_configINS0_14default_configEaN2at4cuda3cub6detail10OpaqueTypeILi8EEEEEPaSC_PSA_SD_jNS1_19radix_merge_compareILb0ELb0EaNS0_19identity_decomposerEEEEEvT0_T1_T2_T3_T4_SL_jT5_PKSL_NS1_7vsmem_tE: ; @_ZN7rocprim17ROCPRIM_304000_NS6detail35device_block_merge_mergepath_kernelINS1_37wrapped_merge_sort_block_merge_configINS0_14default_configEaN2at4cuda3cub6detail10OpaqueTypeILi8EEEEEPaSC_PSA_SD_jNS1_19radix_merge_compareILb0ELb0EaNS0_19identity_decomposerEEEEEvT0_T1_T2_T3_T4_SL_jT5_PKSL_NS1_7vsmem_tE
; %bb.0:
	s_load_dwordx2 s[24:25], s[4:5], 0x40
	s_load_dwordx4 s[16:19], s[4:5], 0x20
	s_add_u32 s2, s4, 64
	s_addc_u32 s3, s5, 0
	s_waitcnt lgkmcnt(0)
	s_mul_i32 s0, s25, s8
	s_add_i32 s0, s0, s7
	s_mul_i32 s0, s0, s24
	s_add_i32 s0, s0, s6
	s_cmp_ge_u32 s0, s18
	s_cbranch_scc1 .LBB42_75
; %bb.1:
	s_load_dwordx8 s[8:15], s[4:5], 0x0
	s_load_dwordx2 s[20:21], s[4:5], 0x30
	s_lshr_b32 s29, s16, 10
	s_cmp_lg_u32 s0, s29
	s_mov_b32 s1, 0
	s_cselect_b64 s[18:19], -1, 0
	s_lshl_b64 s[4:5], s[0:1], 2
	s_waitcnt lgkmcnt(0)
	s_add_u32 s4, s20, s4
	s_addc_u32 s5, s21, s5
	s_load_dwordx2 s[20:21], s[4:5], 0x0
	s_lshr_b32 s4, s17, 9
	s_and_b32 s4, s4, 0x7ffffe
	s_sub_i32 s4, 0, s4
	s_and_b32 s5, s0, s4
	s_lshl_b32 s7, s5, 10
	s_lshl_b32 s25, s0, 10
	;; [unrolled: 1-line block ×3, first 2 shown]
	s_sub_i32 s22, s25, s7
	s_add_i32 s5, s5, s17
	s_add_i32 s23, s5, s22
	s_waitcnt lgkmcnt(0)
	s_sub_i32 s22, s23, s20
	s_sub_i32 s23, s23, s21
	;; [unrolled: 1-line block ×3, first 2 shown]
	s_min_u32 s22, s16, s22
	s_addk_i32 s23, 0x400
	s_or_b32 s4, s0, s4
	s_min_u32 s7, s16, s5
	s_add_i32 s5, s5, s17
	s_cmp_eq_u32 s4, -1
	s_cselect_b32 s4, s5, s23
	s_cselect_b32 s5, s7, s21
	s_min_u32 s4, s4, s16
	s_sub_i32 s26, s5, s20
	s_sub_i32 s27, s4, s22
	s_add_u32 s5, s8, s20
	s_addc_u32 s28, s9, 0
	s_add_u32 s4, s8, s22
	s_addc_u32 s7, s9, 0
	s_cmp_lt_u32 s6, s24
	v_mov_b32_e32 v1, 0
	s_cselect_b32 s6, 12, 18
	global_load_dword v2, v1, s[2:3] offset:14
	s_add_u32 s2, s2, s6
	s_addc_u32 s3, s3, 0
	global_load_ushort v1, v1, s[2:3]
	s_mov_b32 s23, s1
	s_mov_b32 s21, s1
	s_cmp_eq_u32 s0, s29
	v_cmp_gt_u32_e32 vcc, s26, v0
	s_waitcnt vmcnt(1)
	v_lshrrev_b32_e32 v3, 16, v2
	v_and_b32_e32 v2, 0xffff, v2
	v_mul_lo_u32 v2, v2, v3
	s_waitcnt vmcnt(0)
	v_mul_lo_u32 v2, v2, v1
	v_add_u32_e32 v4, v2, v0
	v_add_u32_e32 v3, v4, v2
	s_cbranch_scc1 .LBB42_3
; %bb.2:
	v_mov_b32_e32 v1, s28
	v_add_co_u32_e64 v5, s[0:1], s5, v0
	v_addc_co_u32_e64 v1, s[0:1], 0, v1, s[0:1]
	v_subrev_u32_e32 v6, s26, v0
	v_mov_b32_e32 v7, s7
	v_add_co_u32_e64 v6, s[0:1], s4, v6
	v_addc_co_u32_e64 v7, s[0:1], 0, v7, s[0:1]
	v_cndmask_b32_e32 v11, v7, v1, vcc
	v_cndmask_b32_e32 v10, v6, v5, vcc
	v_mov_b32_e32 v1, s28
	v_add_co_u32_e32 v5, vcc, s5, v4
	v_addc_co_u32_e32 v1, vcc, 0, v1, vcc
	v_subrev_u32_e32 v6, s26, v4
	v_mov_b32_e32 v7, s7
	v_add_co_u32_e32 v6, vcc, s4, v6
	v_addc_co_u32_e32 v7, vcc, 0, v7, vcc
	v_cmp_gt_u32_e32 vcc, s26, v4
	v_cndmask_b32_e32 v13, v7, v1, vcc
	v_cndmask_b32_e32 v12, v6, v5, vcc
	v_mov_b32_e32 v1, s28
	v_add_co_u32_e32 v5, vcc, s5, v3
	v_addc_co_u32_e32 v1, vcc, 0, v1, vcc
	v_subrev_u32_e32 v6, s26, v3
	v_mov_b32_e32 v7, s7
	v_add_co_u32_e32 v6, vcc, s4, v6
	v_addc_co_u32_e32 v7, vcc, 0, v7, vcc
	v_cmp_gt_u32_e32 vcc, s26, v3
	v_cndmask_b32_e32 v15, v7, v1, vcc
	v_add_u32_e32 v1, v3, v2
	v_cndmask_b32_e32 v14, v6, v5, vcc
	v_mov_b32_e32 v5, s28
	v_add_co_u32_e32 v6, vcc, s5, v1
	v_addc_co_u32_e32 v5, vcc, 0, v5, vcc
	v_subrev_u32_e32 v7, s26, v1
	v_mov_b32_e32 v8, s7
	v_add_co_u32_e32 v7, vcc, s4, v7
	v_addc_co_u32_e32 v8, vcc, 0, v8, vcc
	v_cmp_gt_u32_e32 vcc, s26, v1
	v_cndmask_b32_e32 v17, v8, v5, vcc
	v_cndmask_b32_e32 v16, v7, v6, vcc
	global_load_ubyte v1, v[10:11], off
	global_load_ubyte v6, v[12:13], off
	global_load_ubyte v7, v[14:15], off
	global_load_ubyte v9, v[16:17], off
	s_add_i32 s17, s27, s26
	s_cbranch_execz .LBB42_4
	s_branch .LBB42_13
.LBB42_3:
                                        ; implicit-def: $vgpr1
                                        ; implicit-def: $vgpr6
                                        ; implicit-def: $vgpr7
                                        ; implicit-def: $vgpr9
                                        ; implicit-def: $sgpr17
.LBB42_4:
	s_add_i32 s17, s27, s26
	v_cmp_gt_u32_e32 vcc, s17, v0
                                        ; implicit-def: $vgpr1
	s_and_saveexec_b64 s[0:1], vcc
	s_cbranch_execz .LBB42_6
; %bb.5:
	s_waitcnt vmcnt(3)
	v_mov_b32_e32 v1, s28
	v_add_co_u32_e32 v5, vcc, s5, v0
	v_addc_co_u32_e32 v1, vcc, 0, v1, vcc
	s_waitcnt vmcnt(2)
	v_subrev_u32_e32 v6, s26, v0
	s_waitcnt vmcnt(1)
	v_mov_b32_e32 v7, s7
	v_add_co_u32_e32 v6, vcc, s4, v6
	v_addc_co_u32_e32 v7, vcc, 0, v7, vcc
	v_cmp_gt_u32_e32 vcc, s26, v0
	v_cndmask_b32_e32 v7, v7, v1, vcc
	v_cndmask_b32_e32 v6, v6, v5, vcc
	global_load_ubyte v1, v[6:7], off
.LBB42_6:
	s_or_b64 exec, exec, s[0:1]
	v_cmp_gt_u32_e32 vcc, s17, v4
                                        ; implicit-def: $vgpr6
	s_and_saveexec_b64 s[0:1], vcc
	s_cbranch_execz .LBB42_8
; %bb.7:
	v_mov_b32_e32 v5, s28
	s_waitcnt vmcnt(2)
	v_add_co_u32_e32 v6, vcc, s5, v4
	v_addc_co_u32_e32 v5, vcc, 0, v5, vcc
	s_waitcnt vmcnt(1)
	v_subrev_u32_e32 v7, s26, v4
	v_mov_b32_e32 v8, s7
	v_add_co_u32_e32 v7, vcc, s4, v7
	v_addc_co_u32_e32 v8, vcc, 0, v8, vcc
	v_cmp_gt_u32_e32 vcc, s26, v4
	v_cndmask_b32_e32 v5, v8, v5, vcc
	v_cndmask_b32_e32 v4, v7, v6, vcc
	global_load_ubyte v6, v[4:5], off
.LBB42_8:
	s_or_b64 exec, exec, s[0:1]
	v_cmp_gt_u32_e32 vcc, s17, v3
                                        ; implicit-def: $vgpr7
	s_and_saveexec_b64 s[0:1], vcc
	s_cbranch_execz .LBB42_10
; %bb.9:
	v_mov_b32_e32 v4, s28
	s_waitcnt vmcnt(1)
	v_add_co_u32_e32 v7, vcc, s5, v3
	v_addc_co_u32_e32 v4, vcc, 0, v4, vcc
	v_subrev_u32_e32 v5, s26, v3
	v_mov_b32_e32 v8, s7
	s_waitcnt vmcnt(0)
	v_add_co_u32_e32 v9, vcc, s4, v5
	v_addc_co_u32_e32 v5, vcc, 0, v8, vcc
	v_cmp_gt_u32_e32 vcc, s26, v3
	v_cndmask_b32_e32 v5, v5, v4, vcc
	v_cndmask_b32_e32 v4, v9, v7, vcc
	global_load_ubyte v7, v[4:5], off
.LBB42_10:
	s_or_b64 exec, exec, s[0:1]
	v_add_u32_e32 v2, v3, v2
	v_cmp_gt_u32_e32 vcc, s17, v2
                                        ; implicit-def: $vgpr9
	s_and_saveexec_b64 s[0:1], vcc
	s_cbranch_execz .LBB42_12
; %bb.11:
	v_mov_b32_e32 v3, s28
	v_add_co_u32_e32 v4, vcc, s5, v2
	v_addc_co_u32_e32 v3, vcc, 0, v3, vcc
	v_subrev_u32_e32 v5, s26, v2
	v_mov_b32_e32 v8, s7
	v_add_co_u32_e32 v5, vcc, s4, v5
	v_addc_co_u32_e32 v8, vcc, 0, v8, vcc
	v_cmp_gt_u32_e32 vcc, s26, v2
	v_cndmask_b32_e32 v3, v8, v3, vcc
	v_cndmask_b32_e32 v2, v5, v4, vcc
	global_load_ubyte v9, v[2:3], off
.LBB42_12:
	s_or_b64 exec, exec, s[0:1]
.LBB42_13:
	v_lshlrev_b32_e32 v8, 2, v0
	v_min_u32_e32 v3, s17, v8
	v_sub_u32_e64 v2, v3, s27 clamp
	v_min_u32_e32 v4, s26, v3
	v_cmp_lt_u32_e32 vcc, v2, v4
	s_waitcnt vmcnt(0)
	ds_write_b8 v0, v1
	ds_write_b8 v0, v6 offset:256
	ds_write_b8 v0, v7 offset:512
	;; [unrolled: 1-line block ×3, first 2 shown]
	s_waitcnt lgkmcnt(0)
	s_barrier
	s_and_saveexec_b64 s[0:1], vcc
	s_cbranch_execz .LBB42_17
; %bb.14:
	v_add_u32_e32 v5, s26, v3
	s_mov_b64 s[2:3], 0
.LBB42_15:                              ; =>This Inner Loop Header: Depth=1
	v_add_u32_e32 v10, v4, v2
	v_lshrrev_b32_e32 v10, 1, v10
	v_xad_u32 v11, v10, -1, v5
	ds_read_i8 v12, v10
	ds_read_i8 v11, v11
	v_add_u32_e32 v13, 1, v10
	s_waitcnt lgkmcnt(0)
	v_cmp_gt_i16_e32 vcc, v12, v11
	v_cndmask_b32_e32 v4, v4, v10, vcc
	v_cndmask_b32_e32 v2, v13, v2, vcc
	v_cmp_ge_u32_e32 vcc, v2, v4
	s_or_b64 s[2:3], vcc, s[2:3]
	s_andn2_b64 exec, exec, s[2:3]
	s_cbranch_execnz .LBB42_15
; %bb.16:
	s_or_b64 exec, exec, s[2:3]
.LBB42_17:
	s_or_b64 exec, exec, s[0:1]
	v_sub_u32_e32 v3, v3, v2
	v_add_u32_e32 v3, s26, v3
	v_cmp_ge_u32_e32 vcc, s26, v2
	v_cmp_ge_u32_e64 s[0:1], s17, v3
	s_or_b64 s[0:1], vcc, s[0:1]
                                        ; implicit-def: $vgpr10
                                        ; implicit-def: $vgpr11
                                        ; implicit-def: $vgpr12
                                        ; implicit-def: $vgpr13
	s_and_saveexec_b64 s[6:7], s[0:1]
	s_cbranch_execz .LBB42_23
; %bb.18:
	v_cmp_gt_u32_e32 vcc, s26, v2
                                        ; implicit-def: $vgpr1
	s_and_saveexec_b64 s[0:1], vcc
	s_cbranch_execz .LBB42_20
; %bb.19:
	ds_read_u8 v1, v2
.LBB42_20:
	s_or_b64 exec, exec, s[0:1]
	v_cmp_le_u32_e64 s[0:1], s17, v3
	v_cmp_gt_u32_e64 s[2:3], s17, v3
                                        ; implicit-def: $vgpr4
	s_and_saveexec_b64 s[4:5], s[2:3]
	s_cbranch_execz .LBB42_22
; %bb.21:
	ds_read_u8 v4, v3
.LBB42_22:
	s_or_b64 exec, exec, s[4:5]
	s_waitcnt lgkmcnt(0)
	v_cmp_le_i16_sdwa s[2:3], sext(v1), sext(v4) src0_sel:BYTE_0 src1_sel:BYTE_0
	s_and_b64 s[2:3], vcc, s[2:3]
	s_or_b64 vcc, s[0:1], s[2:3]
	v_mov_b32_e32 v5, s17
	v_mov_b32_e32 v6, s26
	v_cndmask_b32_e32 v13, v3, v2, vcc
	v_cndmask_b32_e32 v7, v5, v6, vcc
	v_add_u32_e32 v9, 1, v13
	v_add_u32_e32 v7, -1, v7
	v_min_u32_e32 v7, v9, v7
	ds_read_u8 v7, v7
	v_cndmask_b32_e32 v2, v2, v9, vcc
	v_cndmask_b32_e32 v3, v9, v3, vcc
	v_cmp_gt_u32_e64 s[2:3], s26, v2
	v_cmp_le_u32_e64 s[0:1], s17, v3
	s_waitcnt lgkmcnt(0)
	v_cndmask_b32_e32 v10, v7, v4, vcc
	v_cndmask_b32_e32 v7, v1, v7, vcc
	v_cmp_le_i16_sdwa s[4:5], sext(v7), sext(v10) src0_sel:BYTE_0 src1_sel:BYTE_0
	s_and_b64 s[2:3], s[2:3], s[4:5]
	s_or_b64 s[0:1], s[0:1], s[2:3]
	v_cndmask_b32_e64 v12, v3, v2, s[0:1]
	v_cndmask_b32_e64 v9, v5, v6, s[0:1]
	v_add_u32_e32 v11, 1, v12
	v_add_u32_e32 v9, -1, v9
	v_min_u32_e32 v9, v11, v9
	ds_read_u8 v9, v9
	v_cndmask_b32_e64 v2, v2, v11, s[0:1]
	v_cndmask_b32_e64 v3, v11, v3, s[0:1]
	v_cmp_gt_u32_e64 s[4:5], s26, v2
	v_cmp_le_u32_e64 s[2:3], s17, v3
	s_waitcnt lgkmcnt(0)
	v_cndmask_b32_e64 v14, v9, v10, s[0:1]
	v_cndmask_b32_e64 v9, v7, v9, s[0:1]
	v_cmp_le_i16_sdwa s[8:9], sext(v9), sext(v14) src0_sel:BYTE_0 src1_sel:BYTE_0
	s_and_b64 s[4:5], s[4:5], s[8:9]
	s_or_b64 s[2:3], s[2:3], s[4:5]
	v_cndmask_b32_e64 v11, v3, v2, s[2:3]
	v_cndmask_b32_e64 v5, v5, v6, s[2:3]
	v_add_u32_e32 v15, 1, v11
	v_add_u32_e32 v5, -1, v5
	v_min_u32_e32 v5, v15, v5
	ds_read_u8 v5, v5
	v_cndmask_b32_e32 v1, v4, v1, vcc
	v_cndmask_b32_e64 v2, v2, v15, s[2:3]
	v_cndmask_b32_e64 v6, v10, v7, s[0:1]
	;; [unrolled: 1-line block ×3, first 2 shown]
	s_waitcnt lgkmcnt(0)
	v_cndmask_b32_e64 v4, v5, v14, s[2:3]
	v_cndmask_b32_e64 v5, v9, v5, s[2:3]
	v_cndmask_b32_e64 v3, v15, v3, s[2:3]
	v_cmp_gt_u32_e64 s[0:1], s26, v2
	v_cmp_le_i16_sdwa s[2:3], sext(v5), sext(v4) src0_sel:BYTE_0 src1_sel:BYTE_0
	v_cmp_le_u32_e32 vcc, s17, v3
	s_and_b64 s[0:1], s[0:1], s[2:3]
	s_or_b64 vcc, vcc, s[0:1]
	v_cndmask_b32_e32 v10, v3, v2, vcc
	v_cndmask_b32_e32 v9, v4, v5, vcc
.LBB42_23:
	s_or_b64 exec, exec, s[6:7]
	s_lshl_b64 s[0:1], s[20:21], 3
	s_add_u32 s24, s12, s0
	s_addc_u32 s28, s13, s1
	s_lshl_b64 s[0:1], s[22:23], 3
	s_add_u32 s29, s12, s0
	v_cndmask_b32_e64 v2, 0, 1, s[18:19]
	s_addc_u32 s30, s13, s1
	v_cmp_gt_u32_e64 s[4:5], s26, v0
	v_cmp_ne_u32_e64 s[0:1], 1, v2
	s_andn2_b64 vcc, exec, s[18:19]
	v_cmp_le_u32_e64 s[2:3], s26, v0
	s_barrier
	s_cbranch_vccnz .LBB42_25
; %bb.24:
	v_subrev_u32_e32 v2, s26, v0
	v_mov_b32_e32 v3, 0
	v_lshlrev_b64 v[4:5], 3, v[2:3]
	v_mov_b32_e32 v2, s30
	v_add_co_u32_e32 v4, vcc, s29, v4
	v_addc_co_u32_e32 v2, vcc, v2, v5, vcc
	v_lshlrev_b32_e32 v20, 3, v0
	v_mov_b32_e32 v5, s28
	v_add_co_u32_e32 v21, vcc, s24, v20
	v_addc_co_u32_e32 v22, vcc, 0, v5, vcc
	v_cndmask_b32_e64 v5, v2, v22, s[4:5]
	v_cndmask_b32_e64 v4, v4, v21, s[4:5]
	v_or_b32_e32 v16, 0x100, v0
	s_movk_i32 s4, 0x800
	v_add_co_u32_e32 v17, vcc, s4, v21
	v_subrev_u32_e32 v2, s26, v16
	v_addc_co_u32_e32 v18, vcc, 0, v22, vcc
	v_lshlrev_b64 v[14:15], 3, v[2:3]
	v_mov_b32_e32 v2, s30
	v_add_co_u32_e32 v14, vcc, s29, v14
	v_addc_co_u32_e32 v2, vcc, v2, v15, vcc
	v_cmp_gt_u32_e32 vcc, s26, v16
	v_cndmask_b32_e32 v15, v2, v18, vcc
	v_or_b32_e32 v18, 0x200, v0
	s_movk_i32 s4, 0x1000
	v_cndmask_b32_e32 v14, v14, v17, vcc
	v_add_co_u32_e32 v19, vcc, s4, v21
	v_subrev_u32_e32 v2, s26, v18
	global_load_dwordx2 v[16:17], v[14:15], off
	v_addc_co_u32_e32 v23, vcc, 0, v22, vcc
	v_lshlrev_b64 v[14:15], 3, v[2:3]
	v_mov_b32_e32 v2, s30
	v_add_co_u32_e32 v14, vcc, s29, v14
	v_addc_co_u32_e32 v2, vcc, v2, v15, vcc
	v_cmp_gt_u32_e32 vcc, s26, v18
	global_load_dwordx2 v[4:5], v[4:5], off
	v_cndmask_b32_e32 v15, v2, v23, vcc
	v_cndmask_b32_e32 v14, v14, v19, vcc
	global_load_dwordx2 v[18:19], v[14:15], off
	v_or_b32_e32 v15, 0x300, v0
	s_movk_i32 s4, 0x1800
	v_add_co_u32_e32 v21, vcc, s4, v21
	v_subrev_u32_e32 v2, s26, v15
	v_addc_co_u32_e32 v22, vcc, 0, v22, vcc
	v_lshlrev_b64 v[2:3], 3, v[2:3]
	v_mov_b32_e32 v23, s30
	v_add_co_u32_e32 v2, vcc, s29, v2
	v_addc_co_u32_e32 v3, vcc, v23, v3, vcc
	v_cmp_gt_u32_e32 vcc, s26, v15
	v_or_b32_e32 v14, 0x1800, v20
	v_cndmask_b32_e32 v3, v3, v22, vcc
	v_cndmask_b32_e32 v2, v2, v21, vcc
	s_mov_b64 s[4:5], -1
	s_waitcnt vmcnt(1)
	ds_write2st64_b64 v20, v[4:5], v[16:17] offset1:4
	s_waitcnt vmcnt(0)
	ds_write_b64 v20, v[18:19] offset:4096
	s_cbranch_execz .LBB42_26
	s_branch .LBB42_47
.LBB42_25:
	s_mov_b64 s[4:5], 0
                                        ; implicit-def: $vgpr14
                                        ; implicit-def: $vgpr2_vgpr3
.LBB42_26:
	s_mov_b64 s[6:7], 0
                                        ; implicit-def: $vgpr2_vgpr3
	s_and_saveexec_b64 s[8:9], s[2:3]
	s_xor_b64 s[2:3], exec, s[8:9]
	s_cbranch_execz .LBB42_51
; %bb.27:
	v_subrev_u32_e32 v4, s26, v0
	v_cmp_gt_u32_e32 vcc, s27, v4
                                        ; implicit-def: $vgpr2_vgpr3
	s_and_saveexec_b64 s[8:9], vcc
	s_xor_b64 s[8:9], exec, s[8:9]
; %bb.28:
	v_mov_b32_e32 v5, 0
	v_lshlrev_b64 v[2:3], 3, v[4:5]
	v_mov_b32_e32 v4, s30
	v_add_co_u32_e32 v2, vcc, s29, v2
	s_mov_b64 s[6:7], exec
	v_addc_co_u32_e32 v3, vcc, v4, v3, vcc
; %bb.29:
	s_or_b64 exec, exec, s[8:9]
	s_and_b64 s[6:7], s[6:7], exec
	s_andn2_saveexec_b64 s[2:3], s[2:3]
	s_cbranch_execnz .LBB42_52
.LBB42_30:
	s_or_b64 exec, exec, s[2:3]
	v_mad_u32_u24 v14, v0, 7, v0
	s_and_saveexec_b64 s[2:3], s[6:7]
	s_cbranch_execz .LBB42_32
.LBB42_31:
	global_load_dwordx2 v[2:3], v[2:3], off
	s_waitcnt vmcnt(0)
	ds_write_b64 v14, v[2:3]
.LBB42_32:
	s_or_b64 exec, exec, s[2:3]
	v_or_b32_e32 v2, 0x100, v0
	v_cmp_le_u32_e32 vcc, s26, v2
	s_mov_b64 s[6:7], -1
	v_pk_mov_b32 v[4:5], s[20:21], s[20:21] op_sel:[0,1]
	s_and_saveexec_b64 s[2:3], vcc
; %bb.33:
	v_subrev_u32_e32 v2, s26, v2
	v_cmp_gt_u32_e32 vcc, s27, v2
	v_pk_mov_b32 v[4:5], s[22:23], s[22:23] op_sel:[0,1]
	s_orn2_b64 s[6:7], vcc, exec
; %bb.34:
	s_or_b64 exec, exec, s[2:3]
	s_and_saveexec_b64 s[2:3], s[6:7]
	s_cbranch_execz .LBB42_36
; %bb.35:
	v_lshlrev_b64 v[4:5], 3, v[4:5]
	v_mov_b32_e32 v3, s13
	v_add_co_u32_e32 v4, vcc, s12, v4
	v_addc_co_u32_e32 v5, vcc, v3, v5, vcc
	v_mov_b32_e32 v3, 0
	v_lshlrev_b64 v[2:3], 3, v[2:3]
	v_add_co_u32_e32 v2, vcc, v4, v2
	v_addc_co_u32_e32 v3, vcc, v5, v3, vcc
	global_load_dwordx2 v[2:3], v[2:3], off
	s_waitcnt vmcnt(0)
	ds_write_b64 v14, v[2:3] offset:2048
.LBB42_36:
	s_or_b64 exec, exec, s[2:3]
	v_or_b32_e32 v2, 0x200, v0
	v_cmp_le_u32_e32 vcc, s26, v2
	s_mov_b64 s[6:7], -1
	v_pk_mov_b32 v[4:5], s[20:21], s[20:21] op_sel:[0,1]
	s_and_saveexec_b64 s[2:3], vcc
; %bb.37:
	v_subrev_u32_e32 v2, s26, v2
	v_cmp_gt_u32_e32 vcc, s27, v2
	v_pk_mov_b32 v[4:5], s[22:23], s[22:23] op_sel:[0,1]
	s_orn2_b64 s[6:7], vcc, exec
; %bb.38:
	s_or_b64 exec, exec, s[2:3]
	s_and_saveexec_b64 s[2:3], s[6:7]
	s_cbranch_execz .LBB42_40
; %bb.39:
	v_lshlrev_b64 v[4:5], 3, v[4:5]
	v_mov_b32_e32 v3, s13
	v_add_co_u32_e32 v4, vcc, s12, v4
	v_addc_co_u32_e32 v5, vcc, v3, v5, vcc
	v_mov_b32_e32 v3, 0
	v_lshlrev_b64 v[2:3], 3, v[2:3]
	v_add_co_u32_e32 v2, vcc, v4, v2
	v_addc_co_u32_e32 v3, vcc, v5, v3, vcc
	global_load_dwordx2 v[2:3], v[2:3], off
	s_waitcnt vmcnt(0)
	ds_write_b64 v14, v[2:3] offset:4096
.LBB42_40:
	s_or_b64 exec, exec, s[2:3]
	v_or_b32_e32 v4, 0x300, v0
	v_cmp_le_u32_e32 vcc, s26, v4
                                        ; implicit-def: $vgpr14
                                        ; implicit-def: $vgpr2_vgpr3
	s_and_saveexec_b64 s[2:3], vcc
	s_xor_b64 s[2:3], exec, s[2:3]
	s_cbranch_execz .LBB42_44
; %bb.41:
	v_subrev_u32_e32 v4, s26, v4
	v_cmp_gt_u32_e32 vcc, s27, v4
	s_mov_b64 s[8:9], s[4:5]
                                        ; implicit-def: $vgpr14
                                        ; implicit-def: $vgpr2_vgpr3
	s_and_saveexec_b64 s[6:7], vcc
; %bb.42:
	v_mul_u32_u24_e32 v2, 7, v0
	s_movk_i32 s8, 0x1800
	v_mov_b32_e32 v5, 0
	v_add3_u32 v14, v0, v2, s8
	v_lshlrev_b64 v[2:3], 3, v[4:5]
	v_mov_b32_e32 v4, s30
	v_add_co_u32_e32 v2, vcc, s29, v2
	v_addc_co_u32_e32 v3, vcc, v4, v3, vcc
	s_or_b64 s[8:9], s[4:5], exec
; %bb.43:
	s_or_b64 exec, exec, s[6:7]
	s_andn2_b64 s[4:5], s[4:5], exec
	s_and_b64 s[6:7], s[8:9], exec
	s_or_b64 s[4:5], s[4:5], s[6:7]
                                        ; implicit-def: $vgpr4
.LBB42_44:
	s_andn2_saveexec_b64 s[2:3], s[2:3]
; %bb.45:
	v_lshlrev_b32_e32 v2, 3, v4
	v_mov_b32_e32 v3, s28
	v_add_co_u32_e32 v2, vcc, s24, v2
	v_mul_u32_u24_e32 v4, 7, v0
	s_movk_i32 s6, 0x1800
	v_addc_co_u32_e32 v3, vcc, 0, v3, vcc
	v_add3_u32 v14, v0, v4, s6
	s_or_b64 s[4:5], s[4:5], exec
; %bb.46:
	s_or_b64 exec, exec, s[2:3]
.LBB42_47:
	s_and_saveexec_b64 s[2:3], s[4:5]
	s_cbranch_execz .LBB42_49
; %bb.48:
	global_load_dwordx2 v[2:3], v[2:3], off
	s_waitcnt vmcnt(0)
	ds_write_b64 v14, v[2:3]
.LBB42_49:
	s_or_b64 exec, exec, s[2:3]
	s_and_b64 vcc, exec, s[0:1]
	v_add_u32_e32 v2, s25, v8
	s_waitcnt lgkmcnt(0)
	s_barrier
	s_cbranch_vccnz .LBB42_53
; %bb.50:
	v_lshlrev_b32_e32 v14, 3, v13
	v_lshlrev_b32_e32 v16, 3, v12
	;; [unrolled: 1-line block ×3, first 2 shown]
	ds_read_b64 v[14:15], v14
	ds_read_b64 v[16:17], v16
	;; [unrolled: 1-line block ×3, first 2 shown]
	v_mov_b32_e32 v3, 0
	v_lshlrev_b64 v[4:5], 3, v[2:3]
	v_mov_b32_e32 v20, s15
	v_add_co_u32_e32 v4, vcc, s14, v4
	v_addc_co_u32_e32 v5, vcc, v20, v5, vcc
	s_mov_b64 s[0:1], -1
	s_waitcnt lgkmcnt(1)
	global_store_dwordx4 v[4:5], v[14:17], off
	s_waitcnt lgkmcnt(0)
	global_store_dwordx2 v[4:5], v[18:19], off offset:16
	s_cbranch_execz .LBB42_54
	s_branch .LBB42_63
.LBB42_51:
	s_andn2_saveexec_b64 s[2:3], s[2:3]
	s_cbranch_execz .LBB42_30
.LBB42_52:
	v_lshlrev_b32_e32 v2, 3, v0
	v_mov_b32_e32 v3, s28
	v_add_co_u32_e32 v2, vcc, s24, v2
	v_addc_co_u32_e32 v3, vcc, 0, v3, vcc
	s_or_b64 s[6:7], s[6:7], exec
	s_or_b64 exec, exec, s[2:3]
	v_mad_u32_u24 v14, v0, 7, v0
	s_and_saveexec_b64 s[2:3], s[6:7]
	s_cbranch_execnz .LBB42_31
	s_branch .LBB42_32
.LBB42_53:
	s_mov_b64 s[0:1], 0
.LBB42_54:
	v_cmp_gt_u32_e32 vcc, s17, v8
	s_and_saveexec_b64 s[2:3], vcc
	s_cbranch_execz .LBB42_56
; %bb.55:
	v_lshlrev_b32_e32 v13, 3, v13
	ds_read_b64 v[14:15], v13
	v_mov_b32_e32 v3, 0
	v_lshlrev_b64 v[4:5], 3, v[2:3]
	v_mov_b32_e32 v3, s15
	v_add_co_u32_e32 v4, vcc, s14, v4
	v_addc_co_u32_e32 v5, vcc, v3, v5, vcc
	s_waitcnt lgkmcnt(0)
	global_store_dwordx2 v[4:5], v[14:15], off
.LBB42_56:
	s_or_b64 exec, exec, s[2:3]
	v_or_b32_e32 v3, 1, v8
	v_cmp_gt_u32_e32 vcc, s17, v3
	s_and_saveexec_b64 s[2:3], vcc
	s_cbranch_execz .LBB42_58
; %bb.57:
	v_lshlrev_b32_e32 v12, 3, v12
	ds_read_b64 v[12:13], v12
	v_mov_b32_e32 v3, 0
	v_lshlrev_b64 v[4:5], 3, v[2:3]
	v_mov_b32_e32 v3, s15
	v_add_co_u32_e32 v4, vcc, s14, v4
	v_addc_co_u32_e32 v5, vcc, v3, v5, vcc
	s_waitcnt lgkmcnt(0)
	global_store_dwordx2 v[4:5], v[12:13], off offset:8
.LBB42_58:
	s_or_b64 exec, exec, s[2:3]
	v_or_b32_e32 v3, 2, v8
	v_cmp_gt_u32_e32 vcc, s17, v3
	s_and_saveexec_b64 s[2:3], vcc
	s_cbranch_execz .LBB42_60
; %bb.59:
	v_lshlrev_b32_e32 v11, 3, v11
	ds_read_b64 v[12:13], v11
	v_mov_b32_e32 v3, 0
	v_lshlrev_b64 v[4:5], 3, v[2:3]
	v_mov_b32_e32 v3, s15
	v_add_co_u32_e32 v4, vcc, s14, v4
	v_addc_co_u32_e32 v5, vcc, v3, v5, vcc
	s_waitcnt lgkmcnt(0)
	global_store_dwordx2 v[4:5], v[12:13], off offset:16
.LBB42_60:
	s_or_b64 exec, exec, s[2:3]
	v_or_b32_e32 v3, 3, v8
	v_cmp_gt_u32_e32 vcc, s17, v3
	s_and_saveexec_b64 s[2:3], vcc
; %bb.61:
	v_mov_b32_e32 v3, 0
	s_or_b64 s[0:1], s[0:1], exec
; %bb.62:
	s_or_b64 exec, exec, s[2:3]
.LBB42_63:
	s_and_saveexec_b64 s[2:3], s[0:1]
	s_cbranch_execz .LBB42_65
; %bb.64:
	v_lshlrev_b32_e32 v4, 3, v10
	ds_read_b64 v[4:5], v4
	v_lshlrev_b64 v[2:3], 3, v[2:3]
	v_mov_b32_e32 v11, s15
	v_add_co_u32_e32 v2, vcc, s14, v2
	v_addc_co_u32_e32 v3, vcc, v11, v3, vcc
	s_waitcnt lgkmcnt(0)
	global_store_dwordx2 v[2:3], v[4:5], off offset:24
.LBB42_65:
	s_or_b64 exec, exec, s[2:3]
	v_lshlrev_b16_e32 v3, 8, v6
	v_lshrrev_b32_e32 v2, 3, v0
	v_or_b32_sdwa v1, v1, v3 dst_sel:DWORD dst_unused:UNUSED_PAD src0_sel:BYTE_0 src1_sel:DWORD
	v_lshlrev_b16_e32 v3, 8, v9
	v_and_b32_e32 v2, 28, v2
	v_or_b32_sdwa v3, v7, v3 dst_sel:WORD_1 dst_unused:UNUSED_PAD src0_sel:BYTE_0 src1_sel:DWORD
	v_add_u32_e32 v2, v2, v8
	v_or_b32_sdwa v1, v1, v3 dst_sel:DWORD dst_unused:UNUSED_PAD src0_sel:WORD_0 src1_sel:DWORD
	s_barrier
	s_barrier
	ds_write_b32 v2, v1
	v_lshrrev_b32_e32 v1, 5, v0
	v_or_b32_e32 v5, 0x100, v0
	v_and_b32_e32 v6, 4, v1
	v_lshrrev_b32_e32 v1, 5, v5
	v_or_b32_e32 v4, 0x200, v0
	v_and_b32_e32 v7, 12, v1
	v_lshrrev_b32_e32 v1, 5, v4
	s_add_u32 s0, s10, s25
	v_and_b32_e32 v9, 20, v1
	v_or_b32_e32 v1, 0x300, v0
	s_addc_u32 s1, s11, 0
	v_lshrrev_b32_e32 v2, 5, v1
	v_and_b32_e32 v10, 28, v2
	v_mov_b32_e32 v3, s1
	v_add_co_u32_e32 v2, vcc, s0, v0
	v_addc_co_u32_e32 v3, vcc, 0, v3, vcc
	s_and_b64 vcc, exec, s[18:19]
	v_add_u32_e32 v8, v0, v7
	v_add_u32_e32 v9, v0, v9
	;; [unrolled: 1-line block ×3, first 2 shown]
	s_waitcnt lgkmcnt(0)
	s_cbranch_vccz .LBB42_67
; %bb.66:
	v_add_u32_e32 v7, v0, v6
	s_barrier
	ds_read_u8 v11, v7
	ds_read_u8 v12, v8 offset:256
	ds_read_u8 v13, v9 offset:512
	;; [unrolled: 1-line block ×3, first 2 shown]
	s_waitcnt lgkmcnt(3)
	global_store_byte v[2:3], v11, off
	s_waitcnt lgkmcnt(2)
	global_store_byte v[2:3], v12, off offset:256
	s_waitcnt lgkmcnt(1)
	global_store_byte v[2:3], v13, off offset:512
	s_mov_b64 s[0:1], -1
	s_cbranch_execz .LBB42_68
	s_branch .LBB42_73
.LBB42_67:
	s_mov_b64 s[0:1], 0
                                        ; implicit-def: $vgpr7
.LBB42_68:
	s_barrier
	s_waitcnt lgkmcnt(0)
	ds_read_u8 v11, v8 offset:256
	ds_read_u8 v8, v9 offset:512
	;; [unrolled: 1-line block ×3, first 2 shown]
	s_sub_i32 s2, s16, s25
	v_cmp_gt_u32_e32 vcc, s2, v0
	s_and_saveexec_b64 s[0:1], vcc
	s_cbranch_execz .LBB42_76
; %bb.69:
	v_add_u32_e32 v0, v0, v6
	ds_read_u8 v0, v0
	s_waitcnt lgkmcnt(0)
	global_store_byte v[2:3], v0, off
	s_or_b64 exec, exec, s[0:1]
	v_cmp_gt_u32_e32 vcc, s2, v5
	s_and_saveexec_b64 s[0:1], vcc
	s_cbranch_execnz .LBB42_77
.LBB42_70:
	s_or_b64 exec, exec, s[0:1]
	v_cmp_gt_u32_e32 vcc, s2, v4
	s_and_saveexec_b64 s[0:1], vcc
	s_cbranch_execz .LBB42_72
.LBB42_71:
	s_waitcnt lgkmcnt(1)
	global_store_byte v[2:3], v8, off offset:512
.LBB42_72:
	s_or_b64 exec, exec, s[0:1]
	v_cmp_gt_u32_e64 s[0:1], s2, v1
.LBB42_73:
	s_and_saveexec_b64 s[2:3], s[0:1]
	s_cbranch_execz .LBB42_75
; %bb.74:
	s_waitcnt lgkmcnt(0)
	global_store_byte v[2:3], v7, off offset:768
.LBB42_75:
	s_endpgm
.LBB42_76:
	s_or_b64 exec, exec, s[0:1]
	v_cmp_gt_u32_e32 vcc, s2, v5
	s_and_saveexec_b64 s[0:1], vcc
	s_cbranch_execz .LBB42_70
.LBB42_77:
	s_waitcnt lgkmcnt(2)
	global_store_byte v[2:3], v11, off offset:256
	s_or_b64 exec, exec, s[0:1]
	v_cmp_gt_u32_e32 vcc, s2, v4
	s_and_saveexec_b64 s[0:1], vcc
	s_cbranch_execnz .LBB42_71
	s_branch .LBB42_72
	.section	.rodata,"a",@progbits
	.p2align	6, 0x0
	.amdhsa_kernel _ZN7rocprim17ROCPRIM_304000_NS6detail35device_block_merge_mergepath_kernelINS1_37wrapped_merge_sort_block_merge_configINS0_14default_configEaN2at4cuda3cub6detail10OpaqueTypeILi8EEEEEPaSC_PSA_SD_jNS1_19radix_merge_compareILb0ELb0EaNS0_19identity_decomposerEEEEEvT0_T1_T2_T3_T4_SL_jT5_PKSL_NS1_7vsmem_tE
		.amdhsa_group_segment_fixed_size 8208
		.amdhsa_private_segment_fixed_size 0
		.amdhsa_kernarg_size 320
		.amdhsa_user_sgpr_count 6
		.amdhsa_user_sgpr_private_segment_buffer 1
		.amdhsa_user_sgpr_dispatch_ptr 0
		.amdhsa_user_sgpr_queue_ptr 0
		.amdhsa_user_sgpr_kernarg_segment_ptr 1
		.amdhsa_user_sgpr_dispatch_id 0
		.amdhsa_user_sgpr_flat_scratch_init 0
		.amdhsa_user_sgpr_kernarg_preload_length 0
		.amdhsa_user_sgpr_kernarg_preload_offset 0
		.amdhsa_user_sgpr_private_segment_size 0
		.amdhsa_uses_dynamic_stack 0
		.amdhsa_system_sgpr_private_segment_wavefront_offset 0
		.amdhsa_system_sgpr_workgroup_id_x 1
		.amdhsa_system_sgpr_workgroup_id_y 1
		.amdhsa_system_sgpr_workgroup_id_z 1
		.amdhsa_system_sgpr_workgroup_info 0
		.amdhsa_system_vgpr_workitem_id 0
		.amdhsa_next_free_vgpr 24
		.amdhsa_next_free_sgpr 31
		.amdhsa_accum_offset 24
		.amdhsa_reserve_vcc 1
		.amdhsa_reserve_flat_scratch 0
		.amdhsa_float_round_mode_32 0
		.amdhsa_float_round_mode_16_64 0
		.amdhsa_float_denorm_mode_32 3
		.amdhsa_float_denorm_mode_16_64 3
		.amdhsa_dx10_clamp 1
		.amdhsa_ieee_mode 1
		.amdhsa_fp16_overflow 0
		.amdhsa_tg_split 0
		.amdhsa_exception_fp_ieee_invalid_op 0
		.amdhsa_exception_fp_denorm_src 0
		.amdhsa_exception_fp_ieee_div_zero 0
		.amdhsa_exception_fp_ieee_overflow 0
		.amdhsa_exception_fp_ieee_underflow 0
		.amdhsa_exception_fp_ieee_inexact 0
		.amdhsa_exception_int_div_zero 0
	.end_amdhsa_kernel
	.section	.text._ZN7rocprim17ROCPRIM_304000_NS6detail35device_block_merge_mergepath_kernelINS1_37wrapped_merge_sort_block_merge_configINS0_14default_configEaN2at4cuda3cub6detail10OpaqueTypeILi8EEEEEPaSC_PSA_SD_jNS1_19radix_merge_compareILb0ELb0EaNS0_19identity_decomposerEEEEEvT0_T1_T2_T3_T4_SL_jT5_PKSL_NS1_7vsmem_tE,"axG",@progbits,_ZN7rocprim17ROCPRIM_304000_NS6detail35device_block_merge_mergepath_kernelINS1_37wrapped_merge_sort_block_merge_configINS0_14default_configEaN2at4cuda3cub6detail10OpaqueTypeILi8EEEEEPaSC_PSA_SD_jNS1_19radix_merge_compareILb0ELb0EaNS0_19identity_decomposerEEEEEvT0_T1_T2_T3_T4_SL_jT5_PKSL_NS1_7vsmem_tE,comdat
.Lfunc_end42:
	.size	_ZN7rocprim17ROCPRIM_304000_NS6detail35device_block_merge_mergepath_kernelINS1_37wrapped_merge_sort_block_merge_configINS0_14default_configEaN2at4cuda3cub6detail10OpaqueTypeILi8EEEEEPaSC_PSA_SD_jNS1_19radix_merge_compareILb0ELb0EaNS0_19identity_decomposerEEEEEvT0_T1_T2_T3_T4_SL_jT5_PKSL_NS1_7vsmem_tE, .Lfunc_end42-_ZN7rocprim17ROCPRIM_304000_NS6detail35device_block_merge_mergepath_kernelINS1_37wrapped_merge_sort_block_merge_configINS0_14default_configEaN2at4cuda3cub6detail10OpaqueTypeILi8EEEEEPaSC_PSA_SD_jNS1_19radix_merge_compareILb0ELb0EaNS0_19identity_decomposerEEEEEvT0_T1_T2_T3_T4_SL_jT5_PKSL_NS1_7vsmem_tE
                                        ; -- End function
	.section	.AMDGPU.csdata,"",@progbits
; Kernel info:
; codeLenInByte = 3252
; NumSgprs: 35
; NumVgprs: 24
; NumAgprs: 0
; TotalNumVgprs: 24
; ScratchSize: 0
; MemoryBound: 1
; FloatMode: 240
; IeeeMode: 1
; LDSByteSize: 8208 bytes/workgroup (compile time only)
; SGPRBlocks: 4
; VGPRBlocks: 2
; NumSGPRsForWavesPerEU: 35
; NumVGPRsForWavesPerEU: 24
; AccumOffset: 24
; Occupancy: 7
; WaveLimiterHint : 1
; COMPUTE_PGM_RSRC2:SCRATCH_EN: 0
; COMPUTE_PGM_RSRC2:USER_SGPR: 6
; COMPUTE_PGM_RSRC2:TRAP_HANDLER: 0
; COMPUTE_PGM_RSRC2:TGID_X_EN: 1
; COMPUTE_PGM_RSRC2:TGID_Y_EN: 1
; COMPUTE_PGM_RSRC2:TGID_Z_EN: 1
; COMPUTE_PGM_RSRC2:TIDIG_COMP_CNT: 0
; COMPUTE_PGM_RSRC3_GFX90A:ACCUM_OFFSET: 5
; COMPUTE_PGM_RSRC3_GFX90A:TG_SPLIT: 0
	.section	.text._ZN7rocprim17ROCPRIM_304000_NS6detail33device_block_merge_oddeven_kernelINS1_37wrapped_merge_sort_block_merge_configINS0_14default_configEaN2at4cuda3cub6detail10OpaqueTypeILi8EEEEEPaSC_PSA_SD_jNS1_19radix_merge_compareILb0ELb0EaNS0_19identity_decomposerEEEEEvT0_T1_T2_T3_T4_SL_T5_,"axG",@progbits,_ZN7rocprim17ROCPRIM_304000_NS6detail33device_block_merge_oddeven_kernelINS1_37wrapped_merge_sort_block_merge_configINS0_14default_configEaN2at4cuda3cub6detail10OpaqueTypeILi8EEEEEPaSC_PSA_SD_jNS1_19radix_merge_compareILb0ELb0EaNS0_19identity_decomposerEEEEEvT0_T1_T2_T3_T4_SL_T5_,comdat
	.protected	_ZN7rocprim17ROCPRIM_304000_NS6detail33device_block_merge_oddeven_kernelINS1_37wrapped_merge_sort_block_merge_configINS0_14default_configEaN2at4cuda3cub6detail10OpaqueTypeILi8EEEEEPaSC_PSA_SD_jNS1_19radix_merge_compareILb0ELb0EaNS0_19identity_decomposerEEEEEvT0_T1_T2_T3_T4_SL_T5_ ; -- Begin function _ZN7rocprim17ROCPRIM_304000_NS6detail33device_block_merge_oddeven_kernelINS1_37wrapped_merge_sort_block_merge_configINS0_14default_configEaN2at4cuda3cub6detail10OpaqueTypeILi8EEEEEPaSC_PSA_SD_jNS1_19radix_merge_compareILb0ELb0EaNS0_19identity_decomposerEEEEEvT0_T1_T2_T3_T4_SL_T5_
	.globl	_ZN7rocprim17ROCPRIM_304000_NS6detail33device_block_merge_oddeven_kernelINS1_37wrapped_merge_sort_block_merge_configINS0_14default_configEaN2at4cuda3cub6detail10OpaqueTypeILi8EEEEEPaSC_PSA_SD_jNS1_19radix_merge_compareILb0ELb0EaNS0_19identity_decomposerEEEEEvT0_T1_T2_T3_T4_SL_T5_
	.p2align	8
	.type	_ZN7rocprim17ROCPRIM_304000_NS6detail33device_block_merge_oddeven_kernelINS1_37wrapped_merge_sort_block_merge_configINS0_14default_configEaN2at4cuda3cub6detail10OpaqueTypeILi8EEEEEPaSC_PSA_SD_jNS1_19radix_merge_compareILb0ELb0EaNS0_19identity_decomposerEEEEEvT0_T1_T2_T3_T4_SL_T5_,@function
_ZN7rocprim17ROCPRIM_304000_NS6detail33device_block_merge_oddeven_kernelINS1_37wrapped_merge_sort_block_merge_configINS0_14default_configEaN2at4cuda3cub6detail10OpaqueTypeILi8EEEEEPaSC_PSA_SD_jNS1_19radix_merge_compareILb0ELb0EaNS0_19identity_decomposerEEEEEvT0_T1_T2_T3_T4_SL_T5_: ; @_ZN7rocprim17ROCPRIM_304000_NS6detail33device_block_merge_oddeven_kernelINS1_37wrapped_merge_sort_block_merge_configINS0_14default_configEaN2at4cuda3cub6detail10OpaqueTypeILi8EEEEEPaSC_PSA_SD_jNS1_19radix_merge_compareILb0ELb0EaNS0_19identity_decomposerEEEEEvT0_T1_T2_T3_T4_SL_T5_
; %bb.0:
	s_load_dwordx2 s[16:17], s[4:5], 0x20
	s_waitcnt lgkmcnt(0)
	s_lshr_b32 s2, s16, 8
	s_cmp_lg_u32 s6, s2
	s_cselect_b64 s[0:1], -1, 0
	s_cmp_eq_u32 s6, s2
	s_cselect_b64 s[18:19], -1, 0
	s_lshl_b32 s20, s6, 8
	s_sub_i32 s2, s16, s20
	v_cmp_gt_u32_e64 s[2:3], s2, v0
	s_or_b64 s[0:1], s[0:1], s[2:3]
	s_and_saveexec_b64 s[8:9], s[0:1]
	s_cbranch_execz .LBB43_26
; %bb.1:
	s_load_dwordx8 s[8:15], s[4:5], 0x0
	s_mov_b32 s21, 0
	v_lshlrev_b32_e32 v1, 3, v0
	v_add_u32_e32 v4, s20, v0
	s_waitcnt lgkmcnt(0)
	s_add_u32 s0, s8, s20
	s_addc_u32 s1, s9, 0
	s_lshl_b64 s[4:5], s[20:21], 3
	s_add_u32 s4, s12, s4
	s_addc_u32 s5, s13, s5
	global_load_dwordx2 v[2:3], v1, s[4:5]
	global_load_sbyte v6, v0, s[0:1]
	s_lshr_b32 s0, s17, 8
	s_sub_i32 s1, 0, s0
	s_and_b32 s1, s6, s1
	s_and_b32 s0, s1, s0
	s_lshl_b32 s22, s1, 8
	s_sub_i32 s6, 0, s17
	s_cmp_eq_u32 s0, 0
	s_cselect_b64 s[0:1], -1, 0
	s_and_b64 s[4:5], s[0:1], exec
	s_cselect_b32 s21, s17, s6
	s_add_i32 s21, s21, s22
	s_cmp_lt_u32 s21, s16
	s_cbranch_scc1 .LBB43_6
; %bb.2:
	s_and_b64 vcc, exec, s[18:19]
	s_cbranch_vccz .LBB43_7
; %bb.3:
	v_cmp_gt_u32_e32 vcc, s16, v4
	s_mov_b64 s[6:7], 0
	s_mov_b64 s[4:5], 0
                                        ; implicit-def: $vgpr0_vgpr1
	s_and_saveexec_b64 s[12:13], vcc
	s_cbranch_execz .LBB43_5
; %bb.4:
	v_mov_b32_e32 v5, 0
	v_lshlrev_b64 v[0:1], 3, v[4:5]
	v_mov_b32_e32 v5, s15
	v_add_co_u32_e32 v0, vcc, s14, v0
	s_mov_b64 s[4:5], exec
	v_addc_co_u32_e32 v1, vcc, v5, v1, vcc
	s_waitcnt vmcnt(0)
	global_store_byte v4, v6, s[10:11]
.LBB43_5:
	s_or_b64 exec, exec, s[12:13]
	s_and_b64 vcc, exec, s[6:7]
	s_cbranch_vccnz .LBB43_8
	s_branch .LBB43_9
.LBB43_6:
	s_mov_b64 s[4:5], 0
                                        ; implicit-def: $vgpr0_vgpr1
	s_cbranch_execnz .LBB43_10
	s_branch .LBB43_24
.LBB43_7:
	s_mov_b64 s[4:5], 0
                                        ; implicit-def: $vgpr0_vgpr1
	s_cbranch_execz .LBB43_9
.LBB43_8:
	v_mov_b32_e32 v5, 0
	v_lshlrev_b64 v[0:1], 3, v[4:5]
	v_mov_b32_e32 v5, s15
	v_add_co_u32_e32 v0, vcc, s14, v0
	v_addc_co_u32_e32 v1, vcc, v5, v1, vcc
	s_or_b64 s[4:5], s[4:5], exec
	s_waitcnt vmcnt(0)
	global_store_byte v4, v6, s[10:11]
.LBB43_9:
	s_branch .LBB43_24
.LBB43_10:
	s_min_u32 s12, s21, s16
	s_add_i32 s6, s12, s17
	s_min_u32 s13, s6, s16
	s_min_u32 s6, s22, s12
	s_add_i32 s22, s22, s12
	v_subrev_u32_e32 v0, s22, v4
	v_add_u32_e32 v4, s6, v0
	s_and_b64 vcc, exec, s[18:19]
	s_cbranch_vccz .LBB43_18
; %bb.11:
                                        ; implicit-def: $vgpr0_vgpr1
	s_and_saveexec_b64 s[6:7], s[2:3]
	s_cbranch_execz .LBB43_17
; %bb.12:
	s_cmp_ge_u32 s21, s13
	v_mov_b32_e32 v0, s12
	s_cbranch_scc1 .LBB43_16
; %bb.13:
	s_mov_b64 s[2:3], 0
	v_mov_b32_e32 v1, s13
	v_mov_b32_e32 v0, s12
.LBB43_14:                              ; =>This Inner Loop Header: Depth=1
	v_add_u32_e32 v5, v0, v1
	v_lshrrev_b32_e32 v5, 1, v5
	global_load_sbyte v7, v5, s[8:9]
	v_add_u32_e32 v8, 1, v5
	s_waitcnt vmcnt(0)
	v_cmp_gt_i16_e32 vcc, v6, v7
	v_cndmask_b32_e64 v9, 0, 1, vcc
	v_cmp_le_i16_e32 vcc, v7, v6
	v_cndmask_b32_e64 v7, 0, 1, vcc
	v_cndmask_b32_e64 v7, v7, v9, s[0:1]
	v_and_b32_e32 v7, 1, v7
	v_cmp_eq_u32_e32 vcc, 1, v7
	v_cndmask_b32_e32 v1, v5, v1, vcc
	v_cndmask_b32_e32 v0, v0, v8, vcc
	v_cmp_ge_u32_e32 vcc, v0, v1
	s_or_b64 s[2:3], vcc, s[2:3]
	s_andn2_b64 exec, exec, s[2:3]
	s_cbranch_execnz .LBB43_14
; %bb.15:
	s_or_b64 exec, exec, s[2:3]
.LBB43_16:
	v_add_u32_e32 v0, v0, v4
	v_mov_b32_e32 v1, 0
	s_waitcnt vmcnt(0)
	global_store_byte v0, v6, s[10:11]
	v_lshlrev_b64 v[0:1], 3, v[0:1]
	v_mov_b32_e32 v5, s15
	v_add_co_u32_e32 v0, vcc, s14, v0
	v_addc_co_u32_e32 v1, vcc, v5, v1, vcc
	s_or_b64 s[4:5], s[4:5], exec
.LBB43_17:
	s_or_b64 exec, exec, s[6:7]
	s_branch .LBB43_24
.LBB43_18:
                                        ; implicit-def: $vgpr0_vgpr1
	s_cbranch_execz .LBB43_24
; %bb.19:
	s_cmp_ge_u32 s21, s13
	v_mov_b32_e32 v0, s12
	s_cbranch_scc1 .LBB43_23
; %bb.20:
	s_mov_b64 s[2:3], 0
	v_mov_b32_e32 v1, s13
	v_mov_b32_e32 v0, s12
.LBB43_21:                              ; =>This Inner Loop Header: Depth=1
	v_add_u32_e32 v5, v0, v1
	v_lshrrev_b32_e32 v5, 1, v5
	global_load_sbyte v7, v5, s[8:9]
	v_add_u32_e32 v8, 1, v5
	s_waitcnt vmcnt(0)
	v_cmp_gt_i16_e32 vcc, v6, v7
	v_cndmask_b32_e64 v9, 0, 1, vcc
	v_cmp_le_i16_e32 vcc, v7, v6
	v_cndmask_b32_e64 v7, 0, 1, vcc
	v_cndmask_b32_e64 v7, v7, v9, s[0:1]
	v_and_b32_e32 v7, 1, v7
	v_cmp_eq_u32_e32 vcc, 1, v7
	v_cndmask_b32_e32 v1, v5, v1, vcc
	v_cndmask_b32_e32 v0, v0, v8, vcc
	v_cmp_ge_u32_e32 vcc, v0, v1
	s_or_b64 s[2:3], vcc, s[2:3]
	s_andn2_b64 exec, exec, s[2:3]
	s_cbranch_execnz .LBB43_21
; %bb.22:
	s_or_b64 exec, exec, s[2:3]
.LBB43_23:
	v_add_u32_e32 v0, v0, v4
	v_mov_b32_e32 v1, 0
	s_waitcnt vmcnt(0)
	global_store_byte v0, v6, s[10:11]
	v_lshlrev_b64 v[0:1], 3, v[0:1]
	v_mov_b32_e32 v4, s15
	v_add_co_u32_e32 v0, vcc, s14, v0
	v_addc_co_u32_e32 v1, vcc, v4, v1, vcc
	s_mov_b64 s[4:5], -1
.LBB43_24:
	s_and_b64 exec, exec, s[4:5]
	s_cbranch_execz .LBB43_26
; %bb.25:
	s_waitcnt vmcnt(1)
	global_store_dwordx2 v[0:1], v[2:3], off
.LBB43_26:
	s_endpgm
	.section	.rodata,"a",@progbits
	.p2align	6, 0x0
	.amdhsa_kernel _ZN7rocprim17ROCPRIM_304000_NS6detail33device_block_merge_oddeven_kernelINS1_37wrapped_merge_sort_block_merge_configINS0_14default_configEaN2at4cuda3cub6detail10OpaqueTypeILi8EEEEEPaSC_PSA_SD_jNS1_19radix_merge_compareILb0ELb0EaNS0_19identity_decomposerEEEEEvT0_T1_T2_T3_T4_SL_T5_
		.amdhsa_group_segment_fixed_size 0
		.amdhsa_private_segment_fixed_size 0
		.amdhsa_kernarg_size 44
		.amdhsa_user_sgpr_count 6
		.amdhsa_user_sgpr_private_segment_buffer 1
		.amdhsa_user_sgpr_dispatch_ptr 0
		.amdhsa_user_sgpr_queue_ptr 0
		.amdhsa_user_sgpr_kernarg_segment_ptr 1
		.amdhsa_user_sgpr_dispatch_id 0
		.amdhsa_user_sgpr_flat_scratch_init 0
		.amdhsa_user_sgpr_kernarg_preload_length 0
		.amdhsa_user_sgpr_kernarg_preload_offset 0
		.amdhsa_user_sgpr_private_segment_size 0
		.amdhsa_uses_dynamic_stack 0
		.amdhsa_system_sgpr_private_segment_wavefront_offset 0
		.amdhsa_system_sgpr_workgroup_id_x 1
		.amdhsa_system_sgpr_workgroup_id_y 0
		.amdhsa_system_sgpr_workgroup_id_z 0
		.amdhsa_system_sgpr_workgroup_info 0
		.amdhsa_system_vgpr_workitem_id 0
		.amdhsa_next_free_vgpr 10
		.amdhsa_next_free_sgpr 23
		.amdhsa_accum_offset 12
		.amdhsa_reserve_vcc 1
		.amdhsa_reserve_flat_scratch 0
		.amdhsa_float_round_mode_32 0
		.amdhsa_float_round_mode_16_64 0
		.amdhsa_float_denorm_mode_32 3
		.amdhsa_float_denorm_mode_16_64 3
		.amdhsa_dx10_clamp 1
		.amdhsa_ieee_mode 1
		.amdhsa_fp16_overflow 0
		.amdhsa_tg_split 0
		.amdhsa_exception_fp_ieee_invalid_op 0
		.amdhsa_exception_fp_denorm_src 0
		.amdhsa_exception_fp_ieee_div_zero 0
		.amdhsa_exception_fp_ieee_overflow 0
		.amdhsa_exception_fp_ieee_underflow 0
		.amdhsa_exception_fp_ieee_inexact 0
		.amdhsa_exception_int_div_zero 0
	.end_amdhsa_kernel
	.section	.text._ZN7rocprim17ROCPRIM_304000_NS6detail33device_block_merge_oddeven_kernelINS1_37wrapped_merge_sort_block_merge_configINS0_14default_configEaN2at4cuda3cub6detail10OpaqueTypeILi8EEEEEPaSC_PSA_SD_jNS1_19radix_merge_compareILb0ELb0EaNS0_19identity_decomposerEEEEEvT0_T1_T2_T3_T4_SL_T5_,"axG",@progbits,_ZN7rocprim17ROCPRIM_304000_NS6detail33device_block_merge_oddeven_kernelINS1_37wrapped_merge_sort_block_merge_configINS0_14default_configEaN2at4cuda3cub6detail10OpaqueTypeILi8EEEEEPaSC_PSA_SD_jNS1_19radix_merge_compareILb0ELb0EaNS0_19identity_decomposerEEEEEvT0_T1_T2_T3_T4_SL_T5_,comdat
.Lfunc_end43:
	.size	_ZN7rocprim17ROCPRIM_304000_NS6detail33device_block_merge_oddeven_kernelINS1_37wrapped_merge_sort_block_merge_configINS0_14default_configEaN2at4cuda3cub6detail10OpaqueTypeILi8EEEEEPaSC_PSA_SD_jNS1_19radix_merge_compareILb0ELb0EaNS0_19identity_decomposerEEEEEvT0_T1_T2_T3_T4_SL_T5_, .Lfunc_end43-_ZN7rocprim17ROCPRIM_304000_NS6detail33device_block_merge_oddeven_kernelINS1_37wrapped_merge_sort_block_merge_configINS0_14default_configEaN2at4cuda3cub6detail10OpaqueTypeILi8EEEEEPaSC_PSA_SD_jNS1_19radix_merge_compareILb0ELb0EaNS0_19identity_decomposerEEEEEvT0_T1_T2_T3_T4_SL_T5_
                                        ; -- End function
	.section	.AMDGPU.csdata,"",@progbits
; Kernel info:
; codeLenInByte = 720
; NumSgprs: 27
; NumVgprs: 10
; NumAgprs: 0
; TotalNumVgprs: 10
; ScratchSize: 0
; MemoryBound: 0
; FloatMode: 240
; IeeeMode: 1
; LDSByteSize: 0 bytes/workgroup (compile time only)
; SGPRBlocks: 3
; VGPRBlocks: 1
; NumSGPRsForWavesPerEU: 27
; NumVGPRsForWavesPerEU: 10
; AccumOffset: 12
; Occupancy: 8
; WaveLimiterHint : 0
; COMPUTE_PGM_RSRC2:SCRATCH_EN: 0
; COMPUTE_PGM_RSRC2:USER_SGPR: 6
; COMPUTE_PGM_RSRC2:TRAP_HANDLER: 0
; COMPUTE_PGM_RSRC2:TGID_X_EN: 1
; COMPUTE_PGM_RSRC2:TGID_Y_EN: 0
; COMPUTE_PGM_RSRC2:TGID_Z_EN: 0
; COMPUTE_PGM_RSRC2:TIDIG_COMP_CNT: 0
; COMPUTE_PGM_RSRC3_GFX90A:ACCUM_OFFSET: 2
; COMPUTE_PGM_RSRC3_GFX90A:TG_SPLIT: 0
	.section	.text._ZN7rocprim17ROCPRIM_304000_NS6detail45device_block_merge_mergepath_partition_kernelINS1_37wrapped_merge_sort_block_merge_configINS0_14default_configEaN2at4cuda3cub6detail10OpaqueTypeILi8EEEEEPajNS1_19radix_merge_compareILb0ELb1EaNS0_19identity_decomposerEEEEEvT0_T1_jPSH_T2_SH_,"axG",@progbits,_ZN7rocprim17ROCPRIM_304000_NS6detail45device_block_merge_mergepath_partition_kernelINS1_37wrapped_merge_sort_block_merge_configINS0_14default_configEaN2at4cuda3cub6detail10OpaqueTypeILi8EEEEEPajNS1_19radix_merge_compareILb0ELb1EaNS0_19identity_decomposerEEEEEvT0_T1_jPSH_T2_SH_,comdat
	.protected	_ZN7rocprim17ROCPRIM_304000_NS6detail45device_block_merge_mergepath_partition_kernelINS1_37wrapped_merge_sort_block_merge_configINS0_14default_configEaN2at4cuda3cub6detail10OpaqueTypeILi8EEEEEPajNS1_19radix_merge_compareILb0ELb1EaNS0_19identity_decomposerEEEEEvT0_T1_jPSH_T2_SH_ ; -- Begin function _ZN7rocprim17ROCPRIM_304000_NS6detail45device_block_merge_mergepath_partition_kernelINS1_37wrapped_merge_sort_block_merge_configINS0_14default_configEaN2at4cuda3cub6detail10OpaqueTypeILi8EEEEEPajNS1_19radix_merge_compareILb0ELb1EaNS0_19identity_decomposerEEEEEvT0_T1_jPSH_T2_SH_
	.globl	_ZN7rocprim17ROCPRIM_304000_NS6detail45device_block_merge_mergepath_partition_kernelINS1_37wrapped_merge_sort_block_merge_configINS0_14default_configEaN2at4cuda3cub6detail10OpaqueTypeILi8EEEEEPajNS1_19radix_merge_compareILb0ELb1EaNS0_19identity_decomposerEEEEEvT0_T1_jPSH_T2_SH_
	.p2align	8
	.type	_ZN7rocprim17ROCPRIM_304000_NS6detail45device_block_merge_mergepath_partition_kernelINS1_37wrapped_merge_sort_block_merge_configINS0_14default_configEaN2at4cuda3cub6detail10OpaqueTypeILi8EEEEEPajNS1_19radix_merge_compareILb0ELb1EaNS0_19identity_decomposerEEEEEvT0_T1_jPSH_T2_SH_,@function
_ZN7rocprim17ROCPRIM_304000_NS6detail45device_block_merge_mergepath_partition_kernelINS1_37wrapped_merge_sort_block_merge_configINS0_14default_configEaN2at4cuda3cub6detail10OpaqueTypeILi8EEEEEPajNS1_19radix_merge_compareILb0ELb1EaNS0_19identity_decomposerEEEEEvT0_T1_jPSH_T2_SH_: ; @_ZN7rocprim17ROCPRIM_304000_NS6detail45device_block_merge_mergepath_partition_kernelINS1_37wrapped_merge_sort_block_merge_configINS0_14default_configEaN2at4cuda3cub6detail10OpaqueTypeILi8EEEEEPajNS1_19radix_merge_compareILb0ELb1EaNS0_19identity_decomposerEEEEEvT0_T1_jPSH_T2_SH_
; %bb.0:
	s_load_dwordx2 s[2:3], s[4:5], 0x8
	v_lshl_or_b32 v0, s6, 7, v0
	s_waitcnt lgkmcnt(0)
	v_cmp_gt_u32_e32 vcc, s3, v0
	s_and_saveexec_b64 s[0:1], vcc
	s_cbranch_execz .LBB44_6
; %bb.1:
	s_load_dwordx2 s[0:1], s[4:5], 0x18
	s_waitcnt lgkmcnt(0)
	s_lshr_b32 s3, s1, 9
	s_and_b32 s3, s3, 0x7ffffe
	s_add_i32 s6, s3, -1
	s_sub_i32 s3, 0, s3
	v_and_b32_e32 v1, s3, v0
	v_lshlrev_b32_e32 v3, 10, v1
	v_min_u32_e32 v1, s2, v3
	v_add_u32_e32 v3, s1, v3
	v_min_u32_e32 v7, s2, v3
	v_add_u32_e32 v3, s1, v7
	v_and_b32_e32 v2, s6, v0
	v_min_u32_e32 v4, s2, v3
	v_lshlrev_b32_e32 v2, 10, v2
	v_sub_u32_e32 v3, v4, v1
	v_min_u32_e32 v3, v3, v2
	v_sub_u32_e32 v5, v7, v1
	v_sub_u32_e32 v2, v4, v7
	v_sub_u32_e64 v2, v3, v2 clamp
	v_min_u32_e32 v4, v3, v5
	v_cmp_lt_u32_e32 vcc, v2, v4
	s_and_saveexec_b64 s[2:3], vcc
	s_cbranch_execz .LBB44_5
; %bb.2:
	s_load_dwordx2 s[6:7], s[4:5], 0x0
	s_waitcnt lgkmcnt(0)
	v_mov_b32_e32 v8, s7
	v_add_co_u32_e32 v5, vcc, s6, v1
	v_addc_co_u32_e32 v6, vcc, 0, v8, vcc
	v_add_co_u32_e32 v7, vcc, s6, v7
	v_addc_co_u32_e32 v8, vcc, 0, v8, vcc
	s_mov_b64 s[6:7], 0
.LBB44_3:                               ; =>This Inner Loop Header: Depth=1
	v_add_u32_e32 v9, v4, v2
	v_lshrrev_b32_e32 v9, 1, v9
	v_add_co_u32_e32 v10, vcc, v5, v9
	v_xad_u32 v12, v9, -1, v3
	v_addc_co_u32_e32 v11, vcc, 0, v6, vcc
	v_add_co_u32_e32 v12, vcc, v7, v12
	v_addc_co_u32_e32 v13, vcc, 0, v8, vcc
	global_load_ubyte v14, v[10:11], off
	global_load_ubyte v15, v[12:13], off
	v_add_u32_e32 v10, 1, v9
	s_waitcnt vmcnt(1)
	v_and_b32_e32 v11, s0, v14
	s_waitcnt vmcnt(0)
	v_and_b32_e32 v12, s0, v15
	v_cmp_gt_i16_sdwa vcc, sext(v11), sext(v12) src0_sel:BYTE_0 src1_sel:BYTE_0
	v_cndmask_b32_e32 v4, v4, v9, vcc
	v_cndmask_b32_e32 v2, v10, v2, vcc
	v_cmp_ge_u32_e32 vcc, v2, v4
	s_or_b64 s[6:7], vcc, s[6:7]
	s_andn2_b64 exec, exec, s[6:7]
	s_cbranch_execnz .LBB44_3
; %bb.4:
	s_or_b64 exec, exec, s[6:7]
.LBB44_5:
	s_or_b64 exec, exec, s[2:3]
	s_load_dwordx2 s[0:1], s[4:5], 0x10
	v_add_u32_e32 v2, v2, v1
	v_mov_b32_e32 v1, 0
	v_lshlrev_b64 v[0:1], 2, v[0:1]
	s_waitcnt lgkmcnt(0)
	v_mov_b32_e32 v3, s1
	v_add_co_u32_e32 v0, vcc, s0, v0
	v_addc_co_u32_e32 v1, vcc, v3, v1, vcc
	global_store_dword v[0:1], v2, off
.LBB44_6:
	s_endpgm
	.section	.rodata,"a",@progbits
	.p2align	6, 0x0
	.amdhsa_kernel _ZN7rocprim17ROCPRIM_304000_NS6detail45device_block_merge_mergepath_partition_kernelINS1_37wrapped_merge_sort_block_merge_configINS0_14default_configEaN2at4cuda3cub6detail10OpaqueTypeILi8EEEEEPajNS1_19radix_merge_compareILb0ELb1EaNS0_19identity_decomposerEEEEEvT0_T1_jPSH_T2_SH_
		.amdhsa_group_segment_fixed_size 0
		.amdhsa_private_segment_fixed_size 0
		.amdhsa_kernarg_size 32
		.amdhsa_user_sgpr_count 6
		.amdhsa_user_sgpr_private_segment_buffer 1
		.amdhsa_user_sgpr_dispatch_ptr 0
		.amdhsa_user_sgpr_queue_ptr 0
		.amdhsa_user_sgpr_kernarg_segment_ptr 1
		.amdhsa_user_sgpr_dispatch_id 0
		.amdhsa_user_sgpr_flat_scratch_init 0
		.amdhsa_user_sgpr_kernarg_preload_length 0
		.amdhsa_user_sgpr_kernarg_preload_offset 0
		.amdhsa_user_sgpr_private_segment_size 0
		.amdhsa_uses_dynamic_stack 0
		.amdhsa_system_sgpr_private_segment_wavefront_offset 0
		.amdhsa_system_sgpr_workgroup_id_x 1
		.amdhsa_system_sgpr_workgroup_id_y 0
		.amdhsa_system_sgpr_workgroup_id_z 0
		.amdhsa_system_sgpr_workgroup_info 0
		.amdhsa_system_vgpr_workitem_id 0
		.amdhsa_next_free_vgpr 16
		.amdhsa_next_free_sgpr 8
		.amdhsa_accum_offset 16
		.amdhsa_reserve_vcc 1
		.amdhsa_reserve_flat_scratch 0
		.amdhsa_float_round_mode_32 0
		.amdhsa_float_round_mode_16_64 0
		.amdhsa_float_denorm_mode_32 3
		.amdhsa_float_denorm_mode_16_64 3
		.amdhsa_dx10_clamp 1
		.amdhsa_ieee_mode 1
		.amdhsa_fp16_overflow 0
		.amdhsa_tg_split 0
		.amdhsa_exception_fp_ieee_invalid_op 0
		.amdhsa_exception_fp_denorm_src 0
		.amdhsa_exception_fp_ieee_div_zero 0
		.amdhsa_exception_fp_ieee_overflow 0
		.amdhsa_exception_fp_ieee_underflow 0
		.amdhsa_exception_fp_ieee_inexact 0
		.amdhsa_exception_int_div_zero 0
	.end_amdhsa_kernel
	.section	.text._ZN7rocprim17ROCPRIM_304000_NS6detail45device_block_merge_mergepath_partition_kernelINS1_37wrapped_merge_sort_block_merge_configINS0_14default_configEaN2at4cuda3cub6detail10OpaqueTypeILi8EEEEEPajNS1_19radix_merge_compareILb0ELb1EaNS0_19identity_decomposerEEEEEvT0_T1_jPSH_T2_SH_,"axG",@progbits,_ZN7rocprim17ROCPRIM_304000_NS6detail45device_block_merge_mergepath_partition_kernelINS1_37wrapped_merge_sort_block_merge_configINS0_14default_configEaN2at4cuda3cub6detail10OpaqueTypeILi8EEEEEPajNS1_19radix_merge_compareILb0ELb1EaNS0_19identity_decomposerEEEEEvT0_T1_jPSH_T2_SH_,comdat
.Lfunc_end44:
	.size	_ZN7rocprim17ROCPRIM_304000_NS6detail45device_block_merge_mergepath_partition_kernelINS1_37wrapped_merge_sort_block_merge_configINS0_14default_configEaN2at4cuda3cub6detail10OpaqueTypeILi8EEEEEPajNS1_19radix_merge_compareILb0ELb1EaNS0_19identity_decomposerEEEEEvT0_T1_jPSH_T2_SH_, .Lfunc_end44-_ZN7rocprim17ROCPRIM_304000_NS6detail45device_block_merge_mergepath_partition_kernelINS1_37wrapped_merge_sort_block_merge_configINS0_14default_configEaN2at4cuda3cub6detail10OpaqueTypeILi8EEEEEPajNS1_19radix_merge_compareILb0ELb1EaNS0_19identity_decomposerEEEEEvT0_T1_jPSH_T2_SH_
                                        ; -- End function
	.section	.AMDGPU.csdata,"",@progbits
; Kernel info:
; codeLenInByte = 336
; NumSgprs: 12
; NumVgprs: 16
; NumAgprs: 0
; TotalNumVgprs: 16
; ScratchSize: 0
; MemoryBound: 0
; FloatMode: 240
; IeeeMode: 1
; LDSByteSize: 0 bytes/workgroup (compile time only)
; SGPRBlocks: 1
; VGPRBlocks: 1
; NumSGPRsForWavesPerEU: 12
; NumVGPRsForWavesPerEU: 16
; AccumOffset: 16
; Occupancy: 8
; WaveLimiterHint : 0
; COMPUTE_PGM_RSRC2:SCRATCH_EN: 0
; COMPUTE_PGM_RSRC2:USER_SGPR: 6
; COMPUTE_PGM_RSRC2:TRAP_HANDLER: 0
; COMPUTE_PGM_RSRC2:TGID_X_EN: 1
; COMPUTE_PGM_RSRC2:TGID_Y_EN: 0
; COMPUTE_PGM_RSRC2:TGID_Z_EN: 0
; COMPUTE_PGM_RSRC2:TIDIG_COMP_CNT: 0
; COMPUTE_PGM_RSRC3_GFX90A:ACCUM_OFFSET: 3
; COMPUTE_PGM_RSRC3_GFX90A:TG_SPLIT: 0
	.section	.text._ZN7rocprim17ROCPRIM_304000_NS6detail35device_block_merge_mergepath_kernelINS1_37wrapped_merge_sort_block_merge_configINS0_14default_configEaN2at4cuda3cub6detail10OpaqueTypeILi8EEEEEPaSC_PSA_SD_jNS1_19radix_merge_compareILb0ELb1EaNS0_19identity_decomposerEEEEEvT0_T1_T2_T3_T4_SL_jT5_PKSL_NS1_7vsmem_tE,"axG",@progbits,_ZN7rocprim17ROCPRIM_304000_NS6detail35device_block_merge_mergepath_kernelINS1_37wrapped_merge_sort_block_merge_configINS0_14default_configEaN2at4cuda3cub6detail10OpaqueTypeILi8EEEEEPaSC_PSA_SD_jNS1_19radix_merge_compareILb0ELb1EaNS0_19identity_decomposerEEEEEvT0_T1_T2_T3_T4_SL_jT5_PKSL_NS1_7vsmem_tE,comdat
	.protected	_ZN7rocprim17ROCPRIM_304000_NS6detail35device_block_merge_mergepath_kernelINS1_37wrapped_merge_sort_block_merge_configINS0_14default_configEaN2at4cuda3cub6detail10OpaqueTypeILi8EEEEEPaSC_PSA_SD_jNS1_19radix_merge_compareILb0ELb1EaNS0_19identity_decomposerEEEEEvT0_T1_T2_T3_T4_SL_jT5_PKSL_NS1_7vsmem_tE ; -- Begin function _ZN7rocprim17ROCPRIM_304000_NS6detail35device_block_merge_mergepath_kernelINS1_37wrapped_merge_sort_block_merge_configINS0_14default_configEaN2at4cuda3cub6detail10OpaqueTypeILi8EEEEEPaSC_PSA_SD_jNS1_19radix_merge_compareILb0ELb1EaNS0_19identity_decomposerEEEEEvT0_T1_T2_T3_T4_SL_jT5_PKSL_NS1_7vsmem_tE
	.globl	_ZN7rocprim17ROCPRIM_304000_NS6detail35device_block_merge_mergepath_kernelINS1_37wrapped_merge_sort_block_merge_configINS0_14default_configEaN2at4cuda3cub6detail10OpaqueTypeILi8EEEEEPaSC_PSA_SD_jNS1_19radix_merge_compareILb0ELb1EaNS0_19identity_decomposerEEEEEvT0_T1_T2_T3_T4_SL_jT5_PKSL_NS1_7vsmem_tE
	.p2align	8
	.type	_ZN7rocprim17ROCPRIM_304000_NS6detail35device_block_merge_mergepath_kernelINS1_37wrapped_merge_sort_block_merge_configINS0_14default_configEaN2at4cuda3cub6detail10OpaqueTypeILi8EEEEEPaSC_PSA_SD_jNS1_19radix_merge_compareILb0ELb1EaNS0_19identity_decomposerEEEEEvT0_T1_T2_T3_T4_SL_jT5_PKSL_NS1_7vsmem_tE,@function
_ZN7rocprim17ROCPRIM_304000_NS6detail35device_block_merge_mergepath_kernelINS1_37wrapped_merge_sort_block_merge_configINS0_14default_configEaN2at4cuda3cub6detail10OpaqueTypeILi8EEEEEPaSC_PSA_SD_jNS1_19radix_merge_compareILb0ELb1EaNS0_19identity_decomposerEEEEEvT0_T1_T2_T3_T4_SL_jT5_PKSL_NS1_7vsmem_tE: ; @_ZN7rocprim17ROCPRIM_304000_NS6detail35device_block_merge_mergepath_kernelINS1_37wrapped_merge_sort_block_merge_configINS0_14default_configEaN2at4cuda3cub6detail10OpaqueTypeILi8EEEEEPaSC_PSA_SD_jNS1_19radix_merge_compareILb0ELb1EaNS0_19identity_decomposerEEEEEvT0_T1_T2_T3_T4_SL_jT5_PKSL_NS1_7vsmem_tE
; %bb.0:
	s_load_dwordx2 s[26:27], s[4:5], 0x40
	s_load_dwordx4 s[16:19], s[4:5], 0x20
	s_add_u32 s2, s4, 64
	s_addc_u32 s3, s5, 0
	s_waitcnt lgkmcnt(0)
	s_mul_i32 s0, s27, s8
	s_add_i32 s0, s0, s7
	s_mul_i32 s0, s0, s26
	s_add_i32 s0, s0, s6
	s_cmp_ge_u32 s0, s18
	s_cbranch_scc1 .LBB45_75
; %bb.1:
	s_load_dwordx8 s[8:15], s[4:5], 0x0
	s_load_dwordx2 s[22:23], s[4:5], 0x30
	s_lshr_b32 s30, s16, 10
	s_cmp_lg_u32 s0, s30
	s_mov_b32 s1, 0
	s_cselect_b64 s[20:21], -1, 0
	s_lshl_b64 s[4:5], s[0:1], 2
	s_waitcnt lgkmcnt(0)
	s_add_u32 s4, s22, s4
	s_addc_u32 s5, s23, s5
	s_load_dwordx2 s[22:23], s[4:5], 0x0
	s_lshr_b32 s4, s17, 9
	s_and_b32 s4, s4, 0x7ffffe
	s_sub_i32 s4, 0, s4
	s_and_b32 s5, s0, s4
	s_lshl_b32 s7, s5, 10
	s_lshl_b32 s18, s0, 10
	s_lshl_b32 s5, s5, 11
	s_sub_i32 s24, s18, s7
	s_add_i32 s5, s5, s17
	s_add_i32 s25, s5, s24
	s_waitcnt lgkmcnt(0)
	s_sub_i32 s24, s25, s22
	s_sub_i32 s25, s25, s23
	;; [unrolled: 1-line block ×3, first 2 shown]
	s_min_u32 s24, s16, s24
	s_addk_i32 s25, 0x400
	s_or_b32 s4, s0, s4
	s_min_u32 s7, s16, s5
	s_add_i32 s5, s5, s17
	s_cmp_eq_u32 s4, -1
	s_cselect_b32 s4, s5, s25
	s_cselect_b32 s5, s7, s23
	s_min_u32 s4, s4, s16
	s_sub_i32 s27, s5, s22
	s_sub_i32 s28, s4, s24
	s_add_u32 s5, s8, s22
	s_addc_u32 s29, s9, 0
	s_add_u32 s4, s8, s24
	s_addc_u32 s7, s9, 0
	s_cmp_lt_u32 s6, s26
	v_mov_b32_e32 v1, 0
	s_cselect_b32 s6, 12, 18
	global_load_dword v2, v1, s[2:3] offset:14
	s_add_u32 s2, s2, s6
	s_addc_u32 s3, s3, 0
	global_load_ushort v1, v1, s[2:3]
	s_mov_b32 s25, s1
	s_mov_b32 s23, s1
	s_cmp_eq_u32 s0, s30
	v_cmp_gt_u32_e32 vcc, s27, v0
	s_waitcnt vmcnt(1)
	v_lshrrev_b32_e32 v3, 16, v2
	v_and_b32_e32 v2, 0xffff, v2
	v_mul_lo_u32 v2, v2, v3
	s_waitcnt vmcnt(0)
	v_mul_lo_u32 v2, v2, v1
	v_add_u32_e32 v4, v2, v0
	v_add_u32_e32 v3, v4, v2
	s_cbranch_scc1 .LBB45_3
; %bb.2:
	v_mov_b32_e32 v1, s29
	v_add_co_u32_e64 v5, s[0:1], s5, v0
	v_addc_co_u32_e64 v1, s[0:1], 0, v1, s[0:1]
	v_subrev_u32_e32 v6, s27, v0
	v_mov_b32_e32 v7, s7
	v_add_co_u32_e64 v6, s[0:1], s4, v6
	v_addc_co_u32_e64 v7, s[0:1], 0, v7, s[0:1]
	v_cndmask_b32_e32 v11, v7, v1, vcc
	v_cndmask_b32_e32 v10, v6, v5, vcc
	v_mov_b32_e32 v1, s29
	v_add_co_u32_e32 v5, vcc, s5, v4
	v_addc_co_u32_e32 v1, vcc, 0, v1, vcc
	v_subrev_u32_e32 v6, s27, v4
	v_mov_b32_e32 v7, s7
	v_add_co_u32_e32 v6, vcc, s4, v6
	v_addc_co_u32_e32 v7, vcc, 0, v7, vcc
	v_cmp_gt_u32_e32 vcc, s27, v4
	v_cndmask_b32_e32 v13, v7, v1, vcc
	v_cndmask_b32_e32 v12, v6, v5, vcc
	v_mov_b32_e32 v1, s29
	v_add_co_u32_e32 v5, vcc, s5, v3
	v_addc_co_u32_e32 v1, vcc, 0, v1, vcc
	v_subrev_u32_e32 v6, s27, v3
	v_mov_b32_e32 v7, s7
	v_add_co_u32_e32 v6, vcc, s4, v6
	v_addc_co_u32_e32 v7, vcc, 0, v7, vcc
	v_cmp_gt_u32_e32 vcc, s27, v3
	v_cndmask_b32_e32 v15, v7, v1, vcc
	v_add_u32_e32 v1, v3, v2
	v_cndmask_b32_e32 v14, v6, v5, vcc
	v_mov_b32_e32 v5, s29
	v_add_co_u32_e32 v6, vcc, s5, v1
	v_addc_co_u32_e32 v5, vcc, 0, v5, vcc
	v_subrev_u32_e32 v7, s27, v1
	v_mov_b32_e32 v8, s7
	v_add_co_u32_e32 v7, vcc, s4, v7
	v_addc_co_u32_e32 v8, vcc, 0, v8, vcc
	v_cmp_gt_u32_e32 vcc, s27, v1
	v_cndmask_b32_e32 v17, v8, v5, vcc
	v_cndmask_b32_e32 v16, v7, v6, vcc
	global_load_ubyte v1, v[10:11], off
	global_load_ubyte v6, v[12:13], off
	;; [unrolled: 1-line block ×4, first 2 shown]
	s_add_i32 s17, s28, s27
	s_cbranch_execz .LBB45_4
	s_branch .LBB45_13
.LBB45_3:
                                        ; implicit-def: $vgpr1
                                        ; implicit-def: $vgpr6
                                        ; implicit-def: $vgpr7
                                        ; implicit-def: $vgpr9
                                        ; implicit-def: $sgpr17
.LBB45_4:
	s_add_i32 s17, s28, s27
	v_cmp_gt_u32_e32 vcc, s17, v0
                                        ; implicit-def: $vgpr1
	s_and_saveexec_b64 s[0:1], vcc
	s_cbranch_execz .LBB45_6
; %bb.5:
	s_waitcnt vmcnt(3)
	v_mov_b32_e32 v1, s29
	v_add_co_u32_e32 v5, vcc, s5, v0
	v_addc_co_u32_e32 v1, vcc, 0, v1, vcc
	s_waitcnt vmcnt(2)
	v_subrev_u32_e32 v6, s27, v0
	s_waitcnt vmcnt(1)
	v_mov_b32_e32 v7, s7
	v_add_co_u32_e32 v6, vcc, s4, v6
	v_addc_co_u32_e32 v7, vcc, 0, v7, vcc
	v_cmp_gt_u32_e32 vcc, s27, v0
	v_cndmask_b32_e32 v7, v7, v1, vcc
	v_cndmask_b32_e32 v6, v6, v5, vcc
	global_load_ubyte v1, v[6:7], off
.LBB45_6:
	s_or_b64 exec, exec, s[0:1]
	v_cmp_gt_u32_e32 vcc, s17, v4
                                        ; implicit-def: $vgpr6
	s_and_saveexec_b64 s[0:1], vcc
	s_cbranch_execz .LBB45_8
; %bb.7:
	v_mov_b32_e32 v5, s29
	s_waitcnt vmcnt(2)
	v_add_co_u32_e32 v6, vcc, s5, v4
	v_addc_co_u32_e32 v5, vcc, 0, v5, vcc
	s_waitcnt vmcnt(1)
	v_subrev_u32_e32 v7, s27, v4
	v_mov_b32_e32 v8, s7
	v_add_co_u32_e32 v7, vcc, s4, v7
	v_addc_co_u32_e32 v8, vcc, 0, v8, vcc
	v_cmp_gt_u32_e32 vcc, s27, v4
	v_cndmask_b32_e32 v5, v8, v5, vcc
	v_cndmask_b32_e32 v4, v7, v6, vcc
	global_load_ubyte v6, v[4:5], off
.LBB45_8:
	s_or_b64 exec, exec, s[0:1]
	v_cmp_gt_u32_e32 vcc, s17, v3
                                        ; implicit-def: $vgpr7
	s_and_saveexec_b64 s[0:1], vcc
	s_cbranch_execz .LBB45_10
; %bb.9:
	v_mov_b32_e32 v4, s29
	s_waitcnt vmcnt(1)
	v_add_co_u32_e32 v7, vcc, s5, v3
	v_addc_co_u32_e32 v4, vcc, 0, v4, vcc
	v_subrev_u32_e32 v5, s27, v3
	v_mov_b32_e32 v8, s7
	s_waitcnt vmcnt(0)
	v_add_co_u32_e32 v9, vcc, s4, v5
	v_addc_co_u32_e32 v5, vcc, 0, v8, vcc
	v_cmp_gt_u32_e32 vcc, s27, v3
	v_cndmask_b32_e32 v5, v5, v4, vcc
	v_cndmask_b32_e32 v4, v9, v7, vcc
	global_load_ubyte v7, v[4:5], off
.LBB45_10:
	s_or_b64 exec, exec, s[0:1]
	v_add_u32_e32 v2, v3, v2
	v_cmp_gt_u32_e32 vcc, s17, v2
                                        ; implicit-def: $vgpr9
	s_and_saveexec_b64 s[0:1], vcc
	s_cbranch_execz .LBB45_12
; %bb.11:
	v_mov_b32_e32 v3, s29
	v_add_co_u32_e32 v4, vcc, s5, v2
	v_addc_co_u32_e32 v3, vcc, 0, v3, vcc
	v_subrev_u32_e32 v5, s27, v2
	v_mov_b32_e32 v8, s7
	v_add_co_u32_e32 v5, vcc, s4, v5
	v_addc_co_u32_e32 v8, vcc, 0, v8, vcc
	v_cmp_gt_u32_e32 vcc, s27, v2
	v_cndmask_b32_e32 v3, v8, v3, vcc
	v_cndmask_b32_e32 v2, v5, v4, vcc
	global_load_ubyte v9, v[2:3], off
.LBB45_12:
	s_or_b64 exec, exec, s[0:1]
.LBB45_13:
	v_lshlrev_b32_e32 v8, 2, v0
	v_min_u32_e32 v3, s17, v8
	v_sub_u32_e64 v2, v3, s28 clamp
	v_min_u32_e32 v4, s27, v3
	v_cmp_lt_u32_e32 vcc, v2, v4
	s_waitcnt vmcnt(0)
	ds_write_b8 v0, v1
	ds_write_b8 v0, v6 offset:256
	ds_write_b8 v0, v7 offset:512
	;; [unrolled: 1-line block ×3, first 2 shown]
	s_waitcnt lgkmcnt(0)
	s_barrier
	s_and_saveexec_b64 s[0:1], vcc
	s_cbranch_execz .LBB45_17
; %bb.14:
	v_add_u32_e32 v5, s27, v3
	s_mov_b64 s[2:3], 0
.LBB45_15:                              ; =>This Inner Loop Header: Depth=1
	v_add_u32_e32 v10, v4, v2
	v_lshrrev_b32_e32 v10, 1, v10
	v_xad_u32 v11, v10, -1, v5
	ds_read_u8 v12, v10
	ds_read_u8 v11, v11
	v_add_u32_e32 v13, 1, v10
	s_waitcnt lgkmcnt(1)
	v_and_b32_e32 v12, s19, v12
	s_waitcnt lgkmcnt(0)
	v_and_b32_e32 v11, s19, v11
	v_cmp_gt_i16_sdwa vcc, sext(v12), sext(v11) src0_sel:BYTE_0 src1_sel:BYTE_0
	v_cndmask_b32_e32 v4, v4, v10, vcc
	v_cndmask_b32_e32 v2, v13, v2, vcc
	v_cmp_ge_u32_e32 vcc, v2, v4
	s_or_b64 s[2:3], vcc, s[2:3]
	s_andn2_b64 exec, exec, s[2:3]
	s_cbranch_execnz .LBB45_15
; %bb.16:
	s_or_b64 exec, exec, s[2:3]
.LBB45_17:
	s_or_b64 exec, exec, s[0:1]
	v_sub_u32_e32 v3, v3, v2
	v_add_u32_e32 v3, s27, v3
	v_cmp_ge_u32_e32 vcc, s27, v2
	v_cmp_ge_u32_e64 s[0:1], s17, v3
	s_or_b64 s[0:1], vcc, s[0:1]
                                        ; implicit-def: $vgpr10
                                        ; implicit-def: $vgpr11
                                        ; implicit-def: $vgpr12
                                        ; implicit-def: $vgpr13
	s_and_saveexec_b64 s[6:7], s[0:1]
	s_cbranch_execz .LBB45_23
; %bb.18:
	v_cmp_gt_u32_e32 vcc, s27, v2
                                        ; implicit-def: $vgpr1
	s_and_saveexec_b64 s[0:1], vcc
	s_cbranch_execz .LBB45_20
; %bb.19:
	ds_read_u8 v1, v2
.LBB45_20:
	s_or_b64 exec, exec, s[0:1]
	v_cmp_le_u32_e64 s[0:1], s17, v3
	v_cmp_gt_u32_e64 s[2:3], s17, v3
                                        ; implicit-def: $vgpr4
	s_and_saveexec_b64 s[4:5], s[2:3]
	s_cbranch_execz .LBB45_22
; %bb.21:
	ds_read_u8 v4, v3
.LBB45_22:
	s_or_b64 exec, exec, s[4:5]
	s_waitcnt lgkmcnt(0)
	v_and_b32_e32 v5, s19, v4
	v_and_b32_e32 v6, s19, v1
	v_cmp_le_i16_sdwa s[2:3], sext(v6), sext(v5) src0_sel:BYTE_0 src1_sel:BYTE_0
	s_and_b64 s[2:3], vcc, s[2:3]
	s_or_b64 vcc, s[0:1], s[2:3]
	v_mov_b32_e32 v5, s17
	v_mov_b32_e32 v6, s27
	v_cndmask_b32_e32 v13, v3, v2, vcc
	v_cndmask_b32_e32 v7, v5, v6, vcc
	v_add_u32_e32 v9, 1, v13
	v_add_u32_e32 v7, -1, v7
	v_min_u32_e32 v7, v9, v7
	ds_read_u8 v7, v7
	v_cndmask_b32_e32 v3, v9, v3, vcc
	v_cndmask_b32_e32 v2, v2, v9, vcc
	v_cmp_gt_u32_e64 s[2:3], s27, v2
	v_cmp_le_u32_e64 s[0:1], s17, v3
	s_waitcnt lgkmcnt(0)
	v_cndmask_b32_e32 v10, v7, v4, vcc
	v_cndmask_b32_e32 v7, v1, v7, vcc
	v_and_b32_e32 v9, s19, v10
	v_and_b32_e32 v11, s19, v7
	v_cmp_le_i16_sdwa s[4:5], sext(v11), sext(v9) src0_sel:BYTE_0 src1_sel:BYTE_0
	s_and_b64 s[2:3], s[2:3], s[4:5]
	s_or_b64 s[0:1], s[0:1], s[2:3]
	v_cndmask_b32_e64 v12, v3, v2, s[0:1]
	v_cndmask_b32_e64 v9, v5, v6, s[0:1]
	v_add_u32_e32 v11, 1, v12
	v_add_u32_e32 v9, -1, v9
	v_min_u32_e32 v9, v11, v9
	ds_read_u8 v9, v9
	v_cndmask_b32_e64 v3, v11, v3, s[0:1]
	v_cndmask_b32_e64 v2, v2, v11, s[0:1]
	v_cmp_gt_u32_e64 s[4:5], s27, v2
	v_cmp_le_u32_e64 s[2:3], s17, v3
	s_waitcnt lgkmcnt(0)
	v_cndmask_b32_e64 v14, v9, v10, s[0:1]
	v_cndmask_b32_e64 v9, v7, v9, s[0:1]
	v_and_b32_e32 v11, s19, v14
	v_and_b32_e32 v15, s19, v9
	v_cmp_le_i16_sdwa s[8:9], sext(v15), sext(v11) src0_sel:BYTE_0 src1_sel:BYTE_0
	s_and_b64 s[4:5], s[4:5], s[8:9]
	s_or_b64 s[2:3], s[2:3], s[4:5]
	v_cndmask_b32_e64 v11, v3, v2, s[2:3]
	v_cndmask_b32_e64 v5, v5, v6, s[2:3]
	v_add_u32_e32 v15, 1, v11
	v_add_u32_e32 v5, -1, v5
	v_min_u32_e32 v5, v15, v5
	ds_read_u8 v5, v5
	v_cndmask_b32_e32 v1, v4, v1, vcc
	v_cndmask_b32_e64 v6, v10, v7, s[0:1]
	v_cndmask_b32_e64 v7, v14, v9, s[2:3]
	;; [unrolled: 1-line block ×3, first 2 shown]
	s_waitcnt lgkmcnt(0)
	v_cndmask_b32_e64 v4, v5, v14, s[2:3]
	v_cndmask_b32_e64 v5, v9, v5, s[2:3]
	v_and_b32_e32 v9, s19, v4
	v_and_b32_e32 v10, s19, v5
	v_cndmask_b32_e64 v3, v15, v3, s[2:3]
	v_cmp_gt_u32_e64 s[0:1], s27, v2
	v_cmp_le_i16_sdwa s[2:3], sext(v10), sext(v9) src0_sel:BYTE_0 src1_sel:BYTE_0
	v_cmp_le_u32_e32 vcc, s17, v3
	s_and_b64 s[0:1], s[0:1], s[2:3]
	s_or_b64 vcc, vcc, s[0:1]
	v_cndmask_b32_e32 v10, v3, v2, vcc
	v_cndmask_b32_e32 v9, v4, v5, vcc
.LBB45_23:
	s_or_b64 exec, exec, s[6:7]
	s_lshl_b64 s[0:1], s[22:23], 3
	s_add_u32 s19, s12, s0
	s_addc_u32 s26, s13, s1
	s_lshl_b64 s[0:1], s[24:25], 3
	s_add_u32 s29, s12, s0
	v_cndmask_b32_e64 v2, 0, 1, s[20:21]
	s_addc_u32 s30, s13, s1
	v_cmp_gt_u32_e64 s[4:5], s27, v0
	v_cmp_ne_u32_e64 s[0:1], 1, v2
	s_andn2_b64 vcc, exec, s[20:21]
	v_cmp_le_u32_e64 s[2:3], s27, v0
	s_barrier
	s_cbranch_vccnz .LBB45_25
; %bb.24:
	v_subrev_u32_e32 v2, s27, v0
	v_mov_b32_e32 v3, 0
	v_lshlrev_b64 v[4:5], 3, v[2:3]
	v_mov_b32_e32 v2, s30
	v_add_co_u32_e32 v4, vcc, s29, v4
	v_addc_co_u32_e32 v2, vcc, v2, v5, vcc
	v_lshlrev_b32_e32 v20, 3, v0
	v_mov_b32_e32 v5, s26
	v_add_co_u32_e32 v21, vcc, s19, v20
	v_addc_co_u32_e32 v22, vcc, 0, v5, vcc
	v_cndmask_b32_e64 v5, v2, v22, s[4:5]
	v_cndmask_b32_e64 v4, v4, v21, s[4:5]
	v_or_b32_e32 v16, 0x100, v0
	s_movk_i32 s4, 0x800
	v_add_co_u32_e32 v17, vcc, s4, v21
	v_subrev_u32_e32 v2, s27, v16
	v_addc_co_u32_e32 v18, vcc, 0, v22, vcc
	v_lshlrev_b64 v[14:15], 3, v[2:3]
	v_mov_b32_e32 v2, s30
	v_add_co_u32_e32 v14, vcc, s29, v14
	v_addc_co_u32_e32 v2, vcc, v2, v15, vcc
	v_cmp_gt_u32_e32 vcc, s27, v16
	v_cndmask_b32_e32 v15, v2, v18, vcc
	v_or_b32_e32 v18, 0x200, v0
	s_movk_i32 s4, 0x1000
	v_cndmask_b32_e32 v14, v14, v17, vcc
	v_add_co_u32_e32 v19, vcc, s4, v21
	v_subrev_u32_e32 v2, s27, v18
	global_load_dwordx2 v[16:17], v[14:15], off
	v_addc_co_u32_e32 v23, vcc, 0, v22, vcc
	v_lshlrev_b64 v[14:15], 3, v[2:3]
	v_mov_b32_e32 v2, s30
	v_add_co_u32_e32 v14, vcc, s29, v14
	v_addc_co_u32_e32 v2, vcc, v2, v15, vcc
	v_cmp_gt_u32_e32 vcc, s27, v18
	global_load_dwordx2 v[4:5], v[4:5], off
	v_cndmask_b32_e32 v15, v2, v23, vcc
	v_cndmask_b32_e32 v14, v14, v19, vcc
	global_load_dwordx2 v[18:19], v[14:15], off
	v_or_b32_e32 v15, 0x300, v0
	s_movk_i32 s4, 0x1800
	v_add_co_u32_e32 v21, vcc, s4, v21
	v_subrev_u32_e32 v2, s27, v15
	v_addc_co_u32_e32 v22, vcc, 0, v22, vcc
	v_lshlrev_b64 v[2:3], 3, v[2:3]
	v_mov_b32_e32 v23, s30
	v_add_co_u32_e32 v2, vcc, s29, v2
	v_addc_co_u32_e32 v3, vcc, v23, v3, vcc
	v_cmp_gt_u32_e32 vcc, s27, v15
	v_or_b32_e32 v14, 0x1800, v20
	v_cndmask_b32_e32 v3, v3, v22, vcc
	v_cndmask_b32_e32 v2, v2, v21, vcc
	s_mov_b64 s[4:5], -1
	s_waitcnt vmcnt(1)
	ds_write2st64_b64 v20, v[4:5], v[16:17] offset1:4
	s_waitcnt vmcnt(0)
	ds_write_b64 v20, v[18:19] offset:4096
	s_cbranch_execz .LBB45_26
	s_branch .LBB45_47
.LBB45_25:
	s_mov_b64 s[4:5], 0
                                        ; implicit-def: $vgpr14
                                        ; implicit-def: $vgpr2_vgpr3
.LBB45_26:
	s_mov_b64 s[6:7], 0
                                        ; implicit-def: $vgpr2_vgpr3
	s_and_saveexec_b64 s[8:9], s[2:3]
	s_xor_b64 s[2:3], exec, s[8:9]
	s_cbranch_execz .LBB45_51
; %bb.27:
	v_subrev_u32_e32 v4, s27, v0
	v_cmp_gt_u32_e32 vcc, s28, v4
                                        ; implicit-def: $vgpr2_vgpr3
	s_and_saveexec_b64 s[8:9], vcc
	s_xor_b64 s[8:9], exec, s[8:9]
; %bb.28:
	v_mov_b32_e32 v5, 0
	v_lshlrev_b64 v[2:3], 3, v[4:5]
	v_mov_b32_e32 v4, s30
	v_add_co_u32_e32 v2, vcc, s29, v2
	s_mov_b64 s[6:7], exec
	v_addc_co_u32_e32 v3, vcc, v4, v3, vcc
; %bb.29:
	s_or_b64 exec, exec, s[8:9]
	s_and_b64 s[6:7], s[6:7], exec
	s_andn2_saveexec_b64 s[2:3], s[2:3]
	s_cbranch_execnz .LBB45_52
.LBB45_30:
	s_or_b64 exec, exec, s[2:3]
	v_mad_u32_u24 v14, v0, 7, v0
	s_and_saveexec_b64 s[2:3], s[6:7]
	s_cbranch_execz .LBB45_32
.LBB45_31:
	global_load_dwordx2 v[2:3], v[2:3], off
	s_waitcnt vmcnt(0)
	ds_write_b64 v14, v[2:3]
.LBB45_32:
	s_or_b64 exec, exec, s[2:3]
	v_or_b32_e32 v2, 0x100, v0
	v_cmp_le_u32_e32 vcc, s27, v2
	s_mov_b64 s[6:7], -1
	v_pk_mov_b32 v[4:5], s[22:23], s[22:23] op_sel:[0,1]
	s_and_saveexec_b64 s[2:3], vcc
; %bb.33:
	v_subrev_u32_e32 v2, s27, v2
	v_cmp_gt_u32_e32 vcc, s28, v2
	v_pk_mov_b32 v[4:5], s[24:25], s[24:25] op_sel:[0,1]
	s_orn2_b64 s[6:7], vcc, exec
; %bb.34:
	s_or_b64 exec, exec, s[2:3]
	s_and_saveexec_b64 s[2:3], s[6:7]
	s_cbranch_execz .LBB45_36
; %bb.35:
	v_lshlrev_b64 v[4:5], 3, v[4:5]
	v_mov_b32_e32 v3, s13
	v_add_co_u32_e32 v4, vcc, s12, v4
	v_addc_co_u32_e32 v5, vcc, v3, v5, vcc
	v_mov_b32_e32 v3, 0
	v_lshlrev_b64 v[2:3], 3, v[2:3]
	v_add_co_u32_e32 v2, vcc, v4, v2
	v_addc_co_u32_e32 v3, vcc, v5, v3, vcc
	global_load_dwordx2 v[2:3], v[2:3], off
	s_waitcnt vmcnt(0)
	ds_write_b64 v14, v[2:3] offset:2048
.LBB45_36:
	s_or_b64 exec, exec, s[2:3]
	v_or_b32_e32 v2, 0x200, v0
	v_cmp_le_u32_e32 vcc, s27, v2
	s_mov_b64 s[6:7], -1
	v_pk_mov_b32 v[4:5], s[22:23], s[22:23] op_sel:[0,1]
	s_and_saveexec_b64 s[2:3], vcc
; %bb.37:
	v_subrev_u32_e32 v2, s27, v2
	v_cmp_gt_u32_e32 vcc, s28, v2
	v_pk_mov_b32 v[4:5], s[24:25], s[24:25] op_sel:[0,1]
	s_orn2_b64 s[6:7], vcc, exec
; %bb.38:
	s_or_b64 exec, exec, s[2:3]
	s_and_saveexec_b64 s[2:3], s[6:7]
	s_cbranch_execz .LBB45_40
; %bb.39:
	v_lshlrev_b64 v[4:5], 3, v[4:5]
	v_mov_b32_e32 v3, s13
	v_add_co_u32_e32 v4, vcc, s12, v4
	v_addc_co_u32_e32 v5, vcc, v3, v5, vcc
	v_mov_b32_e32 v3, 0
	v_lshlrev_b64 v[2:3], 3, v[2:3]
	v_add_co_u32_e32 v2, vcc, v4, v2
	v_addc_co_u32_e32 v3, vcc, v5, v3, vcc
	global_load_dwordx2 v[2:3], v[2:3], off
	s_waitcnt vmcnt(0)
	ds_write_b64 v14, v[2:3] offset:4096
.LBB45_40:
	s_or_b64 exec, exec, s[2:3]
	v_or_b32_e32 v4, 0x300, v0
	v_cmp_le_u32_e32 vcc, s27, v4
                                        ; implicit-def: $vgpr14
                                        ; implicit-def: $vgpr2_vgpr3
	s_and_saveexec_b64 s[2:3], vcc
	s_xor_b64 s[2:3], exec, s[2:3]
	s_cbranch_execz .LBB45_44
; %bb.41:
	v_subrev_u32_e32 v4, s27, v4
	v_cmp_gt_u32_e32 vcc, s28, v4
	s_mov_b64 s[8:9], s[4:5]
                                        ; implicit-def: $vgpr14
                                        ; implicit-def: $vgpr2_vgpr3
	s_and_saveexec_b64 s[6:7], vcc
; %bb.42:
	v_mul_u32_u24_e32 v2, 7, v0
	s_movk_i32 s8, 0x1800
	v_mov_b32_e32 v5, 0
	v_add3_u32 v14, v0, v2, s8
	v_lshlrev_b64 v[2:3], 3, v[4:5]
	v_mov_b32_e32 v4, s30
	v_add_co_u32_e32 v2, vcc, s29, v2
	v_addc_co_u32_e32 v3, vcc, v4, v3, vcc
	s_or_b64 s[8:9], s[4:5], exec
; %bb.43:
	s_or_b64 exec, exec, s[6:7]
	s_andn2_b64 s[4:5], s[4:5], exec
	s_and_b64 s[6:7], s[8:9], exec
	s_or_b64 s[4:5], s[4:5], s[6:7]
                                        ; implicit-def: $vgpr4
.LBB45_44:
	s_andn2_saveexec_b64 s[2:3], s[2:3]
; %bb.45:
	v_lshlrev_b32_e32 v2, 3, v4
	v_mov_b32_e32 v3, s26
	v_add_co_u32_e32 v2, vcc, s19, v2
	v_mul_u32_u24_e32 v4, 7, v0
	s_movk_i32 s6, 0x1800
	v_addc_co_u32_e32 v3, vcc, 0, v3, vcc
	v_add3_u32 v14, v0, v4, s6
	s_or_b64 s[4:5], s[4:5], exec
; %bb.46:
	s_or_b64 exec, exec, s[2:3]
.LBB45_47:
	s_and_saveexec_b64 s[2:3], s[4:5]
	s_cbranch_execz .LBB45_49
; %bb.48:
	global_load_dwordx2 v[2:3], v[2:3], off
	s_waitcnt vmcnt(0)
	ds_write_b64 v14, v[2:3]
.LBB45_49:
	s_or_b64 exec, exec, s[2:3]
	s_and_b64 vcc, exec, s[0:1]
	v_add_u32_e32 v2, s18, v8
	s_waitcnt lgkmcnt(0)
	s_barrier
	s_cbranch_vccnz .LBB45_53
; %bb.50:
	v_lshlrev_b32_e32 v14, 3, v13
	v_lshlrev_b32_e32 v16, 3, v12
	;; [unrolled: 1-line block ×3, first 2 shown]
	ds_read_b64 v[14:15], v14
	ds_read_b64 v[16:17], v16
	ds_read_b64 v[18:19], v18
	v_mov_b32_e32 v3, 0
	v_lshlrev_b64 v[4:5], 3, v[2:3]
	v_mov_b32_e32 v20, s15
	v_add_co_u32_e32 v4, vcc, s14, v4
	v_addc_co_u32_e32 v5, vcc, v20, v5, vcc
	s_mov_b64 s[0:1], -1
	s_waitcnt lgkmcnt(1)
	global_store_dwordx4 v[4:5], v[14:17], off
	s_waitcnt lgkmcnt(0)
	global_store_dwordx2 v[4:5], v[18:19], off offset:16
	s_cbranch_execz .LBB45_54
	s_branch .LBB45_63
.LBB45_51:
	s_andn2_saveexec_b64 s[2:3], s[2:3]
	s_cbranch_execz .LBB45_30
.LBB45_52:
	v_lshlrev_b32_e32 v2, 3, v0
	v_mov_b32_e32 v3, s26
	v_add_co_u32_e32 v2, vcc, s19, v2
	v_addc_co_u32_e32 v3, vcc, 0, v3, vcc
	s_or_b64 s[6:7], s[6:7], exec
	s_or_b64 exec, exec, s[2:3]
	v_mad_u32_u24 v14, v0, 7, v0
	s_and_saveexec_b64 s[2:3], s[6:7]
	s_cbranch_execnz .LBB45_31
	s_branch .LBB45_32
.LBB45_53:
	s_mov_b64 s[0:1], 0
.LBB45_54:
	v_cmp_gt_u32_e32 vcc, s17, v8
	s_and_saveexec_b64 s[2:3], vcc
	s_cbranch_execz .LBB45_56
; %bb.55:
	v_lshlrev_b32_e32 v13, 3, v13
	ds_read_b64 v[14:15], v13
	v_mov_b32_e32 v3, 0
	v_lshlrev_b64 v[4:5], 3, v[2:3]
	v_mov_b32_e32 v3, s15
	v_add_co_u32_e32 v4, vcc, s14, v4
	v_addc_co_u32_e32 v5, vcc, v3, v5, vcc
	s_waitcnt lgkmcnt(0)
	global_store_dwordx2 v[4:5], v[14:15], off
.LBB45_56:
	s_or_b64 exec, exec, s[2:3]
	v_or_b32_e32 v3, 1, v8
	v_cmp_gt_u32_e32 vcc, s17, v3
	s_and_saveexec_b64 s[2:3], vcc
	s_cbranch_execz .LBB45_58
; %bb.57:
	v_lshlrev_b32_e32 v12, 3, v12
	ds_read_b64 v[12:13], v12
	v_mov_b32_e32 v3, 0
	v_lshlrev_b64 v[4:5], 3, v[2:3]
	v_mov_b32_e32 v3, s15
	v_add_co_u32_e32 v4, vcc, s14, v4
	v_addc_co_u32_e32 v5, vcc, v3, v5, vcc
	s_waitcnt lgkmcnt(0)
	global_store_dwordx2 v[4:5], v[12:13], off offset:8
.LBB45_58:
	s_or_b64 exec, exec, s[2:3]
	v_or_b32_e32 v3, 2, v8
	v_cmp_gt_u32_e32 vcc, s17, v3
	s_and_saveexec_b64 s[2:3], vcc
	s_cbranch_execz .LBB45_60
; %bb.59:
	v_lshlrev_b32_e32 v11, 3, v11
	ds_read_b64 v[12:13], v11
	v_mov_b32_e32 v3, 0
	v_lshlrev_b64 v[4:5], 3, v[2:3]
	v_mov_b32_e32 v3, s15
	v_add_co_u32_e32 v4, vcc, s14, v4
	v_addc_co_u32_e32 v5, vcc, v3, v5, vcc
	s_waitcnt lgkmcnt(0)
	global_store_dwordx2 v[4:5], v[12:13], off offset:16
.LBB45_60:
	s_or_b64 exec, exec, s[2:3]
	v_or_b32_e32 v3, 3, v8
	v_cmp_gt_u32_e32 vcc, s17, v3
	s_and_saveexec_b64 s[2:3], vcc
; %bb.61:
	v_mov_b32_e32 v3, 0
	s_or_b64 s[0:1], s[0:1], exec
; %bb.62:
	s_or_b64 exec, exec, s[2:3]
.LBB45_63:
	s_and_saveexec_b64 s[2:3], s[0:1]
	s_cbranch_execz .LBB45_65
; %bb.64:
	v_lshlrev_b32_e32 v4, 3, v10
	ds_read_b64 v[4:5], v4
	v_lshlrev_b64 v[2:3], 3, v[2:3]
	v_mov_b32_e32 v11, s15
	v_add_co_u32_e32 v2, vcc, s14, v2
	v_addc_co_u32_e32 v3, vcc, v11, v3, vcc
	s_waitcnt lgkmcnt(0)
	global_store_dwordx2 v[2:3], v[4:5], off offset:24
.LBB45_65:
	s_or_b64 exec, exec, s[2:3]
	v_lshlrev_b16_e32 v3, 8, v6
	v_lshrrev_b32_e32 v2, 3, v0
	v_or_b32_sdwa v1, v1, v3 dst_sel:DWORD dst_unused:UNUSED_PAD src0_sel:BYTE_0 src1_sel:DWORD
	v_lshlrev_b16_e32 v3, 8, v9
	v_and_b32_e32 v2, 28, v2
	v_or_b32_sdwa v3, v7, v3 dst_sel:WORD_1 dst_unused:UNUSED_PAD src0_sel:BYTE_0 src1_sel:DWORD
	v_add_u32_e32 v2, v2, v8
	v_or_b32_sdwa v1, v1, v3 dst_sel:DWORD dst_unused:UNUSED_PAD src0_sel:WORD_0 src1_sel:DWORD
	s_barrier
	s_barrier
	ds_write_b32 v2, v1
	v_lshrrev_b32_e32 v1, 5, v0
	v_or_b32_e32 v5, 0x100, v0
	v_and_b32_e32 v6, 4, v1
	v_lshrrev_b32_e32 v1, 5, v5
	v_or_b32_e32 v4, 0x200, v0
	v_and_b32_e32 v7, 12, v1
	v_lshrrev_b32_e32 v1, 5, v4
	s_add_u32 s0, s10, s18
	v_and_b32_e32 v9, 20, v1
	v_or_b32_e32 v1, 0x300, v0
	s_addc_u32 s1, s11, 0
	v_lshrrev_b32_e32 v2, 5, v1
	v_and_b32_e32 v10, 28, v2
	v_mov_b32_e32 v3, s1
	v_add_co_u32_e32 v2, vcc, s0, v0
	v_addc_co_u32_e32 v3, vcc, 0, v3, vcc
	s_and_b64 vcc, exec, s[20:21]
	v_add_u32_e32 v8, v0, v7
	v_add_u32_e32 v9, v0, v9
	;; [unrolled: 1-line block ×3, first 2 shown]
	s_waitcnt lgkmcnt(0)
	s_cbranch_vccz .LBB45_67
; %bb.66:
	v_add_u32_e32 v7, v0, v6
	s_barrier
	ds_read_u8 v11, v7
	ds_read_u8 v12, v8 offset:256
	ds_read_u8 v13, v9 offset:512
	;; [unrolled: 1-line block ×3, first 2 shown]
	s_waitcnt lgkmcnt(3)
	global_store_byte v[2:3], v11, off
	s_waitcnt lgkmcnt(2)
	global_store_byte v[2:3], v12, off offset:256
	s_waitcnt lgkmcnt(1)
	global_store_byte v[2:3], v13, off offset:512
	s_mov_b64 s[0:1], -1
	s_cbranch_execz .LBB45_68
	s_branch .LBB45_73
.LBB45_67:
	s_mov_b64 s[0:1], 0
                                        ; implicit-def: $vgpr7
.LBB45_68:
	s_barrier
	s_waitcnt lgkmcnt(0)
	ds_read_u8 v11, v8 offset:256
	ds_read_u8 v8, v9 offset:512
	;; [unrolled: 1-line block ×3, first 2 shown]
	s_sub_i32 s2, s16, s18
	v_cmp_gt_u32_e32 vcc, s2, v0
	s_and_saveexec_b64 s[0:1], vcc
	s_cbranch_execz .LBB45_76
; %bb.69:
	v_add_u32_e32 v0, v0, v6
	ds_read_u8 v0, v0
	s_waitcnt lgkmcnt(0)
	global_store_byte v[2:3], v0, off
	s_or_b64 exec, exec, s[0:1]
	v_cmp_gt_u32_e32 vcc, s2, v5
	s_and_saveexec_b64 s[0:1], vcc
	s_cbranch_execnz .LBB45_77
.LBB45_70:
	s_or_b64 exec, exec, s[0:1]
	v_cmp_gt_u32_e32 vcc, s2, v4
	s_and_saveexec_b64 s[0:1], vcc
	s_cbranch_execz .LBB45_72
.LBB45_71:
	s_waitcnt lgkmcnt(1)
	global_store_byte v[2:3], v8, off offset:512
.LBB45_72:
	s_or_b64 exec, exec, s[0:1]
	v_cmp_gt_u32_e64 s[0:1], s2, v1
.LBB45_73:
	s_and_saveexec_b64 s[2:3], s[0:1]
	s_cbranch_execz .LBB45_75
; %bb.74:
	s_waitcnt lgkmcnt(0)
	global_store_byte v[2:3], v7, off offset:768
.LBB45_75:
	s_endpgm
.LBB45_76:
	s_or_b64 exec, exec, s[0:1]
	v_cmp_gt_u32_e32 vcc, s2, v5
	s_and_saveexec_b64 s[0:1], vcc
	s_cbranch_execz .LBB45_70
.LBB45_77:
	s_waitcnt lgkmcnt(2)
	global_store_byte v[2:3], v11, off offset:256
	s_or_b64 exec, exec, s[0:1]
	v_cmp_gt_u32_e32 vcc, s2, v4
	s_and_saveexec_b64 s[0:1], vcc
	s_cbranch_execnz .LBB45_71
	s_branch .LBB45_72
	.section	.rodata,"a",@progbits
	.p2align	6, 0x0
	.amdhsa_kernel _ZN7rocprim17ROCPRIM_304000_NS6detail35device_block_merge_mergepath_kernelINS1_37wrapped_merge_sort_block_merge_configINS0_14default_configEaN2at4cuda3cub6detail10OpaqueTypeILi8EEEEEPaSC_PSA_SD_jNS1_19radix_merge_compareILb0ELb1EaNS0_19identity_decomposerEEEEEvT0_T1_T2_T3_T4_SL_jT5_PKSL_NS1_7vsmem_tE
		.amdhsa_group_segment_fixed_size 8208
		.amdhsa_private_segment_fixed_size 0
		.amdhsa_kernarg_size 320
		.amdhsa_user_sgpr_count 6
		.amdhsa_user_sgpr_private_segment_buffer 1
		.amdhsa_user_sgpr_dispatch_ptr 0
		.amdhsa_user_sgpr_queue_ptr 0
		.amdhsa_user_sgpr_kernarg_segment_ptr 1
		.amdhsa_user_sgpr_dispatch_id 0
		.amdhsa_user_sgpr_flat_scratch_init 0
		.amdhsa_user_sgpr_kernarg_preload_length 0
		.amdhsa_user_sgpr_kernarg_preload_offset 0
		.amdhsa_user_sgpr_private_segment_size 0
		.amdhsa_uses_dynamic_stack 0
		.amdhsa_system_sgpr_private_segment_wavefront_offset 0
		.amdhsa_system_sgpr_workgroup_id_x 1
		.amdhsa_system_sgpr_workgroup_id_y 1
		.amdhsa_system_sgpr_workgroup_id_z 1
		.amdhsa_system_sgpr_workgroup_info 0
		.amdhsa_system_vgpr_workitem_id 0
		.amdhsa_next_free_vgpr 24
		.amdhsa_next_free_sgpr 31
		.amdhsa_accum_offset 24
		.amdhsa_reserve_vcc 1
		.amdhsa_reserve_flat_scratch 0
		.amdhsa_float_round_mode_32 0
		.amdhsa_float_round_mode_16_64 0
		.amdhsa_float_denorm_mode_32 3
		.amdhsa_float_denorm_mode_16_64 3
		.amdhsa_dx10_clamp 1
		.amdhsa_ieee_mode 1
		.amdhsa_fp16_overflow 0
		.amdhsa_tg_split 0
		.amdhsa_exception_fp_ieee_invalid_op 0
		.amdhsa_exception_fp_denorm_src 0
		.amdhsa_exception_fp_ieee_div_zero 0
		.amdhsa_exception_fp_ieee_overflow 0
		.amdhsa_exception_fp_ieee_underflow 0
		.amdhsa_exception_fp_ieee_inexact 0
		.amdhsa_exception_int_div_zero 0
	.end_amdhsa_kernel
	.section	.text._ZN7rocprim17ROCPRIM_304000_NS6detail35device_block_merge_mergepath_kernelINS1_37wrapped_merge_sort_block_merge_configINS0_14default_configEaN2at4cuda3cub6detail10OpaqueTypeILi8EEEEEPaSC_PSA_SD_jNS1_19radix_merge_compareILb0ELb1EaNS0_19identity_decomposerEEEEEvT0_T1_T2_T3_T4_SL_jT5_PKSL_NS1_7vsmem_tE,"axG",@progbits,_ZN7rocprim17ROCPRIM_304000_NS6detail35device_block_merge_mergepath_kernelINS1_37wrapped_merge_sort_block_merge_configINS0_14default_configEaN2at4cuda3cub6detail10OpaqueTypeILi8EEEEEPaSC_PSA_SD_jNS1_19radix_merge_compareILb0ELb1EaNS0_19identity_decomposerEEEEEvT0_T1_T2_T3_T4_SL_jT5_PKSL_NS1_7vsmem_tE,comdat
.Lfunc_end45:
	.size	_ZN7rocprim17ROCPRIM_304000_NS6detail35device_block_merge_mergepath_kernelINS1_37wrapped_merge_sort_block_merge_configINS0_14default_configEaN2at4cuda3cub6detail10OpaqueTypeILi8EEEEEPaSC_PSA_SD_jNS1_19radix_merge_compareILb0ELb1EaNS0_19identity_decomposerEEEEEvT0_T1_T2_T3_T4_SL_jT5_PKSL_NS1_7vsmem_tE, .Lfunc_end45-_ZN7rocprim17ROCPRIM_304000_NS6detail35device_block_merge_mergepath_kernelINS1_37wrapped_merge_sort_block_merge_configINS0_14default_configEaN2at4cuda3cub6detail10OpaqueTypeILi8EEEEEPaSC_PSA_SD_jNS1_19radix_merge_compareILb0ELb1EaNS0_19identity_decomposerEEEEEvT0_T1_T2_T3_T4_SL_jT5_PKSL_NS1_7vsmem_tE
                                        ; -- End function
	.section	.AMDGPU.csdata,"",@progbits
; Kernel info:
; codeLenInByte = 3300
; NumSgprs: 35
; NumVgprs: 24
; NumAgprs: 0
; TotalNumVgprs: 24
; ScratchSize: 0
; MemoryBound: 1
; FloatMode: 240
; IeeeMode: 1
; LDSByteSize: 8208 bytes/workgroup (compile time only)
; SGPRBlocks: 4
; VGPRBlocks: 2
; NumSGPRsForWavesPerEU: 35
; NumVGPRsForWavesPerEU: 24
; AccumOffset: 24
; Occupancy: 7
; WaveLimiterHint : 1
; COMPUTE_PGM_RSRC2:SCRATCH_EN: 0
; COMPUTE_PGM_RSRC2:USER_SGPR: 6
; COMPUTE_PGM_RSRC2:TRAP_HANDLER: 0
; COMPUTE_PGM_RSRC2:TGID_X_EN: 1
; COMPUTE_PGM_RSRC2:TGID_Y_EN: 1
; COMPUTE_PGM_RSRC2:TGID_Z_EN: 1
; COMPUTE_PGM_RSRC2:TIDIG_COMP_CNT: 0
; COMPUTE_PGM_RSRC3_GFX90A:ACCUM_OFFSET: 5
; COMPUTE_PGM_RSRC3_GFX90A:TG_SPLIT: 0
	.section	.text._ZN7rocprim17ROCPRIM_304000_NS6detail33device_block_merge_oddeven_kernelINS1_37wrapped_merge_sort_block_merge_configINS0_14default_configEaN2at4cuda3cub6detail10OpaqueTypeILi8EEEEEPaSC_PSA_SD_jNS1_19radix_merge_compareILb0ELb1EaNS0_19identity_decomposerEEEEEvT0_T1_T2_T3_T4_SL_T5_,"axG",@progbits,_ZN7rocprim17ROCPRIM_304000_NS6detail33device_block_merge_oddeven_kernelINS1_37wrapped_merge_sort_block_merge_configINS0_14default_configEaN2at4cuda3cub6detail10OpaqueTypeILi8EEEEEPaSC_PSA_SD_jNS1_19radix_merge_compareILb0ELb1EaNS0_19identity_decomposerEEEEEvT0_T1_T2_T3_T4_SL_T5_,comdat
	.protected	_ZN7rocprim17ROCPRIM_304000_NS6detail33device_block_merge_oddeven_kernelINS1_37wrapped_merge_sort_block_merge_configINS0_14default_configEaN2at4cuda3cub6detail10OpaqueTypeILi8EEEEEPaSC_PSA_SD_jNS1_19radix_merge_compareILb0ELb1EaNS0_19identity_decomposerEEEEEvT0_T1_T2_T3_T4_SL_T5_ ; -- Begin function _ZN7rocprim17ROCPRIM_304000_NS6detail33device_block_merge_oddeven_kernelINS1_37wrapped_merge_sort_block_merge_configINS0_14default_configEaN2at4cuda3cub6detail10OpaqueTypeILi8EEEEEPaSC_PSA_SD_jNS1_19radix_merge_compareILb0ELb1EaNS0_19identity_decomposerEEEEEvT0_T1_T2_T3_T4_SL_T5_
	.globl	_ZN7rocprim17ROCPRIM_304000_NS6detail33device_block_merge_oddeven_kernelINS1_37wrapped_merge_sort_block_merge_configINS0_14default_configEaN2at4cuda3cub6detail10OpaqueTypeILi8EEEEEPaSC_PSA_SD_jNS1_19radix_merge_compareILb0ELb1EaNS0_19identity_decomposerEEEEEvT0_T1_T2_T3_T4_SL_T5_
	.p2align	8
	.type	_ZN7rocprim17ROCPRIM_304000_NS6detail33device_block_merge_oddeven_kernelINS1_37wrapped_merge_sort_block_merge_configINS0_14default_configEaN2at4cuda3cub6detail10OpaqueTypeILi8EEEEEPaSC_PSA_SD_jNS1_19radix_merge_compareILb0ELb1EaNS0_19identity_decomposerEEEEEvT0_T1_T2_T3_T4_SL_T5_,@function
_ZN7rocprim17ROCPRIM_304000_NS6detail33device_block_merge_oddeven_kernelINS1_37wrapped_merge_sort_block_merge_configINS0_14default_configEaN2at4cuda3cub6detail10OpaqueTypeILi8EEEEEPaSC_PSA_SD_jNS1_19radix_merge_compareILb0ELb1EaNS0_19identity_decomposerEEEEEvT0_T1_T2_T3_T4_SL_T5_: ; @_ZN7rocprim17ROCPRIM_304000_NS6detail33device_block_merge_oddeven_kernelINS1_37wrapped_merge_sort_block_merge_configINS0_14default_configEaN2at4cuda3cub6detail10OpaqueTypeILi8EEEEEPaSC_PSA_SD_jNS1_19radix_merge_compareILb0ELb1EaNS0_19identity_decomposerEEEEEvT0_T1_T2_T3_T4_SL_T5_
; %bb.0:
	s_load_dwordx4 s[16:19], s[4:5], 0x20
	s_waitcnt lgkmcnt(0)
	s_lshr_b32 s2, s16, 8
	s_cmp_lg_u32 s6, s2
	s_cselect_b64 s[0:1], -1, 0
	s_cmp_eq_u32 s6, s2
	s_cselect_b64 s[20:21], -1, 0
	s_lshl_b32 s22, s6, 8
	s_sub_i32 s2, s16, s22
	v_cmp_gt_u32_e64 s[2:3], s2, v0
	s_or_b64 s[0:1], s[0:1], s[2:3]
	s_and_saveexec_b64 s[8:9], s[0:1]
	s_cbranch_execz .LBB46_26
; %bb.1:
	s_load_dwordx8 s[8:15], s[4:5], 0x0
	s_mov_b32 s23, 0
	v_lshlrev_b32_e32 v1, 3, v0
	v_add_u32_e32 v4, s22, v0
	s_waitcnt lgkmcnt(0)
	s_add_u32 s0, s8, s22
	s_addc_u32 s1, s9, 0
	s_lshl_b64 s[4:5], s[22:23], 3
	s_add_u32 s4, s12, s4
	s_addc_u32 s5, s13, s5
	global_load_dwordx2 v[2:3], v1, s[4:5]
	global_load_ubyte v6, v0, s[0:1]
	s_lshr_b32 s0, s17, 8
	s_sub_i32 s1, 0, s0
	s_and_b32 s1, s6, s1
	s_and_b32 s0, s1, s0
	s_lshl_b32 s23, s1, 8
	s_sub_i32 s6, 0, s17
	s_cmp_eq_u32 s0, 0
	s_cselect_b64 s[0:1], -1, 0
	s_and_b64 s[4:5], s[0:1], exec
	s_cselect_b32 s19, s17, s6
	s_add_i32 s19, s19, s23
	s_cmp_lt_u32 s19, s16
	s_cbranch_scc1 .LBB46_6
; %bb.2:
	s_and_b64 vcc, exec, s[20:21]
	s_cbranch_vccz .LBB46_7
; %bb.3:
	v_cmp_gt_u32_e32 vcc, s16, v4
	s_mov_b64 s[6:7], 0
	s_mov_b64 s[4:5], 0
                                        ; implicit-def: $vgpr0_vgpr1
	s_and_saveexec_b64 s[12:13], vcc
	s_cbranch_execz .LBB46_5
; %bb.4:
	v_mov_b32_e32 v5, 0
	v_lshlrev_b64 v[0:1], 3, v[4:5]
	v_mov_b32_e32 v5, s15
	v_add_co_u32_e32 v0, vcc, s14, v0
	s_mov_b64 s[4:5], exec
	v_addc_co_u32_e32 v1, vcc, v5, v1, vcc
	s_waitcnt vmcnt(0)
	global_store_byte v4, v6, s[10:11]
.LBB46_5:
	s_or_b64 exec, exec, s[12:13]
	s_and_b64 vcc, exec, s[6:7]
	s_cbranch_vccnz .LBB46_8
	s_branch .LBB46_9
.LBB46_6:
	s_mov_b64 s[4:5], 0
                                        ; implicit-def: $vgpr0_vgpr1
	s_cbranch_execnz .LBB46_10
	s_branch .LBB46_24
.LBB46_7:
	s_mov_b64 s[4:5], 0
                                        ; implicit-def: $vgpr0_vgpr1
	s_cbranch_execz .LBB46_9
.LBB46_8:
	v_mov_b32_e32 v5, 0
	v_lshlrev_b64 v[0:1], 3, v[4:5]
	v_mov_b32_e32 v5, s15
	v_add_co_u32_e32 v0, vcc, s14, v0
	v_addc_co_u32_e32 v1, vcc, v5, v1, vcc
	s_or_b64 s[4:5], s[4:5], exec
	s_waitcnt vmcnt(0)
	global_store_byte v4, v6, s[10:11]
.LBB46_9:
	s_branch .LBB46_24
.LBB46_10:
	s_min_u32 s12, s19, s16
	s_add_i32 s6, s12, s17
	s_min_u32 s13, s6, s16
	s_min_u32 s6, s23, s12
	s_add_i32 s23, s23, s12
	v_subrev_u32_e32 v0, s23, v4
	v_add_u32_e32 v4, s6, v0
	s_and_b64 vcc, exec, s[20:21]
	s_cbranch_vccz .LBB46_18
; %bb.11:
                                        ; implicit-def: $vgpr0_vgpr1
	s_and_saveexec_b64 s[6:7], s[2:3]
	s_cbranch_execz .LBB46_17
; %bb.12:
	s_cmp_ge_u32 s19, s13
	v_mov_b32_e32 v0, s12
	s_cbranch_scc1 .LBB46_16
; %bb.13:
	s_waitcnt vmcnt(0)
	v_and_b32_e32 v1, s18, v6
	s_mov_b64 s[2:3], 0
	v_mov_b32_e32 v5, s13
	v_mov_b32_e32 v0, s12
.LBB46_14:                              ; =>This Inner Loop Header: Depth=1
	v_add_u32_e32 v7, v0, v5
	v_lshrrev_b32_e32 v7, 1, v7
	global_load_ubyte v8, v7, s[8:9]
	v_add_u32_e32 v9, 1, v7
	s_waitcnt vmcnt(0)
	v_and_b32_e32 v8, s18, v8
	v_bfe_i32 v8, v8, 0, 8
	v_cmp_gt_i16_sdwa s[16:17], sext(v1), v8 src0_sel:BYTE_0 src1_sel:DWORD
	v_cndmask_b32_e64 v10, 0, 1, s[16:17]
	v_cmp_le_i16_sdwa s[16:17], v8, sext(v1) src0_sel:DWORD src1_sel:BYTE_0
	v_cndmask_b32_e64 v8, 0, 1, s[16:17]
	v_cndmask_b32_e64 v8, v8, v10, s[0:1]
	v_and_b32_e32 v8, 1, v8
	v_cmp_eq_u32_e32 vcc, 1, v8
	v_cndmask_b32_e32 v5, v7, v5, vcc
	v_cndmask_b32_e32 v0, v0, v9, vcc
	v_cmp_ge_u32_e32 vcc, v0, v5
	s_or_b64 s[2:3], vcc, s[2:3]
	s_andn2_b64 exec, exec, s[2:3]
	s_cbranch_execnz .LBB46_14
; %bb.15:
	s_or_b64 exec, exec, s[2:3]
.LBB46_16:
	v_add_u32_e32 v0, v0, v4
	v_mov_b32_e32 v1, 0
	s_waitcnt vmcnt(0)
	global_store_byte v0, v6, s[10:11]
	v_lshlrev_b64 v[0:1], 3, v[0:1]
	v_mov_b32_e32 v5, s15
	v_add_co_u32_e32 v0, vcc, s14, v0
	v_addc_co_u32_e32 v1, vcc, v5, v1, vcc
	s_or_b64 s[4:5], s[4:5], exec
.LBB46_17:
	s_or_b64 exec, exec, s[6:7]
	s_branch .LBB46_24
.LBB46_18:
                                        ; implicit-def: $vgpr0_vgpr1
	s_cbranch_execz .LBB46_24
; %bb.19:
	s_cmp_ge_u32 s19, s13
	v_mov_b32_e32 v0, s12
	s_cbranch_scc1 .LBB46_23
; %bb.20:
	s_waitcnt vmcnt(0)
	v_and_b32_e32 v1, s18, v6
	s_mov_b64 s[2:3], 0
	v_mov_b32_e32 v5, s13
	v_mov_b32_e32 v0, s12
.LBB46_21:                              ; =>This Inner Loop Header: Depth=1
	v_add_u32_e32 v7, v0, v5
	v_lshrrev_b32_e32 v7, 1, v7
	global_load_ubyte v8, v7, s[8:9]
	v_add_u32_e32 v9, 1, v7
	s_waitcnt vmcnt(0)
	v_and_b32_e32 v8, s18, v8
	v_bfe_i32 v8, v8, 0, 8
	v_cmp_gt_i16_sdwa s[4:5], sext(v1), v8 src0_sel:BYTE_0 src1_sel:DWORD
	v_cndmask_b32_e64 v10, 0, 1, s[4:5]
	v_cmp_le_i16_sdwa s[4:5], v8, sext(v1) src0_sel:DWORD src1_sel:BYTE_0
	v_cndmask_b32_e64 v8, 0, 1, s[4:5]
	v_cndmask_b32_e64 v8, v8, v10, s[0:1]
	v_and_b32_e32 v8, 1, v8
	v_cmp_eq_u32_e32 vcc, 1, v8
	v_cndmask_b32_e32 v5, v7, v5, vcc
	v_cndmask_b32_e32 v0, v0, v9, vcc
	v_cmp_ge_u32_e32 vcc, v0, v5
	s_or_b64 s[2:3], vcc, s[2:3]
	s_andn2_b64 exec, exec, s[2:3]
	s_cbranch_execnz .LBB46_21
; %bb.22:
	s_or_b64 exec, exec, s[2:3]
.LBB46_23:
	v_add_u32_e32 v0, v0, v4
	v_mov_b32_e32 v1, 0
	s_waitcnt vmcnt(0)
	global_store_byte v0, v6, s[10:11]
	v_lshlrev_b64 v[0:1], 3, v[0:1]
	v_mov_b32_e32 v4, s15
	v_add_co_u32_e32 v0, vcc, s14, v0
	v_addc_co_u32_e32 v1, vcc, v4, v1, vcc
	s_mov_b64 s[4:5], -1
.LBB46_24:
	s_and_b64 exec, exec, s[4:5]
	s_cbranch_execz .LBB46_26
; %bb.25:
	s_waitcnt vmcnt(1)
	global_store_dwordx2 v[0:1], v[2:3], off
.LBB46_26:
	s_endpgm
	.section	.rodata,"a",@progbits
	.p2align	6, 0x0
	.amdhsa_kernel _ZN7rocprim17ROCPRIM_304000_NS6detail33device_block_merge_oddeven_kernelINS1_37wrapped_merge_sort_block_merge_configINS0_14default_configEaN2at4cuda3cub6detail10OpaqueTypeILi8EEEEEPaSC_PSA_SD_jNS1_19radix_merge_compareILb0ELb1EaNS0_19identity_decomposerEEEEEvT0_T1_T2_T3_T4_SL_T5_
		.amdhsa_group_segment_fixed_size 0
		.amdhsa_private_segment_fixed_size 0
		.amdhsa_kernarg_size 44
		.amdhsa_user_sgpr_count 6
		.amdhsa_user_sgpr_private_segment_buffer 1
		.amdhsa_user_sgpr_dispatch_ptr 0
		.amdhsa_user_sgpr_queue_ptr 0
		.amdhsa_user_sgpr_kernarg_segment_ptr 1
		.amdhsa_user_sgpr_dispatch_id 0
		.amdhsa_user_sgpr_flat_scratch_init 0
		.amdhsa_user_sgpr_kernarg_preload_length 0
		.amdhsa_user_sgpr_kernarg_preload_offset 0
		.amdhsa_user_sgpr_private_segment_size 0
		.amdhsa_uses_dynamic_stack 0
		.amdhsa_system_sgpr_private_segment_wavefront_offset 0
		.amdhsa_system_sgpr_workgroup_id_x 1
		.amdhsa_system_sgpr_workgroup_id_y 0
		.amdhsa_system_sgpr_workgroup_id_z 0
		.amdhsa_system_sgpr_workgroup_info 0
		.amdhsa_system_vgpr_workitem_id 0
		.amdhsa_next_free_vgpr 11
		.amdhsa_next_free_sgpr 24
		.amdhsa_accum_offset 12
		.amdhsa_reserve_vcc 1
		.amdhsa_reserve_flat_scratch 0
		.amdhsa_float_round_mode_32 0
		.amdhsa_float_round_mode_16_64 0
		.amdhsa_float_denorm_mode_32 3
		.amdhsa_float_denorm_mode_16_64 3
		.amdhsa_dx10_clamp 1
		.amdhsa_ieee_mode 1
		.amdhsa_fp16_overflow 0
		.amdhsa_tg_split 0
		.amdhsa_exception_fp_ieee_invalid_op 0
		.amdhsa_exception_fp_denorm_src 0
		.amdhsa_exception_fp_ieee_div_zero 0
		.amdhsa_exception_fp_ieee_overflow 0
		.amdhsa_exception_fp_ieee_underflow 0
		.amdhsa_exception_fp_ieee_inexact 0
		.amdhsa_exception_int_div_zero 0
	.end_amdhsa_kernel
	.section	.text._ZN7rocprim17ROCPRIM_304000_NS6detail33device_block_merge_oddeven_kernelINS1_37wrapped_merge_sort_block_merge_configINS0_14default_configEaN2at4cuda3cub6detail10OpaqueTypeILi8EEEEEPaSC_PSA_SD_jNS1_19radix_merge_compareILb0ELb1EaNS0_19identity_decomposerEEEEEvT0_T1_T2_T3_T4_SL_T5_,"axG",@progbits,_ZN7rocprim17ROCPRIM_304000_NS6detail33device_block_merge_oddeven_kernelINS1_37wrapped_merge_sort_block_merge_configINS0_14default_configEaN2at4cuda3cub6detail10OpaqueTypeILi8EEEEEPaSC_PSA_SD_jNS1_19radix_merge_compareILb0ELb1EaNS0_19identity_decomposerEEEEEvT0_T1_T2_T3_T4_SL_T5_,comdat
.Lfunc_end46:
	.size	_ZN7rocprim17ROCPRIM_304000_NS6detail33device_block_merge_oddeven_kernelINS1_37wrapped_merge_sort_block_merge_configINS0_14default_configEaN2at4cuda3cub6detail10OpaqueTypeILi8EEEEEPaSC_PSA_SD_jNS1_19radix_merge_compareILb0ELb1EaNS0_19identity_decomposerEEEEEvT0_T1_T2_T3_T4_SL_T5_, .Lfunc_end46-_ZN7rocprim17ROCPRIM_304000_NS6detail33device_block_merge_oddeven_kernelINS1_37wrapped_merge_sort_block_merge_configINS0_14default_configEaN2at4cuda3cub6detail10OpaqueTypeILi8EEEEEPaSC_PSA_SD_jNS1_19radix_merge_compareILb0ELb1EaNS0_19identity_decomposerEEEEEvT0_T1_T2_T3_T4_SL_T5_
                                        ; -- End function
	.section	.AMDGPU.csdata,"",@progbits
; Kernel info:
; codeLenInByte = 776
; NumSgprs: 28
; NumVgprs: 11
; NumAgprs: 0
; TotalNumVgprs: 11
; ScratchSize: 0
; MemoryBound: 0
; FloatMode: 240
; IeeeMode: 1
; LDSByteSize: 0 bytes/workgroup (compile time only)
; SGPRBlocks: 3
; VGPRBlocks: 1
; NumSGPRsForWavesPerEU: 28
; NumVGPRsForWavesPerEU: 11
; AccumOffset: 12
; Occupancy: 8
; WaveLimiterHint : 0
; COMPUTE_PGM_RSRC2:SCRATCH_EN: 0
; COMPUTE_PGM_RSRC2:USER_SGPR: 6
; COMPUTE_PGM_RSRC2:TRAP_HANDLER: 0
; COMPUTE_PGM_RSRC2:TGID_X_EN: 1
; COMPUTE_PGM_RSRC2:TGID_Y_EN: 0
; COMPUTE_PGM_RSRC2:TGID_Z_EN: 0
; COMPUTE_PGM_RSRC2:TIDIG_COMP_CNT: 0
; COMPUTE_PGM_RSRC3_GFX90A:ACCUM_OFFSET: 2
; COMPUTE_PGM_RSRC3_GFX90A:TG_SPLIT: 0
	.section	.text._ZN7rocprim17ROCPRIM_304000_NS6detail26onesweep_histograms_kernelINS1_34wrapped_radix_sort_onesweep_configINS0_14default_configEaN2at4cuda3cub6detail10OpaqueTypeILi8EEEEELb0EPKamNS0_19identity_decomposerEEEvT1_PT2_SG_SG_T3_jj,"axG",@progbits,_ZN7rocprim17ROCPRIM_304000_NS6detail26onesweep_histograms_kernelINS1_34wrapped_radix_sort_onesweep_configINS0_14default_configEaN2at4cuda3cub6detail10OpaqueTypeILi8EEEEELb0EPKamNS0_19identity_decomposerEEEvT1_PT2_SG_SG_T3_jj,comdat
	.protected	_ZN7rocprim17ROCPRIM_304000_NS6detail26onesweep_histograms_kernelINS1_34wrapped_radix_sort_onesweep_configINS0_14default_configEaN2at4cuda3cub6detail10OpaqueTypeILi8EEEEELb0EPKamNS0_19identity_decomposerEEEvT1_PT2_SG_SG_T3_jj ; -- Begin function _ZN7rocprim17ROCPRIM_304000_NS6detail26onesweep_histograms_kernelINS1_34wrapped_radix_sort_onesweep_configINS0_14default_configEaN2at4cuda3cub6detail10OpaqueTypeILi8EEEEELb0EPKamNS0_19identity_decomposerEEEvT1_PT2_SG_SG_T3_jj
	.globl	_ZN7rocprim17ROCPRIM_304000_NS6detail26onesweep_histograms_kernelINS1_34wrapped_radix_sort_onesweep_configINS0_14default_configEaN2at4cuda3cub6detail10OpaqueTypeILi8EEEEELb0EPKamNS0_19identity_decomposerEEEvT1_PT2_SG_SG_T3_jj
	.p2align	8
	.type	_ZN7rocprim17ROCPRIM_304000_NS6detail26onesweep_histograms_kernelINS1_34wrapped_radix_sort_onesweep_configINS0_14default_configEaN2at4cuda3cub6detail10OpaqueTypeILi8EEEEELb0EPKamNS0_19identity_decomposerEEEvT1_PT2_SG_SG_T3_jj,@function
_ZN7rocprim17ROCPRIM_304000_NS6detail26onesweep_histograms_kernelINS1_34wrapped_radix_sort_onesweep_configINS0_14default_configEaN2at4cuda3cub6detail10OpaqueTypeILi8EEEEELb0EPKamNS0_19identity_decomposerEEEvT1_PT2_SG_SG_T3_jj: ; @_ZN7rocprim17ROCPRIM_304000_NS6detail26onesweep_histograms_kernelINS1_34wrapped_radix_sort_onesweep_configINS0_14default_configEaN2at4cuda3cub6detail10OpaqueTypeILi8EEEEELb0EPKamNS0_19identity_decomposerEEEvT1_PT2_SG_SG_T3_jj
; %bb.0:
	s_load_dwordx8 s[8:15], s[4:5], 0x0
	s_load_dwordx2 s[16:17], s[4:5], 0x24
	s_mov_b32 s7, 0
	s_mul_i32 s1, s6, 0xc00
	s_mul_hi_u32 s0, s6, 0xc00
	s_waitcnt lgkmcnt(0)
	v_pk_mov_b32 v[2:3], s[14:15], s[14:15] op_sel:[0,1]
	v_cmp_ge_u64_e32 vcc, s[6:7], v[2:3]
	s_add_u32 s18, s8, s1
	s_addc_u32 s19, s9, s0
	s_mov_b64 s[0:1], -1
	s_cbranch_vccz .LBB47_50
; %bb.1:
	s_mulk_i32 s14, 0xf400
	s_add_i32 s14, s14, s12
	v_mov_b32_e32 v1, s19
	v_add_co_u32_e32 v2, vcc, s18, v0
	v_addc_co_u32_e32 v3, vcc, 0, v1, vcc
	v_cmp_gt_u32_e64 s[8:9], s14, v0
                                        ; implicit-def: $vgpr8
	s_and_saveexec_b64 s[0:1], s[8:9]
	s_cbranch_execz .LBB47_3
; %bb.2:
	global_load_ubyte v8, v[2:3], off
.LBB47_3:
	s_or_b64 exec, exec, s[0:1]
	v_or_b32_e32 v1, 0x200, v0
	v_cmp_gt_u32_e64 s[6:7], s14, v1
                                        ; implicit-def: $vgpr7
	s_and_saveexec_b64 s[0:1], s[6:7]
	s_cbranch_execz .LBB47_5
; %bb.4:
	global_load_ubyte v7, v[2:3], off offset:512
.LBB47_5:
	s_or_b64 exec, exec, s[0:1]
	v_or_b32_e32 v1, 0x400, v0
	v_cmp_gt_u32_e64 s[4:5], s14, v1
                                        ; implicit-def: $vgpr6
	s_and_saveexec_b64 s[0:1], s[4:5]
	s_cbranch_execz .LBB47_7
; %bb.6:
	global_load_ubyte v6, v[2:3], off offset:1024
.LBB47_7:
	s_or_b64 exec, exec, s[0:1]
	v_or_b32_e32 v1, 0x600, v0
	v_cmp_gt_u32_e64 s[2:3], s14, v1
                                        ; implicit-def: $vgpr5
	s_and_saveexec_b64 s[0:1], s[2:3]
	s_cbranch_execz .LBB47_9
; %bb.8:
	global_load_ubyte v5, v[2:3], off offset:1536
.LBB47_9:
	s_or_b64 exec, exec, s[0:1]
	v_or_b32_e32 v1, 0x800, v0
	v_cmp_gt_u32_e64 s[0:1], s14, v1
                                        ; implicit-def: $vgpr4
	s_and_saveexec_b64 s[12:13], s[0:1]
	s_cbranch_execz .LBB47_11
; %bb.10:
	global_load_ubyte v4, v[2:3], off offset:2048
.LBB47_11:
	s_or_b64 exec, exec, s[12:13]
	v_or_b32_e32 v1, 0xa00, v0
	v_cmp_gt_u32_e32 vcc, s14, v1
                                        ; implicit-def: $vgpr1
	s_and_saveexec_b64 s[12:13], vcc
	s_cbranch_execz .LBB47_13
; %bb.12:
	global_load_ubyte v1, v[2:3], off offset:2560
.LBB47_13:
	s_or_b64 exec, exec, s[12:13]
	v_lshlrev_b32_e32 v2, 2, v0
	s_mov_b32 s22, 0
	s_mov_b64 s[12:13], 0
	v_mov_b32_e32 v3, 0
	s_branch .LBB47_15
.LBB47_14:                              ;   in Loop: Header=BB47_15 Depth=1
	s_or_b64 exec, exec, s[20:21]
	s_add_i32 s22, s22, 2
	v_cmp_eq_u32_e64 s[14:15], 2, s22
	s_or_b64 s[12:13], s[14:15], s[12:13]
	v_add_u32_e32 v2, 0x1000, v2
	s_andn2_b64 exec, exec, s[12:13]
	s_cbranch_execz .LBB47_19
.LBB47_15:                              ; =>This Inner Loop Header: Depth=1
	s_or_b32 s14, s22, 1
	v_cmp_le_u32_e64 s[14:15], s14, 1
	v_cmp_le_u32_e64 s[24:25], s22, 1
	s_and_saveexec_b64 s[20:21], s[24:25]
	s_cbranch_execz .LBB47_17
; %bb.16:                               ;   in Loop: Header=BB47_15 Depth=1
	ds_write_b32 v2, v3
.LBB47_17:                              ;   in Loop: Header=BB47_15 Depth=1
	s_or_b64 exec, exec, s[20:21]
	s_and_saveexec_b64 s[20:21], s[14:15]
	s_cbranch_execz .LBB47_14
; %bb.18:                               ;   in Loop: Header=BB47_15 Depth=1
	ds_write_b32 v2, v3 offset:2048
	s_branch .LBB47_14
.LBB47_19:
	s_or_b64 exec, exec, s[12:13]
	s_cmp_gt_u32 s17, s16
	s_cselect_b64 s[12:13], -1, 0
	s_cmp_le_u32 s17, s16
	s_waitcnt lgkmcnt(0)
	s_barrier
	s_cbranch_scc1 .LBB47_44
; %bb.20:
	v_and_b32_e32 v2, 3, v0
	v_lshlrev_b32_e32 v2, 2, v2
	s_sub_i32 s20, s17, s16
	s_waitcnt vmcnt(0)
	v_xor_b32_e32 v3, 0x80, v8
	v_mov_b32_e32 v8, 1
	s_mov_b32 s21, s20
	v_mov_b32_e32 v9, v2
	s_mov_b32 s22, s16
	s_branch .LBB47_22
.LBB47_21:                              ;   in Loop: Header=BB47_22 Depth=1
	s_or_b64 exec, exec, s[14:15]
	s_add_i32 s22, s22, 8
	s_add_i32 s21, s21, -8
	s_cmp_ge_u32 s22, s17
	v_add_u32_e32 v9, 0x1000, v9
	s_cbranch_scc1 .LBB47_24
.LBB47_22:                              ; =>This Inner Loop Header: Depth=1
	s_and_saveexec_b64 s[14:15], s[8:9]
	s_cbranch_execz .LBB47_21
; %bb.23:                               ;   in Loop: Header=BB47_22 Depth=1
	s_min_u32 s23, s21, 8
	v_lshrrev_b32_sdwa v10, s22, v3 dst_sel:DWORD dst_unused:UNUSED_PAD src0_sel:DWORD src1_sel:BYTE_0
	v_bfe_u32 v10, v10, 0, s23
	v_lshl_add_u32 v10, v10, 4, v9
	ds_add_u32 v10, v8
	s_branch .LBB47_21
.LBB47_24:
	v_xor_b32_e32 v3, 0x80, v7
	v_mov_b32_e32 v7, 1
	s_mov_b32 s14, s20
	v_mov_b32_e32 v8, v2
	s_mov_b32 s15, s16
	s_branch .LBB47_26
.LBB47_25:                              ;   in Loop: Header=BB47_26 Depth=1
	s_or_b64 exec, exec, s[8:9]
	s_add_i32 s15, s15, 8
	s_add_i32 s14, s14, -8
	s_cmp_lt_u32 s15, s17
	v_add_u32_e32 v8, 0x1000, v8
	s_cbranch_scc0 .LBB47_28
.LBB47_26:                              ; =>This Inner Loop Header: Depth=1
	s_and_saveexec_b64 s[8:9], s[6:7]
	s_cbranch_execz .LBB47_25
; %bb.27:                               ;   in Loop: Header=BB47_26 Depth=1
	s_min_u32 s21, s14, 8
	v_lshrrev_b32_sdwa v9, s15, v3 dst_sel:DWORD dst_unused:UNUSED_PAD src0_sel:DWORD src1_sel:BYTE_0
	v_bfe_u32 v9, v9, 0, s21
	v_lshl_add_u32 v9, v9, 4, v8
	ds_add_u32 v9, v7
	s_branch .LBB47_25
.LBB47_28:
	v_xor_b32_e32 v3, 0x80, v6
	v_mov_b32_e32 v6, 1
	s_mov_b32 s8, s20
	v_mov_b32_e32 v7, v2
	s_mov_b32 s9, s16
	s_branch .LBB47_30
.LBB47_29:                              ;   in Loop: Header=BB47_30 Depth=1
	s_or_b64 exec, exec, s[6:7]
	s_add_i32 s9, s9, 8
	s_add_i32 s8, s8, -8
	s_cmp_lt_u32 s9, s17
	v_add_u32_e32 v7, 0x1000, v7
	s_cbranch_scc0 .LBB47_32
.LBB47_30:                              ; =>This Inner Loop Header: Depth=1
	s_and_saveexec_b64 s[6:7], s[4:5]
	s_cbranch_execz .LBB47_29
; %bb.31:                               ;   in Loop: Header=BB47_30 Depth=1
	s_min_u32 s14, s8, 8
	v_lshrrev_b32_sdwa v8, s9, v3 dst_sel:DWORD dst_unused:UNUSED_PAD src0_sel:DWORD src1_sel:BYTE_0
	v_bfe_u32 v8, v8, 0, s14
	v_lshl_add_u32 v8, v8, 4, v7
	ds_add_u32 v8, v6
	s_branch .LBB47_29
.LBB47_32:
	;; [unrolled: 24-line block ×4, first 2 shown]
	v_xor_b32_e32 v1, 0x80, v1
	v_mov_b32_e32 v3, 1
	s_mov_b32 s2, s16
	s_branch .LBB47_42
.LBB47_41:                              ;   in Loop: Header=BB47_42 Depth=1
	s_or_b64 exec, exec, s[0:1]
	s_add_i32 s2, s2, 8
	s_add_i32 s20, s20, -8
	s_cmp_lt_u32 s2, s17
	v_add_u32_e32 v2, 0x1000, v2
	s_cbranch_scc0 .LBB47_44
.LBB47_42:                              ; =>This Inner Loop Header: Depth=1
	s_and_saveexec_b64 s[0:1], vcc
	s_cbranch_execz .LBB47_41
; %bb.43:                               ;   in Loop: Header=BB47_42 Depth=1
	s_min_u32 s3, s20, 8
	v_lshrrev_b32_sdwa v4, s2, v1 dst_sel:DWORD dst_unused:UNUSED_PAD src0_sel:DWORD src1_sel:BYTE_0
	v_bfe_u32 v4, v4, 0, s3
	v_lshl_add_u32 v4, v4, 4, v2
	ds_add_u32 v4, v3
	s_branch .LBB47_41
.LBB47_44:
	s_and_b64 vcc, exec, s[12:13]
	s_waitcnt lgkmcnt(0)
	s_barrier
	s_cbranch_vccz .LBB47_49
; %bb.45:
	s_movk_i32 s0, 0x100
	v_cmp_gt_u32_e32 vcc, s0, v0
	s_waitcnt vmcnt(0)
	v_lshlrev_b32_e32 v1, 4, v0
	v_mov_b32_e32 v3, 0
	v_mov_b32_e32 v2, v0
	s_mov_b32 s4, s16
	s_branch .LBB47_47
.LBB47_46:                              ;   in Loop: Header=BB47_47 Depth=1
	s_or_b64 exec, exec, s[2:3]
	s_add_i32 s4, s4, 8
	v_add_u32_e32 v2, 0x100, v2
	s_cmp_lt_u32 s4, s17
	v_add_u32_e32 v1, 0x1000, v1
	s_cbranch_scc0 .LBB47_49
.LBB47_47:                              ; =>This Inner Loop Header: Depth=1
	s_and_saveexec_b64 s[2:3], vcc
	s_cbranch_execz .LBB47_46
; %bb.48:                               ;   in Loop: Header=BB47_47 Depth=1
	ds_read2_b32 v[4:5], v1 offset1:1
	ds_read2_b32 v[6:7], v1 offset0:2 offset1:3
	v_lshlrev_b64 v[8:9], 3, v[2:3]
	v_mov_b32_e32 v10, s11
	s_waitcnt lgkmcnt(1)
	v_add_u32_e32 v4, v5, v4
	s_waitcnt lgkmcnt(0)
	v_add3_u32 v4, v4, v6, v7
	v_add_co_u32_e64 v6, s[0:1], s10, v8
	v_addc_co_u32_e64 v7, s[0:1], v10, v9, s[0:1]
	v_mov_b32_e32 v5, v3
	global_atomic_add_x2 v[6:7], v[4:5], off
	s_branch .LBB47_46
.LBB47_49:
	s_mov_b64 s[0:1], 0
.LBB47_50:
	s_and_b64 vcc, exec, s[0:1]
	s_cbranch_vccz .LBB47_86
; %bb.51:
	global_load_ubyte v4, v0, s[18:19]
	global_load_ubyte v5, v0, s[18:19] offset:512
	global_load_ubyte v6, v0, s[18:19] offset:1024
	;; [unrolled: 1-line block ×5, first 2 shown]
	s_cmp_eq_u32 s16, 0
	s_cselect_b64 s[0:1], -1, 0
	s_cmp_eq_u32 s17, 8
	s_cselect_b64 s[2:3], -1, 0
	s_and_b64 s[2:3], s[0:1], s[2:3]
	s_mov_b32 s6, 0
	v_mov_b32_e32 v2, 0
	s_mov_b64 s[0:1], -1
	s_and_b64 vcc, exec, s[2:3]
	s_waitcnt vmcnt(6)
	v_lshlrev_b32_e32 v1, 2, v0
	s_cbranch_vccnz .LBB47_77
; %bb.52:
	v_lshlrev_b32_e32 v3, 2, v0
	s_mov_b64 s[0:1], 0
	s_branch .LBB47_54
.LBB47_53:                              ;   in Loop: Header=BB47_54 Depth=1
	s_or_b64 exec, exec, s[4:5]
	s_add_i32 s6, s6, 2
	v_cmp_eq_u32_e64 s[2:3], 2, s6
	s_or_b64 s[0:1], s[2:3], s[0:1]
	v_add_u32_e32 v3, 0x1000, v3
	s_andn2_b64 exec, exec, s[0:1]
	s_cbranch_execz .LBB47_58
.LBB47_54:                              ; =>This Inner Loop Header: Depth=1
	s_or_b32 s2, s6, 1
	v_cmp_le_u32_e64 s[2:3], s2, 1
	v_cmp_le_u32_e64 s[8:9], s6, 1
	s_and_saveexec_b64 s[4:5], s[8:9]
	s_cbranch_execz .LBB47_56
; %bb.55:                               ;   in Loop: Header=BB47_54 Depth=1
	ds_write_b32 v3, v2
.LBB47_56:                              ;   in Loop: Header=BB47_54 Depth=1
	s_or_b64 exec, exec, s[4:5]
	s_and_saveexec_b64 s[4:5], s[2:3]
	s_cbranch_execz .LBB47_53
; %bb.57:                               ;   in Loop: Header=BB47_54 Depth=1
	ds_write_b32 v3, v2 offset:2048
	s_branch .LBB47_53
.LBB47_58:
	s_or_b64 exec, exec, s[0:1]
	s_cmp_gt_u32 s17, s16
	s_cselect_b64 s[0:1], -1, 0
	s_cmp_le_u32 s17, s16
	s_waitcnt lgkmcnt(0)
	s_barrier
	s_cbranch_scc1 .LBB47_71
; %bb.59:
	v_and_b32_e32 v2, 3, v0
	v_lshlrev_b32_e32 v2, 2, v2
	s_sub_i32 s2, s17, s16
	s_waitcnt vmcnt(5)
	v_xor_b32_e32 v3, 0x80, v4
	v_mov_b32_e32 v10, 1
	s_mov_b32 s3, s2
	v_mov_b32_e32 v11, v2
	s_mov_b32 s4, s16
.LBB47_60:                              ; =>This Inner Loop Header: Depth=1
	s_min_u32 s5, s3, 8
	v_lshrrev_b32_sdwa v12, s4, v3 dst_sel:DWORD dst_unused:UNUSED_PAD src0_sel:DWORD src1_sel:BYTE_0
	v_bfe_u32 v12, v12, 0, s5
	v_lshl_add_u32 v12, v12, 4, v11
	ds_add_u32 v12, v10
	s_add_i32 s4, s4, 8
	s_add_i32 s3, s3, -8
	s_cmp_ge_u32 s4, s17
	v_add_u32_e32 v11, 0x1000, v11
	s_cbranch_scc0 .LBB47_60
; %bb.61:
	s_waitcnt vmcnt(4)
	v_xor_b32_e32 v3, 0x80, v5
	v_mov_b32_e32 v10, 1
	s_mov_b32 s3, s2
	v_mov_b32_e32 v11, v2
	s_mov_b32 s4, s16
.LBB47_62:                              ; =>This Inner Loop Header: Depth=1
	s_min_u32 s5, s3, 8
	v_lshrrev_b32_sdwa v12, s4, v3 dst_sel:DWORD dst_unused:UNUSED_PAD src0_sel:DWORD src1_sel:BYTE_0
	v_bfe_u32 v12, v12, 0, s5
	v_lshl_add_u32 v12, v12, 4, v11
	ds_add_u32 v12, v10
	s_add_i32 s4, s4, 8
	s_add_i32 s3, s3, -8
	s_cmp_lt_u32 s4, s17
	v_add_u32_e32 v11, 0x1000, v11
	s_cbranch_scc1 .LBB47_62
; %bb.63:
	s_waitcnt vmcnt(3)
	v_xor_b32_e32 v3, 0x80, v6
	v_mov_b32_e32 v10, 1
	s_mov_b32 s3, s2
	v_mov_b32_e32 v11, v2
	s_mov_b32 s4, s16
.LBB47_64:                              ; =>This Inner Loop Header: Depth=1
	s_min_u32 s5, s3, 8
	v_lshrrev_b32_sdwa v12, s4, v3 dst_sel:DWORD dst_unused:UNUSED_PAD src0_sel:DWORD src1_sel:BYTE_0
	v_bfe_u32 v12, v12, 0, s5
	v_lshl_add_u32 v12, v12, 4, v11
	ds_add_u32 v12, v10
	s_add_i32 s4, s4, 8
	s_add_i32 s3, s3, -8
	s_cmp_lt_u32 s4, s17
	v_add_u32_e32 v11, 0x1000, v11
	s_cbranch_scc1 .LBB47_64
	;; [unrolled: 18-line block ×4, first 2 shown]
; %bb.69:
	s_waitcnt vmcnt(0)
	v_xor_b32_e32 v3, 0x80, v9
	v_mov_b32_e32 v10, 1
	s_mov_b32 s3, s16
.LBB47_70:                              ; =>This Inner Loop Header: Depth=1
	s_min_u32 s4, s2, 8
	v_lshrrev_b32_sdwa v11, s3, v3 dst_sel:DWORD dst_unused:UNUSED_PAD src0_sel:DWORD src1_sel:BYTE_0
	v_bfe_u32 v11, v11, 0, s4
	v_lshl_add_u32 v11, v11, 4, v2
	ds_add_u32 v11, v10
	s_add_i32 s3, s3, 8
	s_add_i32 s2, s2, -8
	s_cmp_lt_u32 s3, s17
	v_add_u32_e32 v2, 0x1000, v2
	s_cbranch_scc1 .LBB47_70
.LBB47_71:
	s_and_b64 vcc, exec, s[0:1]
	s_waitcnt lgkmcnt(0)
	s_barrier
	s_cbranch_vccz .LBB47_76
; %bb.72:
	s_movk_i32 s0, 0x100
	v_cmp_gt_u32_e32 vcc, s0, v0
	v_lshlrev_b32_e32 v10, 4, v0
	v_mov_b32_e32 v3, 0
	v_mov_b32_e32 v2, v0
	s_branch .LBB47_74
.LBB47_73:                              ;   in Loop: Header=BB47_74 Depth=1
	s_or_b64 exec, exec, s[2:3]
	s_add_i32 s16, s16, 8
	v_add_u32_e32 v2, 0x100, v2
	s_cmp_ge_u32 s16, s17
	v_add_u32_e32 v10, 0x1000, v10
	s_cbranch_scc1 .LBB47_76
.LBB47_74:                              ; =>This Inner Loop Header: Depth=1
	s_and_saveexec_b64 s[2:3], vcc
	s_cbranch_execz .LBB47_73
; %bb.75:                               ;   in Loop: Header=BB47_74 Depth=1
	ds_read2_b32 v[12:13], v10 offset1:1
	ds_read2_b32 v[14:15], v10 offset0:2 offset1:3
	v_lshlrev_b64 v[16:17], 3, v[2:3]
	v_mov_b32_e32 v11, s11
	s_waitcnt lgkmcnt(1)
	v_add_u32_e32 v12, v13, v12
	s_waitcnt lgkmcnt(0)
	v_add3_u32 v12, v12, v14, v15
	v_add_co_u32_e64 v14, s[0:1], s10, v16
	v_addc_co_u32_e64 v15, s[0:1], v11, v17, s[0:1]
	v_mov_b32_e32 v13, v3
	global_atomic_add_x2 v[14:15], v[12:13], off
	s_branch .LBB47_73
.LBB47_76:
	s_mov_b64 s[0:1], 0
.LBB47_77:
	s_and_b64 vcc, exec, s[0:1]
	s_cbranch_vccz .LBB47_86
; %bb.78:
	s_mov_b32 s6, 0
	s_mov_b64 s[0:1], 0
	v_mov_b32_e32 v2, 0
	v_mov_b32_e32 v3, v1
	s_branch .LBB47_80
.LBB47_79:                              ;   in Loop: Header=BB47_80 Depth=1
	s_or_b64 exec, exec, s[4:5]
	s_add_i32 s6, s6, 2
	v_cmp_eq_u32_e64 s[2:3], 2, s6
	s_or_b64 s[0:1], s[2:3], s[0:1]
	v_add_u32_e32 v3, 0x1000, v3
	s_andn2_b64 exec, exec, s[0:1]
	s_cbranch_execz .LBB47_84
.LBB47_80:                              ; =>This Inner Loop Header: Depth=1
	s_or_b32 s2, s6, 1
	v_cmp_le_u32_e64 s[2:3], s2, 1
	v_cmp_le_u32_e64 s[8:9], s6, 1
	s_and_saveexec_b64 s[4:5], s[8:9]
	s_cbranch_execz .LBB47_82
; %bb.81:                               ;   in Loop: Header=BB47_80 Depth=1
	ds_write_b32 v3, v2
.LBB47_82:                              ;   in Loop: Header=BB47_80 Depth=1
	s_or_b64 exec, exec, s[4:5]
	s_and_saveexec_b64 s[4:5], s[2:3]
	s_cbranch_execz .LBB47_79
; %bb.83:                               ;   in Loop: Header=BB47_80 Depth=1
	ds_write_b32 v3, v2 offset:2048
	s_branch .LBB47_79
.LBB47_84:
	s_or_b64 exec, exec, s[0:1]
	s_waitcnt vmcnt(5)
	v_xor_b32_e32 v2, 0x80, v4
	s_waitcnt vmcnt(3)
	v_xor_b32_e32 v4, 0x80, v6
	s_waitcnt vmcnt(1)
	v_xor_b32_e32 v6, 0x80, v8
	v_and_b32_e32 v8, 3, v0
	v_and_b32_e32 v2, 0xff, v2
	v_lshlrev_b32_e32 v8, 2, v8
	v_xor_b32_e32 v3, 0x80, v5
	v_xor_b32_e32 v5, 0x80, v7
	s_waitcnt vmcnt(0)
	v_xor_b32_e32 v7, 0x80, v9
	v_lshl_or_b32 v2, v2, 4, v8
	v_mov_b32_e32 v9, 1
	s_waitcnt lgkmcnt(0)
	s_barrier
	ds_add_u32 v2, v9
	v_and_b32_e32 v2, 0xff, v3
	v_lshl_or_b32 v2, v2, 4, v8
	ds_add_u32 v2, v9
	v_and_b32_e32 v2, 0xff, v4
	v_lshl_or_b32 v2, v2, 4, v8
	;; [unrolled: 3-line block ×5, first 2 shown]
	ds_add_u32 v2, v9
	s_movk_i32 s0, 0x100
	v_cmp_gt_u32_e32 vcc, s0, v0
	s_waitcnt lgkmcnt(0)
	s_barrier
	s_and_saveexec_b64 s[0:1], vcc
	s_cbranch_execz .LBB47_86
; %bb.85:
	v_lshlrev_b32_e32 v1, 2, v1
	ds_read2_b32 v[2:3], v1 offset1:1
	ds_read2_b32 v[4:5], v1 offset0:2 offset1:3
	v_lshlrev_b32_e32 v6, 3, v0
	v_mov_b32_e32 v1, 0
	s_waitcnt lgkmcnt(1)
	v_add_u32_e32 v0, v3, v2
	s_waitcnt lgkmcnt(0)
	v_add3_u32 v0, v0, v4, v5
	global_atomic_add_x2 v6, v[0:1], s[10:11]
.LBB47_86:
	s_endpgm
	.section	.rodata,"a",@progbits
	.p2align	6, 0x0
	.amdhsa_kernel _ZN7rocprim17ROCPRIM_304000_NS6detail26onesweep_histograms_kernelINS1_34wrapped_radix_sort_onesweep_configINS0_14default_configEaN2at4cuda3cub6detail10OpaqueTypeILi8EEEEELb0EPKamNS0_19identity_decomposerEEEvT1_PT2_SG_SG_T3_jj
		.amdhsa_group_segment_fixed_size 4096
		.amdhsa_private_segment_fixed_size 0
		.amdhsa_kernarg_size 44
		.amdhsa_user_sgpr_count 6
		.amdhsa_user_sgpr_private_segment_buffer 1
		.amdhsa_user_sgpr_dispatch_ptr 0
		.amdhsa_user_sgpr_queue_ptr 0
		.amdhsa_user_sgpr_kernarg_segment_ptr 1
		.amdhsa_user_sgpr_dispatch_id 0
		.amdhsa_user_sgpr_flat_scratch_init 0
		.amdhsa_user_sgpr_kernarg_preload_length 0
		.amdhsa_user_sgpr_kernarg_preload_offset 0
		.amdhsa_user_sgpr_private_segment_size 0
		.amdhsa_uses_dynamic_stack 0
		.amdhsa_system_sgpr_private_segment_wavefront_offset 0
		.amdhsa_system_sgpr_workgroup_id_x 1
		.amdhsa_system_sgpr_workgroup_id_y 0
		.amdhsa_system_sgpr_workgroup_id_z 0
		.amdhsa_system_sgpr_workgroup_info 0
		.amdhsa_system_vgpr_workitem_id 0
		.amdhsa_next_free_vgpr 18
		.amdhsa_next_free_sgpr 26
		.amdhsa_accum_offset 20
		.amdhsa_reserve_vcc 1
		.amdhsa_reserve_flat_scratch 0
		.amdhsa_float_round_mode_32 0
		.amdhsa_float_round_mode_16_64 0
		.amdhsa_float_denorm_mode_32 3
		.amdhsa_float_denorm_mode_16_64 3
		.amdhsa_dx10_clamp 1
		.amdhsa_ieee_mode 1
		.amdhsa_fp16_overflow 0
		.amdhsa_tg_split 0
		.amdhsa_exception_fp_ieee_invalid_op 0
		.amdhsa_exception_fp_denorm_src 0
		.amdhsa_exception_fp_ieee_div_zero 0
		.amdhsa_exception_fp_ieee_overflow 0
		.amdhsa_exception_fp_ieee_underflow 0
		.amdhsa_exception_fp_ieee_inexact 0
		.amdhsa_exception_int_div_zero 0
	.end_amdhsa_kernel
	.section	.text._ZN7rocprim17ROCPRIM_304000_NS6detail26onesweep_histograms_kernelINS1_34wrapped_radix_sort_onesweep_configINS0_14default_configEaN2at4cuda3cub6detail10OpaqueTypeILi8EEEEELb0EPKamNS0_19identity_decomposerEEEvT1_PT2_SG_SG_T3_jj,"axG",@progbits,_ZN7rocprim17ROCPRIM_304000_NS6detail26onesweep_histograms_kernelINS1_34wrapped_radix_sort_onesweep_configINS0_14default_configEaN2at4cuda3cub6detail10OpaqueTypeILi8EEEEELb0EPKamNS0_19identity_decomposerEEEvT1_PT2_SG_SG_T3_jj,comdat
.Lfunc_end47:
	.size	_ZN7rocprim17ROCPRIM_304000_NS6detail26onesweep_histograms_kernelINS1_34wrapped_radix_sort_onesweep_configINS0_14default_configEaN2at4cuda3cub6detail10OpaqueTypeILi8EEEEELb0EPKamNS0_19identity_decomposerEEEvT1_PT2_SG_SG_T3_jj, .Lfunc_end47-_ZN7rocprim17ROCPRIM_304000_NS6detail26onesweep_histograms_kernelINS1_34wrapped_radix_sort_onesweep_configINS0_14default_configEaN2at4cuda3cub6detail10OpaqueTypeILi8EEEEELb0EPKamNS0_19identity_decomposerEEEvT1_PT2_SG_SG_T3_jj
                                        ; -- End function
	.section	.AMDGPU.csdata,"",@progbits
; Kernel info:
; codeLenInByte = 2616
; NumSgprs: 30
; NumVgprs: 18
; NumAgprs: 0
; TotalNumVgprs: 18
; ScratchSize: 0
; MemoryBound: 0
; FloatMode: 240
; IeeeMode: 1
; LDSByteSize: 4096 bytes/workgroup (compile time only)
; SGPRBlocks: 3
; VGPRBlocks: 2
; NumSGPRsForWavesPerEU: 30
; NumVGPRsForWavesPerEU: 18
; AccumOffset: 20
; Occupancy: 8
; WaveLimiterHint : 1
; COMPUTE_PGM_RSRC2:SCRATCH_EN: 0
; COMPUTE_PGM_RSRC2:USER_SGPR: 6
; COMPUTE_PGM_RSRC2:TRAP_HANDLER: 0
; COMPUTE_PGM_RSRC2:TGID_X_EN: 1
; COMPUTE_PGM_RSRC2:TGID_Y_EN: 0
; COMPUTE_PGM_RSRC2:TGID_Z_EN: 0
; COMPUTE_PGM_RSRC2:TIDIG_COMP_CNT: 0
; COMPUTE_PGM_RSRC3_GFX90A:ACCUM_OFFSET: 4
; COMPUTE_PGM_RSRC3_GFX90A:TG_SPLIT: 0
	.section	.text._ZN7rocprim17ROCPRIM_304000_NS6detail25onesweep_iteration_kernelINS1_34wrapped_radix_sort_onesweep_configINS0_14default_configEaN2at4cuda3cub6detail10OpaqueTypeILi8EEEEELb0EPKaPaPKSA_PSA_mNS0_19identity_decomposerEEEvT1_T2_T3_T4_jPT5_SO_PNS1_23onesweep_lookback_stateET6_jjj,"axG",@progbits,_ZN7rocprim17ROCPRIM_304000_NS6detail25onesweep_iteration_kernelINS1_34wrapped_radix_sort_onesweep_configINS0_14default_configEaN2at4cuda3cub6detail10OpaqueTypeILi8EEEEELb0EPKaPaPKSA_PSA_mNS0_19identity_decomposerEEEvT1_T2_T3_T4_jPT5_SO_PNS1_23onesweep_lookback_stateET6_jjj,comdat
	.protected	_ZN7rocprim17ROCPRIM_304000_NS6detail25onesweep_iteration_kernelINS1_34wrapped_radix_sort_onesweep_configINS0_14default_configEaN2at4cuda3cub6detail10OpaqueTypeILi8EEEEELb0EPKaPaPKSA_PSA_mNS0_19identity_decomposerEEEvT1_T2_T3_T4_jPT5_SO_PNS1_23onesweep_lookback_stateET6_jjj ; -- Begin function _ZN7rocprim17ROCPRIM_304000_NS6detail25onesweep_iteration_kernelINS1_34wrapped_radix_sort_onesweep_configINS0_14default_configEaN2at4cuda3cub6detail10OpaqueTypeILi8EEEEELb0EPKaPaPKSA_PSA_mNS0_19identity_decomposerEEEvT1_T2_T3_T4_jPT5_SO_PNS1_23onesweep_lookback_stateET6_jjj
	.globl	_ZN7rocprim17ROCPRIM_304000_NS6detail25onesweep_iteration_kernelINS1_34wrapped_radix_sort_onesweep_configINS0_14default_configEaN2at4cuda3cub6detail10OpaqueTypeILi8EEEEELb0EPKaPaPKSA_PSA_mNS0_19identity_decomposerEEEvT1_T2_T3_T4_jPT5_SO_PNS1_23onesweep_lookback_stateET6_jjj
	.p2align	8
	.type	_ZN7rocprim17ROCPRIM_304000_NS6detail25onesweep_iteration_kernelINS1_34wrapped_radix_sort_onesweep_configINS0_14default_configEaN2at4cuda3cub6detail10OpaqueTypeILi8EEEEELb0EPKaPaPKSA_PSA_mNS0_19identity_decomposerEEEvT1_T2_T3_T4_jPT5_SO_PNS1_23onesweep_lookback_stateET6_jjj,@function
_ZN7rocprim17ROCPRIM_304000_NS6detail25onesweep_iteration_kernelINS1_34wrapped_radix_sort_onesweep_configINS0_14default_configEaN2at4cuda3cub6detail10OpaqueTypeILi8EEEEELb0EPKaPaPKSA_PSA_mNS0_19identity_decomposerEEEvT1_T2_T3_T4_jPT5_SO_PNS1_23onesweep_lookback_stateET6_jjj: ; @_ZN7rocprim17ROCPRIM_304000_NS6detail25onesweep_iteration_kernelINS1_34wrapped_radix_sort_onesweep_configINS0_14default_configEaN2at4cuda3cub6detail10OpaqueTypeILi8EEEEELb0EPKaPaPKSA_PSA_mNS0_19identity_decomposerEEEvT1_T2_T3_T4_jPT5_SO_PNS1_23onesweep_lookback_stateET6_jjj
; %bb.0:
	s_load_dwordx4 s[48:51], s[4:5], 0x44
	s_load_dwordx8 s[36:43], s[4:5], 0x0
	s_load_dwordx4 s[44:47], s[4:5], 0x28
	s_load_dwordx2 s[34:35], s[4:5], 0x38
	s_mul_i32 s30, s6, 0xc00
	s_waitcnt lgkmcnt(0)
	s_cmp_ge_u32 s6, s50
	v_mbcnt_lo_u32_b32 v1, -1, 0
	s_cbranch_scc0 .LBB48_86
; %bb.1:
	s_load_dword s0, s[4:5], 0x20
	s_mul_i32 s33, s50, 0xfffff400
	v_and_b32_e32 v2, 0x3ff, v0
	v_mbcnt_hi_u32_b32 v6, -1, v1
	v_and_b32_e32 v3, 0x1c0, v2
	s_waitcnt lgkmcnt(0)
	s_add_i32 s33, s33, s0
	s_add_u32 s0, s36, s30
	s_addc_u32 s1, s37, 0
	v_mov_b32_e32 v5, s1
	v_add_co_u32_e32 v7, vcc, s0, v6
	v_mul_u32_u24_e32 v4, 6, v3
	v_addc_co_u32_e32 v5, vcc, 0, v5, vcc
	v_add_co_u32_e32 v8, vcc, v7, v4
	v_addc_co_u32_e32 v9, vcc, 0, v5, vcc
	v_or_b32_e32 v7, v6, v4
	s_mov_b32 s31, 0
	v_cmp_gt_u32_e32 vcc, s33, v7
	v_mov_b32_e32 v5, 0x7f
	v_mov_b32_e32 v12, 0x7f
	;; [unrolled: 1-line block ×6, first 2 shown]
	s_and_saveexec_b64 s[0:1], vcc
	s_cbranch_execz .LBB48_3
; %bb.2:
	global_load_ubyte v5, v[8:9], off
	v_mov_b32_e32 v14, 0x7f
	v_mov_b32_e32 v21, 0x7f
	;; [unrolled: 1-line block ×5, first 2 shown]
.LBB48_3:
	s_or_b64 exec, exec, s[0:1]
	v_add_u32_e32 v10, 64, v7
	v_cmp_gt_u32_e64 s[0:1], s33, v10
	s_and_saveexec_b64 s[2:3], s[0:1]
	s_cbranch_execz .LBB48_5
; %bb.4:
	global_load_ubyte v14, v[8:9], off offset:64
.LBB48_5:
	s_or_b64 exec, exec, s[2:3]
	v_add_u32_e32 v10, 0x80, v7
	v_cmp_gt_u32_e64 s[2:3], s33, v10
	s_and_saveexec_b64 s[8:9], s[2:3]
	s_cbranch_execz .LBB48_7
; %bb.6:
	global_load_ubyte v21, v[8:9], off offset:128
.LBB48_7:
	;; [unrolled: 8-line block ×5, first 2 shown]
	s_or_b64 exec, exec, s[12:13]
	s_load_dword s12, s[4:5], 0x5c
	s_load_dword s7, s[4:5], 0x50
	s_add_u32 s13, s4, 0x50
	s_addc_u32 s14, s5, 0
	v_mov_b32_e32 v8, 0
	s_waitcnt lgkmcnt(0)
	s_lshr_b32 s15, s12, 16
	s_cmp_lt_u32 s6, s7
	s_cselect_b32 s12, 12, 18
	s_add_u32 s12, s13, s12
	s_addc_u32 s13, s14, 0
	global_load_ushort v10, v8, s[12:13]
	s_waitcnt vmcnt(1)
	v_xor_b32_e32 v5, 0xffffff80, v5
	s_lshl_b32 s12, -1, s49
	v_lshrrev_b32_sdwa v13, s48, v5 dst_sel:DWORD dst_unused:UNUSED_PAD src0_sel:DWORD src1_sel:BYTE_0
	s_not_b32 s52, s12
	v_and_b32_e32 v13, s52, v13
	v_and_b32_e32 v17, 1, v13
	v_bfe_u32 v9, v0, 10, 10
	v_bfe_u32 v11, v0, 20, 10
	v_add_co_u32_e64 v18, s[12:13], -1, v17
	v_mad_u32_u24 v11, v11, s15, v9
	v_lshlrev_b32_e32 v9, 30, v13
	v_addc_co_u32_e64 v19, s[12:13], 0, -1, s[12:13]
	v_cmp_ne_u32_e64 s[12:13], 0, v17
	v_cmp_gt_i64_e64 s[14:15], 0, v[8:9]
	v_not_b32_e32 v17, v9
	v_lshlrev_b32_e32 v9, 29, v13
	v_xor_b32_e32 v19, s13, v19
	v_xor_b32_e32 v18, s12, v18
	v_ashrrev_i32_e32 v17, 31, v17
	v_cmp_gt_i64_e64 s[12:13], 0, v[8:9]
	v_not_b32_e32 v22, v9
	v_lshlrev_b32_e32 v9, 28, v13
	v_and_b32_e32 v19, exec_hi, v19
	v_and_b32_e32 v18, exec_lo, v18
	v_xor_b32_e32 v23, s15, v17
	v_xor_b32_e32 v17, s14, v17
	v_ashrrev_i32_e32 v22, 31, v22
	v_cmp_gt_i64_e64 s[14:15], 0, v[8:9]
	v_not_b32_e32 v24, v9
	v_lshlrev_b32_e32 v9, 27, v13
	v_and_b32_e32 v19, v19, v23
	v_and_b32_e32 v17, v18, v17
	v_xor_b32_e32 v18, s13, v22
	v_xor_b32_e32 v22, s12, v22
	v_ashrrev_i32_e32 v23, 31, v24
	v_cmp_gt_i64_e64 s[12:13], 0, v[8:9]
	v_not_b32_e32 v24, v9
	v_lshlrev_b32_e32 v9, 26, v13
	v_and_b32_e32 v18, v19, v18
	v_and_b32_e32 v17, v17, v22
	;; [unrolled: 8-line block ×3, first 2 shown]
	v_xor_b32_e32 v19, s13, v23
	v_xor_b32_e32 v22, s12, v23
	v_ashrrev_i32_e32 v23, 31, v24
	v_cmp_gt_i64_e64 s[12:13], 0, v[8:9]
	v_not_b32_e32 v24, v9
	v_lshlrev_b32_e32 v9, 24, v13
	v_mul_u32_u24_e32 v15, 9, v13
	v_and_b32_e32 v13, v18, v19
	v_and_b32_e32 v17, v17, v22
	v_xor_b32_e32 v18, s15, v23
	v_xor_b32_e32 v19, s14, v23
	v_ashrrev_i32_e32 v22, 31, v24
	v_cmp_gt_i64_e64 s[14:15], 0, v[8:9]
	v_not_b32_e32 v9, v9
	v_and_b32_e32 v13, v13, v18
	v_and_b32_e32 v17, v17, v19
	v_xor_b32_e32 v18, s13, v22
	v_xor_b32_e32 v19, s12, v22
	v_ashrrev_i32_e32 v9, 31, v9
	v_and_b32_e32 v13, v13, v18
	v_and_b32_e32 v18, v17, v19
	v_mul_u32_u24_e32 v7, 5, v2
	v_lshlrev_b32_e32 v7, 2, v7
	ds_write2_b32 v7, v8, v8 offset0:8 offset1:9
	ds_write2_b32 v7, v8, v8 offset0:10 offset1:11
	ds_write_b32 v7, v8 offset:48
	s_waitcnt lgkmcnt(0)
	s_barrier
	s_waitcnt lgkmcnt(0)
	; wave barrier
	s_waitcnt vmcnt(0)
	v_mad_u64_u32 v[10:11], s[12:13], v11, v10, v[2:3]
	v_lshrrev_b32_e32 v27, 6, v10
	v_xor_b32_e32 v10, s15, v9
	v_xor_b32_e32 v9, s14, v9
	v_and_b32_e32 v11, v13, v10
	v_and_b32_e32 v10, v18, v9
	v_mbcnt_lo_u32_b32 v9, v10, 0
	v_mbcnt_hi_u32_b32 v13, v11, v9
	v_cmp_eq_u32_e64 s[12:13], 0, v13
	v_cmp_ne_u64_e64 s[14:15], 0, v[10:11]
	v_add_lshl_u32 v17, v27, v15, 2
	s_and_b64 s[14:15], s[14:15], s[12:13]
	s_and_saveexec_b64 s[12:13], s[14:15]
	s_cbranch_execz .LBB48_15
; %bb.14:
	v_bcnt_u32_b32 v9, v10, 0
	v_bcnt_u32_b32 v9, v11, v9
	ds_write_b32 v17, v9 offset:32
.LBB48_15:
	s_or_b64 exec, exec, s[12:13]
	v_xor_b32_e32 v14, 0xffffff80, v14
	v_lshrrev_b32_sdwa v9, s48, v14 dst_sel:DWORD dst_unused:UNUSED_PAD src0_sel:DWORD src1_sel:BYTE_0
	v_and_b32_e32 v10, s52, v9
	v_mul_u32_u24_e32 v9, 9, v10
	v_add_lshl_u32 v18, v27, v9, 2
	v_and_b32_e32 v9, 1, v10
	v_add_co_u32_e64 v11, s[12:13], -1, v9
	v_addc_co_u32_e64 v19, s[12:13], 0, -1, s[12:13]
	v_cmp_ne_u32_e64 s[12:13], 0, v9
	v_xor_b32_e32 v9, s13, v19
	v_and_b32_e32 v19, exec_hi, v9
	v_lshlrev_b32_e32 v9, 30, v10
	v_xor_b32_e32 v11, s12, v11
	v_cmp_gt_i64_e64 s[12:13], 0, v[8:9]
	v_not_b32_e32 v9, v9
	v_ashrrev_i32_e32 v9, 31, v9
	v_and_b32_e32 v11, exec_lo, v11
	v_xor_b32_e32 v22, s13, v9
	v_xor_b32_e32 v9, s12, v9
	v_and_b32_e32 v11, v11, v9
	v_lshlrev_b32_e32 v9, 29, v10
	v_cmp_gt_i64_e64 s[12:13], 0, v[8:9]
	v_not_b32_e32 v9, v9
	v_ashrrev_i32_e32 v9, 31, v9
	v_and_b32_e32 v19, v19, v22
	v_xor_b32_e32 v22, s13, v9
	v_xor_b32_e32 v9, s12, v9
	v_and_b32_e32 v11, v11, v9
	v_lshlrev_b32_e32 v9, 28, v10
	v_cmp_gt_i64_e64 s[12:13], 0, v[8:9]
	v_not_b32_e32 v9, v9
	v_ashrrev_i32_e32 v9, 31, v9
	v_and_b32_e32 v19, v19, v22
	;; [unrolled: 8-line block ×5, first 2 shown]
	v_xor_b32_e32 v22, s13, v9
	v_xor_b32_e32 v9, s12, v9
	v_and_b32_e32 v11, v11, v9
	v_lshlrev_b32_e32 v9, 24, v10
	v_cmp_gt_i64_e64 s[12:13], 0, v[8:9]
	v_not_b32_e32 v8, v9
	v_ashrrev_i32_e32 v8, 31, v8
	v_xor_b32_e32 v9, s13, v8
	v_xor_b32_e32 v8, s12, v8
	; wave barrier
	ds_read_b32 v15, v18 offset:32
	v_and_b32_e32 v19, v19, v22
	v_and_b32_e32 v8, v11, v8
	;; [unrolled: 1-line block ×3, first 2 shown]
	v_mbcnt_lo_u32_b32 v10, v8, 0
	v_mbcnt_hi_u32_b32 v19, v9, v10
	v_cmp_eq_u32_e64 s[12:13], 0, v19
	v_cmp_ne_u64_e64 s[14:15], 0, v[8:9]
	s_and_b64 s[14:15], s[14:15], s[12:13]
	; wave barrier
	s_and_saveexec_b64 s[12:13], s[14:15]
	s_cbranch_execz .LBB48_17
; %bb.16:
	v_bcnt_u32_b32 v8, v8, 0
	v_bcnt_u32_b32 v8, v9, v8
	s_waitcnt lgkmcnt(0)
	v_add_u32_e32 v8, v15, v8
	ds_write_b32 v18, v8 offset:32
.LBB48_17:
	s_or_b64 exec, exec, s[12:13]
	v_xor_b32_e32 v21, 0xffffff80, v21
	v_lshrrev_b32_sdwa v8, s48, v21 dst_sel:DWORD dst_unused:UNUSED_PAD src0_sel:DWORD src1_sel:BYTE_0
	v_and_b32_e32 v10, s52, v8
	v_and_b32_e32 v9, 1, v10
	v_add_co_u32_e64 v11, s[12:13], -1, v9
	v_addc_co_u32_e64 v24, s[12:13], 0, -1, s[12:13]
	v_cmp_ne_u32_e64 s[12:13], 0, v9
	v_mul_u32_u24_e32 v8, 9, v10
	v_xor_b32_e32 v9, s13, v24
	v_add_lshl_u32 v23, v27, v8, 2
	v_mov_b32_e32 v8, 0
	v_and_b32_e32 v24, exec_hi, v9
	v_lshlrev_b32_e32 v9, 30, v10
	v_xor_b32_e32 v11, s12, v11
	v_cmp_gt_i64_e64 s[12:13], 0, v[8:9]
	v_not_b32_e32 v9, v9
	v_ashrrev_i32_e32 v9, 31, v9
	v_and_b32_e32 v11, exec_lo, v11
	v_xor_b32_e32 v25, s13, v9
	v_xor_b32_e32 v9, s12, v9
	v_and_b32_e32 v11, v11, v9
	v_lshlrev_b32_e32 v9, 29, v10
	v_cmp_gt_i64_e64 s[12:13], 0, v[8:9]
	v_not_b32_e32 v9, v9
	v_ashrrev_i32_e32 v9, 31, v9
	v_and_b32_e32 v24, v24, v25
	v_xor_b32_e32 v25, s13, v9
	v_xor_b32_e32 v9, s12, v9
	v_and_b32_e32 v11, v11, v9
	v_lshlrev_b32_e32 v9, 28, v10
	v_cmp_gt_i64_e64 s[12:13], 0, v[8:9]
	v_not_b32_e32 v9, v9
	v_ashrrev_i32_e32 v9, 31, v9
	v_and_b32_e32 v24, v24, v25
	;; [unrolled: 8-line block ×5, first 2 shown]
	v_xor_b32_e32 v25, s13, v9
	v_xor_b32_e32 v9, s12, v9
	v_and_b32_e32 v24, v24, v25
	v_and_b32_e32 v25, v11, v9
	v_lshlrev_b32_e32 v9, 24, v10
	v_cmp_gt_i64_e64 s[12:13], 0, v[8:9]
	v_not_b32_e32 v9, v9
	v_ashrrev_i32_e32 v9, 31, v9
	v_xor_b32_e32 v10, s13, v9
	v_xor_b32_e32 v9, s12, v9
	; wave barrier
	ds_read_b32 v22, v23 offset:32
	v_and_b32_e32 v11, v24, v10
	v_and_b32_e32 v10, v25, v9
	v_mbcnt_lo_u32_b32 v9, v10, 0
	v_mbcnt_hi_u32_b32 v24, v11, v9
	v_cmp_eq_u32_e64 s[12:13], 0, v24
	v_cmp_ne_u64_e64 s[14:15], 0, v[10:11]
	s_and_b64 s[14:15], s[14:15], s[12:13]
	; wave barrier
	s_and_saveexec_b64 s[12:13], s[14:15]
	s_cbranch_execz .LBB48_19
; %bb.18:
	v_bcnt_u32_b32 v9, v10, 0
	v_bcnt_u32_b32 v9, v11, v9
	s_waitcnt lgkmcnt(0)
	v_add_u32_e32 v9, v22, v9
	ds_write_b32 v23, v9 offset:32
.LBB48_19:
	s_or_b64 exec, exec, s[12:13]
	v_xor_b32_e32 v25, 0xffffff80, v20
	v_lshrrev_b32_sdwa v9, s48, v25 dst_sel:DWORD dst_unused:UNUSED_PAD src0_sel:DWORD src1_sel:BYTE_0
	v_and_b32_e32 v10, s52, v9
	v_mul_u32_u24_e32 v9, 9, v10
	v_add_lshl_u32 v20, v27, v9, 2
	v_and_b32_e32 v9, 1, v10
	v_add_co_u32_e64 v11, s[12:13], -1, v9
	v_addc_co_u32_e64 v28, s[12:13], 0, -1, s[12:13]
	v_cmp_ne_u32_e64 s[12:13], 0, v9
	v_xor_b32_e32 v9, s13, v28
	v_and_b32_e32 v28, exec_hi, v9
	v_lshlrev_b32_e32 v9, 30, v10
	v_xor_b32_e32 v11, s12, v11
	v_cmp_gt_i64_e64 s[12:13], 0, v[8:9]
	v_not_b32_e32 v9, v9
	v_ashrrev_i32_e32 v9, 31, v9
	v_and_b32_e32 v11, exec_lo, v11
	v_xor_b32_e32 v29, s13, v9
	v_xor_b32_e32 v9, s12, v9
	v_and_b32_e32 v11, v11, v9
	v_lshlrev_b32_e32 v9, 29, v10
	v_cmp_gt_i64_e64 s[12:13], 0, v[8:9]
	v_not_b32_e32 v9, v9
	v_ashrrev_i32_e32 v9, 31, v9
	v_and_b32_e32 v28, v28, v29
	v_xor_b32_e32 v29, s13, v9
	v_xor_b32_e32 v9, s12, v9
	v_and_b32_e32 v11, v11, v9
	v_lshlrev_b32_e32 v9, 28, v10
	v_cmp_gt_i64_e64 s[12:13], 0, v[8:9]
	v_not_b32_e32 v9, v9
	v_ashrrev_i32_e32 v9, 31, v9
	v_and_b32_e32 v28, v28, v29
	;; [unrolled: 8-line block ×5, first 2 shown]
	v_xor_b32_e32 v29, s13, v9
	v_xor_b32_e32 v9, s12, v9
	v_and_b32_e32 v11, v11, v9
	v_lshlrev_b32_e32 v9, 24, v10
	v_cmp_gt_i64_e64 s[12:13], 0, v[8:9]
	v_not_b32_e32 v8, v9
	v_ashrrev_i32_e32 v8, 31, v8
	v_xor_b32_e32 v9, s13, v8
	v_xor_b32_e32 v8, s12, v8
	; wave barrier
	ds_read_b32 v26, v20 offset:32
	v_and_b32_e32 v28, v28, v29
	v_and_b32_e32 v8, v11, v8
	;; [unrolled: 1-line block ×3, first 2 shown]
	v_mbcnt_lo_u32_b32 v10, v8, 0
	v_mbcnt_hi_u32_b32 v29, v9, v10
	v_cmp_eq_u32_e64 s[12:13], 0, v29
	v_cmp_ne_u64_e64 s[14:15], 0, v[8:9]
	s_and_b64 s[14:15], s[14:15], s[12:13]
	; wave barrier
	s_and_saveexec_b64 s[12:13], s[14:15]
	s_cbranch_execz .LBB48_21
; %bb.20:
	v_bcnt_u32_b32 v8, v8, 0
	v_bcnt_u32_b32 v8, v9, v8
	s_waitcnt lgkmcnt(0)
	v_add_u32_e32 v8, v26, v8
	ds_write_b32 v20, v8 offset:32
.LBB48_21:
	s_or_b64 exec, exec, s[12:13]
	v_xor_b32_e32 v16, 0xffffff80, v16
	v_lshrrev_b32_sdwa v8, s48, v16 dst_sel:DWORD dst_unused:UNUSED_PAD src0_sel:DWORD src1_sel:BYTE_0
	v_and_b32_e32 v10, s52, v8
	v_and_b32_e32 v9, 1, v10
	v_add_co_u32_e64 v11, s[12:13], -1, v9
	v_addc_co_u32_e64 v31, s[12:13], 0, -1, s[12:13]
	v_cmp_ne_u32_e64 s[12:13], 0, v9
	v_mul_u32_u24_e32 v8, 9, v10
	v_xor_b32_e32 v9, s13, v31
	v_add_lshl_u32 v28, v27, v8, 2
	v_mov_b32_e32 v8, 0
	v_and_b32_e32 v31, exec_hi, v9
	v_lshlrev_b32_e32 v9, 30, v10
	v_xor_b32_e32 v11, s12, v11
	v_cmp_gt_i64_e64 s[12:13], 0, v[8:9]
	v_not_b32_e32 v9, v9
	v_ashrrev_i32_e32 v9, 31, v9
	v_and_b32_e32 v11, exec_lo, v11
	v_xor_b32_e32 v32, s13, v9
	v_xor_b32_e32 v9, s12, v9
	v_and_b32_e32 v11, v11, v9
	v_lshlrev_b32_e32 v9, 29, v10
	v_cmp_gt_i64_e64 s[12:13], 0, v[8:9]
	v_not_b32_e32 v9, v9
	v_ashrrev_i32_e32 v9, 31, v9
	v_and_b32_e32 v31, v31, v32
	v_xor_b32_e32 v32, s13, v9
	v_xor_b32_e32 v9, s12, v9
	v_and_b32_e32 v11, v11, v9
	v_lshlrev_b32_e32 v9, 28, v10
	v_cmp_gt_i64_e64 s[12:13], 0, v[8:9]
	v_not_b32_e32 v9, v9
	v_ashrrev_i32_e32 v9, 31, v9
	v_and_b32_e32 v31, v31, v32
	;; [unrolled: 8-line block ×5, first 2 shown]
	v_xor_b32_e32 v32, s13, v9
	v_xor_b32_e32 v9, s12, v9
	v_and_b32_e32 v31, v31, v32
	v_and_b32_e32 v32, v11, v9
	v_lshlrev_b32_e32 v9, 24, v10
	v_cmp_gt_i64_e64 s[12:13], 0, v[8:9]
	v_not_b32_e32 v9, v9
	v_ashrrev_i32_e32 v9, 31, v9
	v_xor_b32_e32 v10, s13, v9
	v_xor_b32_e32 v9, s12, v9
	; wave barrier
	ds_read_b32 v30, v28 offset:32
	v_and_b32_e32 v11, v31, v10
	v_and_b32_e32 v10, v32, v9
	v_mbcnt_lo_u32_b32 v9, v10, 0
	v_mbcnt_hi_u32_b32 v31, v11, v9
	v_cmp_eq_u32_e64 s[12:13], 0, v31
	v_cmp_ne_u64_e64 s[14:15], 0, v[10:11]
	s_and_b64 s[14:15], s[14:15], s[12:13]
	; wave barrier
	s_and_saveexec_b64 s[12:13], s[14:15]
	s_cbranch_execz .LBB48_23
; %bb.22:
	v_bcnt_u32_b32 v9, v10, 0
	v_bcnt_u32_b32 v9, v11, v9
	s_waitcnt lgkmcnt(0)
	v_add_u32_e32 v9, v30, v9
	ds_write_b32 v28, v9 offset:32
.LBB48_23:
	s_or_b64 exec, exec, s[12:13]
	v_xor_b32_e32 v12, 0xffffff80, v12
	v_lshrrev_b32_sdwa v9, s48, v12 dst_sel:DWORD dst_unused:UNUSED_PAD src0_sel:DWORD src1_sel:BYTE_0
	v_and_b32_e32 v10, s52, v9
	v_mul_u32_u24_e32 v9, 9, v10
	v_add_lshl_u32 v27, v27, v9, 2
	v_and_b32_e32 v9, 1, v10
	v_add_co_u32_e64 v11, s[12:13], -1, v9
	v_addc_co_u32_e64 v34, s[12:13], 0, -1, s[12:13]
	v_cmp_ne_u32_e64 s[12:13], 0, v9
	v_xor_b32_e32 v9, s13, v34
	v_and_b32_e32 v34, exec_hi, v9
	v_lshlrev_b32_e32 v9, 30, v10
	v_xor_b32_e32 v11, s12, v11
	v_cmp_gt_i64_e64 s[12:13], 0, v[8:9]
	v_not_b32_e32 v9, v9
	v_ashrrev_i32_e32 v9, 31, v9
	v_and_b32_e32 v11, exec_lo, v11
	v_xor_b32_e32 v35, s13, v9
	v_xor_b32_e32 v9, s12, v9
	v_and_b32_e32 v11, v11, v9
	v_lshlrev_b32_e32 v9, 29, v10
	v_cmp_gt_i64_e64 s[12:13], 0, v[8:9]
	v_not_b32_e32 v9, v9
	v_ashrrev_i32_e32 v9, 31, v9
	v_and_b32_e32 v34, v34, v35
	v_xor_b32_e32 v35, s13, v9
	v_xor_b32_e32 v9, s12, v9
	v_and_b32_e32 v11, v11, v9
	v_lshlrev_b32_e32 v9, 28, v10
	v_cmp_gt_i64_e64 s[12:13], 0, v[8:9]
	v_not_b32_e32 v9, v9
	v_ashrrev_i32_e32 v9, 31, v9
	v_and_b32_e32 v34, v34, v35
	;; [unrolled: 8-line block ×5, first 2 shown]
	v_xor_b32_e32 v35, s13, v9
	v_xor_b32_e32 v9, s12, v9
	v_and_b32_e32 v11, v11, v9
	v_lshlrev_b32_e32 v9, 24, v10
	v_cmp_gt_i64_e64 s[12:13], 0, v[8:9]
	v_not_b32_e32 v8, v9
	v_ashrrev_i32_e32 v8, 31, v8
	v_xor_b32_e32 v9, s13, v8
	v_xor_b32_e32 v8, s12, v8
	; wave barrier
	ds_read_b32 v32, v27 offset:32
	v_and_b32_e32 v34, v34, v35
	v_and_b32_e32 v8, v11, v8
	;; [unrolled: 1-line block ×3, first 2 shown]
	v_mbcnt_lo_u32_b32 v10, v8, 0
	v_mbcnt_hi_u32_b32 v34, v9, v10
	v_cmp_eq_u32_e64 s[12:13], 0, v34
	v_cmp_ne_u64_e64 s[14:15], 0, v[8:9]
	v_add_u32_e32 v33, 32, v7
	s_and_b64 s[14:15], s[14:15], s[12:13]
	; wave barrier
	s_and_saveexec_b64 s[12:13], s[14:15]
	s_cbranch_execz .LBB48_25
; %bb.24:
	v_bcnt_u32_b32 v8, v8, 0
	v_bcnt_u32_b32 v8, v9, v8
	s_waitcnt lgkmcnt(0)
	v_add_u32_e32 v8, v32, v8
	ds_write_b32 v27, v8 offset:32
.LBB48_25:
	s_or_b64 exec, exec, s[12:13]
	; wave barrier
	s_waitcnt lgkmcnt(0)
	s_barrier
	ds_read2_b32 v[10:11], v7 offset0:8 offset1:9
	ds_read2_b32 v[8:9], v33 offset0:2 offset1:3
	ds_read_b32 v35, v33 offset:16
	v_min_u32_e32 v3, 0x1c0, v3
	v_or_b32_e32 v3, 63, v3
	s_waitcnt lgkmcnt(1)
	v_add3_u32 v36, v11, v10, v8
	s_waitcnt lgkmcnt(0)
	v_add3_u32 v35, v36, v9, v35
	v_and_b32_e32 v36, 15, v6
	v_cmp_ne_u32_e64 s[12:13], 0, v36
	v_mov_b32_dpp v37, v35 row_shr:1 row_mask:0xf bank_mask:0xf
	v_cndmask_b32_e64 v37, 0, v37, s[12:13]
	v_add_u32_e32 v35, v37, v35
	v_cmp_lt_u32_e64 s[12:13], 1, v36
	s_nop 0
	v_mov_b32_dpp v37, v35 row_shr:2 row_mask:0xf bank_mask:0xf
	v_cndmask_b32_e64 v37, 0, v37, s[12:13]
	v_add_u32_e32 v35, v35, v37
	v_cmp_lt_u32_e64 s[12:13], 3, v36
	s_nop 0
	;; [unrolled: 5-line block ×3, first 2 shown]
	v_mov_b32_dpp v37, v35 row_shr:8 row_mask:0xf bank_mask:0xf
	v_cndmask_b32_e64 v36, 0, v37, s[12:13]
	v_add_u32_e32 v35, v35, v36
	v_bfe_i32 v37, v6, 4, 1
	v_cmp_lt_u32_e64 s[12:13], 31, v6
	v_mov_b32_dpp v36, v35 row_bcast:15 row_mask:0xf bank_mask:0xf
	v_and_b32_e32 v36, v37, v36
	v_add_u32_e32 v35, v35, v36
	s_nop 1
	v_mov_b32_dpp v36, v35 row_bcast:31 row_mask:0xf bank_mask:0xf
	v_cndmask_b32_e64 v36, 0, v36, s[12:13]
	v_add_u32_e32 v35, v35, v36
	v_lshrrev_b32_e32 v36, 6, v2
	v_cmp_eq_u32_e64 s[12:13], v3, v2
	s_and_saveexec_b64 s[14:15], s[12:13]
	s_cbranch_execz .LBB48_27
; %bb.26:
	v_lshlrev_b32_e32 v3, 2, v36
	ds_write_b32 v3, v35
.LBB48_27:
	s_or_b64 exec, exec, s[14:15]
	v_cmp_gt_u32_e64 s[12:13], 8, v2
	s_waitcnt lgkmcnt(0)
	s_barrier
	s_and_saveexec_b64 s[14:15], s[12:13]
	s_cbranch_execz .LBB48_29
; %bb.28:
	v_lshlrev_b32_e32 v3, 2, v2
	ds_read_b32 v37, v3
	v_and_b32_e32 v38, 7, v6
	v_cmp_ne_u32_e64 s[12:13], 0, v38
	s_waitcnt lgkmcnt(0)
	v_mov_b32_dpp v39, v37 row_shr:1 row_mask:0xf bank_mask:0xf
	v_cndmask_b32_e64 v39, 0, v39, s[12:13]
	v_add_u32_e32 v37, v39, v37
	v_cmp_lt_u32_e64 s[12:13], 1, v38
	s_nop 0
	v_mov_b32_dpp v39, v37 row_shr:2 row_mask:0xf bank_mask:0xf
	v_cndmask_b32_e64 v39, 0, v39, s[12:13]
	v_add_u32_e32 v37, v37, v39
	v_cmp_lt_u32_e64 s[12:13], 3, v38
	s_nop 0
	v_mov_b32_dpp v39, v37 row_shr:4 row_mask:0xf bank_mask:0xf
	v_cndmask_b32_e64 v38, 0, v39, s[12:13]
	v_add_u32_e32 v37, v37, v38
	ds_write_b32 v3, v37
.LBB48_29:
	s_or_b64 exec, exec, s[14:15]
	v_cmp_lt_u32_e64 s[12:13], 63, v2
	v_mov_b32_e32 v3, 0
	s_waitcnt lgkmcnt(0)
	s_barrier
	s_and_saveexec_b64 s[14:15], s[12:13]
	s_cbranch_execz .LBB48_31
; %bb.30:
	v_lshl_add_u32 v3, v36, 2, -4
	ds_read_b32 v3, v3
.LBB48_31:
	s_or_b64 exec, exec, s[14:15]
	v_add_u32_e32 v36, -1, v6
	v_and_b32_e32 v37, 64, v6
	v_cmp_lt_i32_e64 s[12:13], v36, v37
	v_cndmask_b32_e64 v36, v36, v6, s[12:13]
	s_waitcnt lgkmcnt(0)
	v_add_u32_e32 v35, v3, v35
	v_lshlrev_b32_e32 v36, 2, v36
	ds_bpermute_b32 v35, v36, v35
	v_cmp_eq_u32_e64 s[12:13], 0, v6
	s_waitcnt lgkmcnt(0)
	v_cndmask_b32_e64 v3, v35, v3, s[12:13]
	v_cmp_ne_u32_e64 s[12:13], 0, v2
	v_cndmask_b32_e64 v3, 0, v3, s[12:13]
	v_add_u32_e32 v10, v3, v10
	v_add_u32_e32 v11, v10, v11
	;; [unrolled: 1-line block ×4, first 2 shown]
	ds_write2_b32 v7, v3, v10 offset0:8 offset1:9
	ds_write2_b32 v33, v11, v8 offset0:2 offset1:3
	ds_write_b32 v33, v9 offset:16
	s_waitcnt lgkmcnt(0)
	s_barrier
	ds_read_b32 v3, v17 offset:32
	ds_read_b32 v7, v18 offset:32
	;; [unrolled: 1-line block ×6, first 2 shown]
	s_movk_i32 s12, 0x100
	v_cmp_gt_u32_e64 s[12:13], s12, v2
	v_pk_mov_b32 v[8:9], 0, 0
                                        ; implicit-def: $vgpr20
	s_and_saveexec_b64 s[16:17], s[12:13]
	s_cbranch_execz .LBB48_35
; %bb.32:
	v_mul_u32_u24_e32 v8, 9, v2
	v_lshlrev_b32_e32 v20, 2, v8
	ds_read_b32 v8, v20 offset:32
	s_movk_i32 s14, 0xff
	v_cmp_ne_u32_e64 s[14:15], s14, v2
	v_mov_b32_e32 v9, 0xc00
	s_and_saveexec_b64 s[18:19], s[14:15]
	s_cbranch_execz .LBB48_34
; %bb.33:
	ds_read_b32 v9, v20 offset:68
.LBB48_34:
	s_or_b64 exec, exec, s[18:19]
	s_waitcnt lgkmcnt(0)
	v_sub_u32_e32 v20, v9, v8
	v_mov_b32_e32 v9, 0
.LBB48_35:
	s_or_b64 exec, exec, s[16:17]
	s_waitcnt lgkmcnt(5)
	v_add_u32_e32 v28, v3, v13
	s_waitcnt lgkmcnt(4)
	v_add3_u32 v27, v19, v15, v7
	s_waitcnt lgkmcnt(3)
	v_add3_u32 v24, v24, v22, v10
	;; [unrolled: 2-line block ×5, first 2 shown]
	s_barrier
	ds_write_b8 v28, v5 offset:2048
	ds_write_b8 v27, v14 offset:2048
	;; [unrolled: 1-line block ×6, first 2 shown]
	s_waitcnt lgkmcnt(0)
	s_barrier
	s_and_saveexec_b64 s[16:17], s[12:13]
	s_cbranch_execz .LBB48_45
; %bb.36:
	v_lshl_or_b32 v10, s6, 8, v2
	v_mov_b32_e32 v11, 0
	v_lshlrev_b64 v[12:13], 2, v[10:11]
	v_mov_b32_e32 v5, s35
	v_add_co_u32_e64 v12, s[14:15], s34, v12
	v_addc_co_u32_e64 v13, s[14:15], v5, v13, s[14:15]
	v_or_b32_e32 v7, 2.0, v20
	global_store_dword v[12:13], v7, off
	s_mov_b64 s[18:19], 0
	s_brev_b32 s24, 1
	s_mov_b32 s25, s6
	v_mov_b32_e32 v7, 0
                                        ; implicit-def: $sgpr14_sgpr15
	s_branch .LBB48_38
.LBB48_37:                              ;   in Loop: Header=BB48_38 Depth=1
	s_or_b64 exec, exec, s[20:21]
	v_and_b32_e32 v14, 0x3fffffff, v16
	v_add_u32_e32 v7, v14, v7
	v_cmp_eq_u32_e64 s[14:15], s24, v10
	s_and_b64 s[20:21], exec, s[14:15]
	s_or_b64 s[18:19], s[20:21], s[18:19]
	s_andn2_b64 exec, exec, s[18:19]
	s_cbranch_execz .LBB48_44
.LBB48_38:                              ; =>This Loop Header: Depth=1
                                        ;     Child Loop BB48_41 Depth 2
	s_or_b64 s[14:15], s[14:15], exec
	s_cmp_eq_u32 s25, 0
	s_cbranch_scc1 .LBB48_43
; %bb.39:                               ;   in Loop: Header=BB48_38 Depth=1
	s_add_i32 s25, s25, -1
	v_lshl_or_b32 v10, s25, 8, v2
	v_lshlrev_b64 v[14:15], 2, v[10:11]
	v_add_co_u32_e64 v14, s[14:15], s34, v14
	v_addc_co_u32_e64 v15, s[14:15], v5, v15, s[14:15]
	global_load_dword v16, v[14:15], off glc
	s_waitcnt vmcnt(0)
	v_and_b32_e32 v10, -2.0, v16
	v_cmp_eq_u32_e64 s[14:15], 0, v10
	s_and_saveexec_b64 s[20:21], s[14:15]
	s_cbranch_execz .LBB48_37
; %bb.40:                               ;   in Loop: Header=BB48_38 Depth=1
	s_mov_b64 s[22:23], 0
.LBB48_41:                              ;   Parent Loop BB48_38 Depth=1
                                        ; =>  This Inner Loop Header: Depth=2
	global_load_dword v16, v[14:15], off glc
	s_waitcnt vmcnt(0)
	v_and_b32_e32 v10, -2.0, v16
	v_cmp_ne_u32_e64 s[14:15], 0, v10
	s_or_b64 s[22:23], s[14:15], s[22:23]
	s_andn2_b64 exec, exec, s[22:23]
	s_cbranch_execnz .LBB48_41
; %bb.42:                               ;   in Loop: Header=BB48_38 Depth=1
	s_or_b64 exec, exec, s[22:23]
	s_branch .LBB48_37
.LBB48_43:                              ;   in Loop: Header=BB48_38 Depth=1
                                        ; implicit-def: $sgpr25
	s_and_b64 s[20:21], exec, s[14:15]
	s_or_b64 s[18:19], s[20:21], s[18:19]
	s_andn2_b64 exec, exec, s[18:19]
	s_cbranch_execnz .LBB48_38
.LBB48_44:
	s_or_b64 exec, exec, s[18:19]
	v_add_u32_e32 v5, v7, v20
	v_or_b32_e32 v5, 0x80000000, v5
	global_store_dword v[12:13], v5, off
	v_lshlrev_b32_e32 v5, 3, v2
	global_load_dwordx2 v[10:11], v5, s[44:45]
	v_sub_co_u32_e64 v7, s[14:15], v7, v8
	v_subb_co_u32_e64 v12, s[14:15], 0, v9, s[14:15]
	s_waitcnt vmcnt(0)
	v_add_co_u32_e64 v10, s[14:15], v7, v10
	v_addc_co_u32_e64 v11, s[14:15], v12, v11, s[14:15]
	ds_write_b64 v5, v[10:11]
.LBB48_45:
	s_or_b64 exec, exec, s[16:17]
	v_cmp_gt_u32_e64 s[14:15], s33, v2
	s_waitcnt lgkmcnt(0)
	s_barrier
	s_and_saveexec_b64 s[18:19], s[14:15]
	s_cbranch_execz .LBB48_47
; %bb.46:
	ds_read_u8 v5, v2 offset:2048
	s_waitcnt lgkmcnt(0)
	v_lshrrev_b32_sdwa v7, s48, v5 dst_sel:DWORD dst_unused:UNUSED_PAD src0_sel:DWORD src1_sel:BYTE_0
	v_and_b32_e32 v7, s52, v7
	v_lshlrev_b32_e32 v7, 3, v7
	ds_read_b64 v[10:11], v7
	v_mov_b32_e32 v7, s39
	v_xor_b32_e32 v5, 0x80, v5
	s_waitcnt lgkmcnt(0)
	v_add_co_u32_e64 v10, s[16:17], s38, v10
	v_addc_co_u32_e64 v7, s[16:17], v7, v11, s[16:17]
	v_add_co_u32_e64 v10, s[16:17], v10, v2
	v_addc_co_u32_e64 v11, s[16:17], 0, v7, s[16:17]
	global_store_byte v[10:11], v5, off
.LBB48_47:
	s_or_b64 exec, exec, s[18:19]
	v_add_u32_e32 v21, 0x200, v2
	v_cmp_gt_u32_e64 s[16:17], s33, v21
	s_and_saveexec_b64 s[20:21], s[16:17]
	s_cbranch_execz .LBB48_49
; %bb.48:
	ds_read_u8 v5, v2 offset:2560
	s_waitcnt lgkmcnt(0)
	v_lshrrev_b32_sdwa v7, s48, v5 dst_sel:DWORD dst_unused:UNUSED_PAD src0_sel:DWORD src1_sel:BYTE_0
	v_and_b32_e32 v7, s52, v7
	v_lshlrev_b32_e32 v7, 3, v7
	ds_read_b64 v[10:11], v7
	v_mov_b32_e32 v7, s39
	v_xor_b32_e32 v5, 0x80, v5
	s_waitcnt lgkmcnt(0)
	v_add_co_u32_e64 v10, s[18:19], s38, v10
	v_addc_co_u32_e64 v7, s[18:19], v7, v11, s[18:19]
	v_add_co_u32_e64 v10, s[18:19], v10, v2
	v_addc_co_u32_e64 v11, s[18:19], 0, v7, s[18:19]
	global_store_byte v[10:11], v5, off offset:512
.LBB48_49:
	s_or_b64 exec, exec, s[20:21]
	v_or_b32_e32 v25, 0x400, v2
	v_cmp_gt_u32_e64 s[18:19], s33, v25
	s_and_saveexec_b64 s[22:23], s[18:19]
	s_cbranch_execz .LBB48_51
; %bb.50:
	ds_read_u8 v5, v2 offset:3072
	s_waitcnt lgkmcnt(0)
	v_lshrrev_b32_sdwa v7, s48, v5 dst_sel:DWORD dst_unused:UNUSED_PAD src0_sel:DWORD src1_sel:BYTE_0
	v_and_b32_e32 v7, s52, v7
	v_lshlrev_b32_e32 v7, 3, v7
	ds_read_b64 v[10:11], v7
	v_mov_b32_e32 v7, s39
	v_xor_b32_e32 v5, 0x80, v5
	s_waitcnt lgkmcnt(0)
	v_add_co_u32_e64 v10, s[20:21], s38, v10
	v_addc_co_u32_e64 v7, s[20:21], v7, v11, s[20:21]
	v_add_co_u32_e64 v10, s[20:21], v10, v2
	v_addc_co_u32_e64 v11, s[20:21], 0, v7, s[20:21]
	global_store_byte v[10:11], v5, off offset:1024
.LBB48_51:
	s_or_b64 exec, exec, s[22:23]
	v_add_u32_e32 v26, 0x600, v2
	v_cmp_gt_u32_e64 s[20:21], s33, v26
	s_and_saveexec_b64 s[24:25], s[20:21]
	s_cbranch_execz .LBB48_53
; %bb.52:
	ds_read_u8 v5, v2 offset:3584
	s_waitcnt lgkmcnt(0)
	v_lshrrev_b32_sdwa v7, s48, v5 dst_sel:DWORD dst_unused:UNUSED_PAD src0_sel:DWORD src1_sel:BYTE_0
	v_and_b32_e32 v7, s52, v7
	v_lshlrev_b32_e32 v7, 3, v7
	ds_read_b64 v[10:11], v7
	v_mov_b32_e32 v7, s39
	v_xor_b32_e32 v5, 0x80, v5
	s_waitcnt lgkmcnt(0)
	v_add_co_u32_e64 v10, s[22:23], s38, v10
	v_addc_co_u32_e64 v7, s[22:23], v7, v11, s[22:23]
	v_add_co_u32_e64 v10, s[22:23], v10, v2
	v_addc_co_u32_e64 v11, s[22:23], 0, v7, s[22:23]
	global_store_byte v[10:11], v5, off offset:1536
.LBB48_53:
	s_or_b64 exec, exec, s[24:25]
	v_or_b32_e32 v29, 0x800, v2
	v_cmp_gt_u32_e64 s[22:23], s33, v29
	s_and_saveexec_b64 s[28:29], s[22:23]
	s_cbranch_execz .LBB48_55
; %bb.54:
	ds_read_u8 v5, v2 offset:4096
	s_waitcnt lgkmcnt(0)
	v_lshrrev_b32_sdwa v7, s48, v5 dst_sel:DWORD dst_unused:UNUSED_PAD src0_sel:DWORD src1_sel:BYTE_0
	v_and_b32_e32 v7, s52, v7
	v_lshlrev_b32_e32 v7, 3, v7
	ds_read_b64 v[10:11], v7
	v_mov_b32_e32 v7, s39
	v_xor_b32_e32 v5, 0x80, v5
	s_waitcnt lgkmcnt(0)
	v_add_co_u32_e64 v10, s[24:25], s38, v10
	v_addc_co_u32_e64 v7, s[24:25], v7, v11, s[24:25]
	v_add_co_u32_e64 v10, s[24:25], v10, v2
	v_addc_co_u32_e64 v11, s[24:25], 0, v7, s[24:25]
	global_store_byte v[10:11], v5, off offset:2048
.LBB48_55:
	s_or_b64 exec, exec, s[28:29]
	v_add_u32_e32 v30, 0xa00, v2
	v_cmp_gt_u32_e64 s[24:25], s33, v30
	s_and_saveexec_b64 s[50:51], s[24:25]
	s_cbranch_execz .LBB48_57
; %bb.56:
	ds_read_u8 v5, v2 offset:4608
	s_waitcnt lgkmcnt(0)
	v_lshrrev_b32_sdwa v7, s48, v5 dst_sel:DWORD dst_unused:UNUSED_PAD src0_sel:DWORD src1_sel:BYTE_0
	v_and_b32_e32 v7, s52, v7
	v_lshlrev_b32_e32 v7, 3, v7
	ds_read_b64 v[10:11], v7
	v_mov_b32_e32 v7, s39
	v_xor_b32_e32 v5, 0x80, v5
	s_waitcnt lgkmcnt(0)
	v_add_co_u32_e64 v10, s[28:29], s38, v10
	v_addc_co_u32_e64 v7, s[28:29], v7, v11, s[28:29]
	v_add_co_u32_e64 v10, s[28:29], v10, v2
	v_addc_co_u32_e64 v11, s[28:29], 0, v7, s[28:29]
	global_store_byte v[10:11], v5, off offset:2560
.LBB48_57:
	s_or_b64 exec, exec, s[50:51]
	s_lshl_b64 s[28:29], s[30:31], 3
	s_add_u32 s28, s40, s28
	s_addc_u32 s29, s41, s29
	v_lshlrev_b32_e32 v5, 3, v6
	v_mov_b32_e32 v6, s29
	v_add_co_u32_e64 v5, s[28:29], s28, v5
	v_addc_co_u32_e64 v6, s[28:29], 0, v6, s[28:29]
	v_lshlrev_b32_e32 v4, 3, v4
	v_add_co_u32_e64 v18, s[28:29], v5, v4
	v_addc_co_u32_e64 v19, s[28:29], 0, v6, s[28:29]
                                        ; implicit-def: $vgpr4_vgpr5
	s_and_saveexec_b64 s[28:29], vcc
	s_xor_b64 s[28:29], exec, s[28:29]
	s_cbranch_execnz .LBB48_127
; %bb.58:
	s_or_b64 exec, exec, s[28:29]
                                        ; implicit-def: $vgpr6_vgpr7
	s_and_saveexec_b64 s[28:29], s[0:1]
	s_cbranch_execnz .LBB48_128
.LBB48_59:
	s_or_b64 exec, exec, s[28:29]
                                        ; implicit-def: $vgpr10_vgpr11
	s_and_saveexec_b64 s[0:1], s[2:3]
	s_cbranch_execnz .LBB48_129
.LBB48_60:
	s_or_b64 exec, exec, s[0:1]
                                        ; implicit-def: $vgpr12_vgpr13
	s_and_saveexec_b64 s[0:1], s[26:27]
	s_cbranch_execnz .LBB48_130
.LBB48_61:
	s_or_b64 exec, exec, s[0:1]
                                        ; implicit-def: $vgpr14_vgpr15
	s_and_saveexec_b64 s[0:1], s[8:9]
	s_cbranch_execnz .LBB48_131
.LBB48_62:
	s_or_b64 exec, exec, s[0:1]
                                        ; implicit-def: $vgpr16_vgpr17
	s_and_saveexec_b64 s[0:1], s[10:11]
	s_cbranch_execz .LBB48_64
.LBB48_63:
	global_load_dwordx2 v[16:17], v[18:19], off offset:2560
.LBB48_64:
	s_or_b64 exec, exec, s[0:1]
	v_mov_b32_e32 v32, 0
	v_mov_b32_e32 v34, 0
	s_and_saveexec_b64 s[0:1], s[14:15]
	s_cbranch_execz .LBB48_66
; %bb.65:
	ds_read_u8 v18, v2 offset:2048
	s_waitcnt lgkmcnt(0)
	v_lshrrev_b32_e32 v18, s48, v18
	v_and_b32_e32 v34, s52, v18
.LBB48_66:
	s_or_b64 exec, exec, s[0:1]
	s_and_saveexec_b64 s[0:1], s[16:17]
	s_cbranch_execz .LBB48_68
; %bb.67:
	ds_read_u8 v18, v2 offset:2560
	s_waitcnt lgkmcnt(0)
	v_lshrrev_b32_e32 v18, s48, v18
	v_and_b32_e32 v32, s52, v18
.LBB48_68:
	s_or_b64 exec, exec, s[0:1]
	v_mov_b32_e32 v19, 0
	v_mov_b32_e32 v33, 0
	s_and_saveexec_b64 s[0:1], s[18:19]
	s_cbranch_execz .LBB48_70
; %bb.69:
	ds_read_u8 v18, v2 offset:3072
	s_waitcnt lgkmcnt(0)
	v_lshrrev_b32_e32 v18, s48, v18
	v_and_b32_e32 v33, s52, v18
.LBB48_70:
	s_or_b64 exec, exec, s[0:1]
	s_and_saveexec_b64 s[0:1], s[20:21]
	s_cbranch_execz .LBB48_72
; %bb.71:
	ds_read_u8 v18, v2 offset:3584
	s_waitcnt lgkmcnt(0)
	v_lshrrev_b32_e32 v18, s48, v18
	v_and_b32_e32 v19, s52, v18
.LBB48_72:
	s_or_b64 exec, exec, s[0:1]
	v_mov_b32_e32 v18, 0
	v_mov_b32_e32 v31, 0
	s_and_saveexec_b64 s[0:1], s[22:23]
	s_cbranch_execz .LBB48_74
; %bb.73:
	ds_read_u8 v31, v2 offset:4096
	s_waitcnt lgkmcnt(0)
	v_lshrrev_b32_e32 v31, s48, v31
	v_and_b32_e32 v31, s52, v31
.LBB48_74:
	s_or_b64 exec, exec, s[0:1]
	s_and_saveexec_b64 s[0:1], s[24:25]
	s_cbranch_execz .LBB48_76
; %bb.75:
	ds_read_u8 v18, v2 offset:4608
	s_waitcnt lgkmcnt(0)
	v_lshrrev_b32_e32 v18, s48, v18
	v_and_b32_e32 v18, s52, v18
.LBB48_76:
	s_or_b64 exec, exec, s[0:1]
	v_lshlrev_b32_e32 v28, 3, v28
	s_barrier
	s_waitcnt vmcnt(0)
	ds_write_b64 v28, v[4:5] offset:2048
	v_lshlrev_b32_e32 v4, 3, v27
	ds_write_b64 v4, v[6:7] offset:2048
	v_lshlrev_b32_e32 v4, 3, v24
	;; [unrolled: 2-line block ×4, first 2 shown]
	v_lshlrev_b32_e32 v3, 3, v3
	ds_write_b64 v4, v[14:15] offset:2048
	ds_write_b64 v3, v[16:17] offset:2048
	v_lshlrev_b32_e32 v3, 3, v2
	s_waitcnt lgkmcnt(0)
	s_barrier
	s_and_saveexec_b64 s[0:1], s[14:15]
	s_cbranch_execnz .LBB48_132
; %bb.77:
	s_or_b64 exec, exec, s[0:1]
	s_and_saveexec_b64 s[0:1], s[16:17]
	s_cbranch_execnz .LBB48_133
.LBB48_78:
	s_or_b64 exec, exec, s[0:1]
	s_and_saveexec_b64 s[0:1], s[18:19]
	s_cbranch_execnz .LBB48_134
.LBB48_79:
	s_or_b64 exec, exec, s[0:1]
	s_and_saveexec_b64 s[0:1], s[20:21]
	s_cbranch_execnz .LBB48_135
.LBB48_80:
	s_or_b64 exec, exec, s[0:1]
	s_and_saveexec_b64 s[0:1], s[22:23]
	s_cbranch_execnz .LBB48_136
.LBB48_81:
	s_or_b64 exec, exec, s[0:1]
	s_and_saveexec_b64 s[0:1], s[24:25]
	s_cbranch_execz .LBB48_83
.LBB48_82:
	v_lshlrev_b32_e32 v4, 3, v18
	ds_read_b64 v[4:5], v4
	ds_read_b64 v[6:7], v3 offset:22528
	v_mov_b32_e32 v3, s43
	s_waitcnt lgkmcnt(1)
	v_lshlrev_b64 v[4:5], 3, v[4:5]
	v_add_co_u32_e32 v4, vcc, s42, v4
	v_addc_co_u32_e32 v3, vcc, v3, v5, vcc
	v_lshlrev_b32_e32 v5, 3, v30
	v_add_co_u32_e32 v4, vcc, v4, v5
	v_addc_co_u32_e32 v5, vcc, 0, v3, vcc
	s_waitcnt lgkmcnt(0)
	global_store_dwordx2 v[4:5], v[6:7], off
.LBB48_83:
	s_or_b64 exec, exec, s[0:1]
	s_add_i32 s7, s7, -1
	s_cmp_eq_u32 s6, s7
	s_cselect_b64 s[0:1], -1, 0
	s_and_b64 s[2:3], s[12:13], s[0:1]
	s_mov_b64 s[0:1], 0
	s_mov_b64 s[8:9], 0
                                        ; implicit-def: $vgpr4_vgpr5
	s_and_saveexec_b64 s[10:11], s[2:3]
	s_xor_b64 s[2:3], exec, s[10:11]
; %bb.84:
	v_add_co_u32_e32 v4, vcc, v8, v20
	s_mov_b64 s[8:9], exec
	v_mov_b32_e32 v3, 0
	v_addc_co_u32_e32 v5, vcc, 0, v9, vcc
; %bb.85:
	s_or_b64 exec, exec, s[2:3]
	s_and_b64 vcc, exec, s[0:1]
	s_cbranch_vccnz .LBB48_87
	s_branch .LBB48_124
.LBB48_86:
	s_mov_b64 s[8:9], 0
                                        ; implicit-def: $vgpr4_vgpr5
                                        ; implicit-def: $vgpr2_vgpr3
	s_cbranch_execz .LBB48_124
.LBB48_87:
	s_add_u32 s0, s36, s30
	v_and_b32_e32 v2, 0x3ff, v0
	s_addc_u32 s1, s37, 0
	v_mbcnt_hi_u32_b32 v6, -1, v1
	v_and_b32_e32 v7, 0x1c0, v2
	v_mov_b32_e32 v1, s1
	v_add_co_u32_e32 v3, vcc, s0, v6
	v_mul_u32_u24_e32 v4, 6, v7
	v_addc_co_u32_e32 v1, vcc, 0, v1, vcc
	v_add_co_u32_e32 v10, vcc, v3, v4
	v_addc_co_u32_e32 v11, vcc, 0, v1, vcc
	global_load_ubyte v1, v[10:11], off
	s_load_dword s0, s[4:5], 0x5c
	s_load_dword s7, s[4:5], 0x50
	s_add_u32 s1, s4, 0x50
	s_addc_u32 s2, s5, 0
	v_mov_b32_e32 v8, 0
	s_waitcnt lgkmcnt(0)
	s_lshr_b32 s3, s0, 16
	s_cmp_lt_u32 s6, s7
	s_cselect_b32 s0, 12, 18
	s_add_u32 s0, s1, s0
	s_addc_u32 s1, s2, 0
	global_load_ushort v13, v8, s[0:1]
	v_mul_u32_u24_e32 v5, 5, v2
	v_lshlrev_b32_e32 v5, 2, v5
	ds_write2_b32 v5, v8, v8 offset0:8 offset1:9
	ds_write2_b32 v5, v8, v8 offset0:10 offset1:11
	ds_write_b32 v5, v8 offset:48
	global_load_ubyte v12, v[10:11], off offset:64
	global_load_ubyte v16, v[10:11], off offset:128
	;; [unrolled: 1-line block ×5, first 2 shown]
	v_bfe_u32 v3, v0, 10, 10
	v_bfe_u32 v0, v0, 20, 10
	v_mad_u32_u24 v0, v0, s3, v3
	s_lshl_b32 s0, -1, s49
	s_not_b32 s14, s0
	s_mov_b32 s31, 0
	s_waitcnt lgkmcnt(0)
	s_barrier
	s_waitcnt lgkmcnt(0)
	; wave barrier
	s_waitcnt vmcnt(6)
	v_xor_b32_e32 v3, 0x80, v1
	v_lshrrev_b32_e32 v1, s48, v3
	v_and_b32_e32 v11, s14, v1
	v_and_b32_e32 v1, 1, v11
	v_add_co_u32_e32 v14, vcc, -1, v1
	v_lshlrev_b32_e32 v9, 30, v11
	v_addc_co_u32_e64 v15, s[0:1], 0, -1, vcc
	v_cmp_ne_u32_e32 vcc, 0, v1
	v_cmp_gt_i64_e64 s[0:1], 0, v[8:9]
	v_not_b32_e32 v17, v9
	v_lshlrev_b32_e32 v9, 29, v11
	s_waitcnt vmcnt(5)
	v_mad_u64_u32 v[0:1], s[2:3], v0, v13, v[2:3]
	v_xor_b32_e32 v1, vcc_hi, v15
	v_xor_b32_e32 v13, vcc_lo, v14
	v_ashrrev_i32_e32 v14, 31, v17
	v_cmp_gt_i64_e32 vcc, 0, v[8:9]
	v_not_b32_e32 v15, v9
	v_lshlrev_b32_e32 v9, 28, v11
	v_lshrrev_b32_e32 v20, 6, v0
	v_and_b32_e32 v0, exec_hi, v1
	v_and_b32_e32 v1, exec_lo, v13
	v_xor_b32_e32 v13, s1, v14
	v_xor_b32_e32 v14, s0, v14
	v_ashrrev_i32_e32 v15, 31, v15
	v_cmp_gt_i64_e64 s[0:1], 0, v[8:9]
	v_not_b32_e32 v17, v9
	v_lshlrev_b32_e32 v9, 27, v11
	v_and_b32_e32 v0, v0, v13
	v_and_b32_e32 v1, v1, v14
	v_xor_b32_e32 v13, vcc_hi, v15
	v_xor_b32_e32 v14, vcc_lo, v15
	v_ashrrev_i32_e32 v15, 31, v17
	v_cmp_gt_i64_e32 vcc, 0, v[8:9]
	v_not_b32_e32 v9, v9
	v_and_b32_e32 v0, v0, v13
	v_and_b32_e32 v1, v1, v14
	v_xor_b32_e32 v13, s1, v15
	v_xor_b32_e32 v14, s0, v15
	v_ashrrev_i32_e32 v9, 31, v9
	v_and_b32_e32 v0, v0, v13
	v_and_b32_e32 v1, v1, v14
	v_xor_b32_e32 v13, vcc_hi, v9
	v_xor_b32_e32 v9, vcc_lo, v9
	v_and_b32_e32 v1, v1, v9
	v_lshlrev_b32_e32 v9, 26, v11
	v_cmp_gt_i64_e32 vcc, 0, v[8:9]
	v_not_b32_e32 v9, v9
	v_ashrrev_i32_e32 v9, 31, v9
	v_and_b32_e32 v0, v0, v13
	v_xor_b32_e32 v13, vcc_hi, v9
	v_xor_b32_e32 v9, vcc_lo, v9
	v_and_b32_e32 v1, v1, v9
	v_lshlrev_b32_e32 v9, 25, v11
	v_cmp_gt_i64_e32 vcc, 0, v[8:9]
	v_not_b32_e32 v9, v9
	v_ashrrev_i32_e32 v9, 31, v9
	v_and_b32_e32 v0, v0, v13
	v_xor_b32_e32 v13, vcc_hi, v9
	v_xor_b32_e32 v9, vcc_lo, v9
	v_and_b32_e32 v0, v0, v13
	v_and_b32_e32 v13, v1, v9
	v_lshlrev_b32_e32 v9, 24, v11
	v_not_b32_e32 v1, v9
	v_cmp_gt_i64_e32 vcc, 0, v[8:9]
	v_ashrrev_i32_e32 v1, 31, v1
	v_mul_u32_u24_e32 v10, 9, v11
	v_xor_b32_e32 v9, vcc_hi, v1
	v_xor_b32_e32 v11, vcc_lo, v1
	v_and_b32_e32 v1, v0, v9
	v_and_b32_e32 v0, v13, v11
	v_mbcnt_lo_u32_b32 v9, v0, 0
	v_mbcnt_hi_u32_b32 v11, v1, v9
	v_cmp_eq_u32_e32 vcc, 0, v11
	v_cmp_ne_u64_e64 s[0:1], 0, v[0:1]
	v_add_lshl_u32 v10, v20, v10, 2
	s_and_b64 s[2:3], s[0:1], vcc
	s_and_saveexec_b64 s[0:1], s[2:3]
	s_cbranch_execz .LBB48_89
; %bb.88:
	v_bcnt_u32_b32 v0, v0, 0
	v_bcnt_u32_b32 v0, v1, v0
	ds_write_b32 v10, v0 offset:32
.LBB48_89:
	s_or_b64 exec, exec, s[0:1]
	s_waitcnt vmcnt(4)
	v_xor_b32_e32 v12, 0xffffff80, v12
	v_lshrrev_b32_sdwa v0, s48, v12 dst_sel:DWORD dst_unused:UNUSED_PAD src0_sel:DWORD src1_sel:BYTE_0
	v_and_b32_e32 v0, s14, v0
	v_mul_u32_u24_e32 v1, 9, v0
	v_add_lshl_u32 v14, v20, v1, 2
	v_and_b32_e32 v1, 1, v0
	v_add_co_u32_e32 v9, vcc, -1, v1
	v_addc_co_u32_e64 v15, s[0:1], 0, -1, vcc
	v_cmp_ne_u32_e32 vcc, 0, v1
	v_xor_b32_e32 v9, vcc_lo, v9
	v_xor_b32_e32 v1, vcc_hi, v15
	v_and_b32_e32 v15, exec_lo, v9
	v_lshlrev_b32_e32 v9, 30, v0
	v_cmp_gt_i64_e32 vcc, 0, v[8:9]
	v_not_b32_e32 v9, v9
	v_ashrrev_i32_e32 v9, 31, v9
	v_xor_b32_e32 v17, vcc_hi, v9
	v_xor_b32_e32 v9, vcc_lo, v9
	v_and_b32_e32 v15, v15, v9
	v_lshlrev_b32_e32 v9, 29, v0
	v_cmp_gt_i64_e32 vcc, 0, v[8:9]
	v_not_b32_e32 v9, v9
	v_and_b32_e32 v1, exec_hi, v1
	v_ashrrev_i32_e32 v9, 31, v9
	v_and_b32_e32 v1, v1, v17
	v_xor_b32_e32 v17, vcc_hi, v9
	v_xor_b32_e32 v9, vcc_lo, v9
	v_and_b32_e32 v15, v15, v9
	v_lshlrev_b32_e32 v9, 28, v0
	v_cmp_gt_i64_e32 vcc, 0, v[8:9]
	v_not_b32_e32 v9, v9
	v_ashrrev_i32_e32 v9, 31, v9
	v_and_b32_e32 v1, v1, v17
	v_xor_b32_e32 v17, vcc_hi, v9
	v_xor_b32_e32 v9, vcc_lo, v9
	v_and_b32_e32 v15, v15, v9
	v_lshlrev_b32_e32 v9, 27, v0
	v_cmp_gt_i64_e32 vcc, 0, v[8:9]
	v_not_b32_e32 v9, v9
	;; [unrolled: 8-line block ×4, first 2 shown]
	v_ashrrev_i32_e32 v9, 31, v9
	v_and_b32_e32 v1, v1, v17
	v_xor_b32_e32 v17, vcc_hi, v9
	v_xor_b32_e32 v9, vcc_lo, v9
	v_and_b32_e32 v15, v15, v9
	v_lshlrev_b32_e32 v9, 24, v0
	v_not_b32_e32 v0, v9
	v_cmp_gt_i64_e32 vcc, 0, v[8:9]
	v_ashrrev_i32_e32 v0, 31, v0
	v_xor_b32_e32 v8, vcc_hi, v0
	v_xor_b32_e32 v0, vcc_lo, v0
	; wave barrier
	ds_read_b32 v13, v14 offset:32
	v_and_b32_e32 v1, v1, v17
	v_and_b32_e32 v0, v15, v0
	;; [unrolled: 1-line block ×3, first 2 shown]
	v_mbcnt_lo_u32_b32 v8, v0, 0
	v_mbcnt_hi_u32_b32 v15, v1, v8
	v_cmp_eq_u32_e32 vcc, 0, v15
	v_cmp_ne_u64_e64 s[0:1], 0, v[0:1]
	s_and_b64 s[2:3], s[0:1], vcc
	; wave barrier
	s_and_saveexec_b64 s[0:1], s[2:3]
	s_cbranch_execz .LBB48_91
; %bb.90:
	v_bcnt_u32_b32 v0, v0, 0
	v_bcnt_u32_b32 v0, v1, v0
	s_waitcnt lgkmcnt(0)
	v_add_u32_e32 v0, v13, v0
	ds_write_b32 v14, v0 offset:32
.LBB48_91:
	s_or_b64 exec, exec, s[0:1]
	s_waitcnt vmcnt(3)
	v_xor_b32_e32 v16, 0xffffff80, v16
	v_lshrrev_b32_sdwa v0, s48, v16 dst_sel:DWORD dst_unused:UNUSED_PAD src0_sel:DWORD src1_sel:BYTE_0
	v_and_b32_e32 v8, s14, v0
	v_and_b32_e32 v1, 1, v8
	v_add_co_u32_e32 v9, vcc, -1, v1
	v_addc_co_u32_e64 v21, s[0:1], 0, -1, vcc
	v_cmp_ne_u32_e32 vcc, 0, v1
	v_mul_u32_u24_e32 v0, 9, v8
	v_xor_b32_e32 v1, vcc_hi, v21
	v_add_lshl_u32 v19, v20, v0, 2
	v_mov_b32_e32 v0, 0
	v_and_b32_e32 v21, exec_hi, v1
	v_lshlrev_b32_e32 v1, 30, v8
	v_xor_b32_e32 v9, vcc_lo, v9
	v_cmp_gt_i64_e32 vcc, 0, v[0:1]
	v_not_b32_e32 v1, v1
	v_ashrrev_i32_e32 v1, 31, v1
	v_and_b32_e32 v9, exec_lo, v9
	v_xor_b32_e32 v23, vcc_hi, v1
	v_xor_b32_e32 v1, vcc_lo, v1
	v_and_b32_e32 v9, v9, v1
	v_lshlrev_b32_e32 v1, 29, v8
	v_cmp_gt_i64_e32 vcc, 0, v[0:1]
	v_not_b32_e32 v1, v1
	v_ashrrev_i32_e32 v1, 31, v1
	v_and_b32_e32 v21, v21, v23
	v_xor_b32_e32 v23, vcc_hi, v1
	v_xor_b32_e32 v1, vcc_lo, v1
	v_and_b32_e32 v9, v9, v1
	v_lshlrev_b32_e32 v1, 28, v8
	v_cmp_gt_i64_e32 vcc, 0, v[0:1]
	v_not_b32_e32 v1, v1
	v_ashrrev_i32_e32 v1, 31, v1
	v_and_b32_e32 v21, v21, v23
	;; [unrolled: 8-line block ×5, first 2 shown]
	v_xor_b32_e32 v23, vcc_hi, v1
	v_xor_b32_e32 v1, vcc_lo, v1
	v_and_b32_e32 v21, v21, v23
	v_and_b32_e32 v23, v9, v1
	v_lshlrev_b32_e32 v1, 24, v8
	v_cmp_gt_i64_e32 vcc, 0, v[0:1]
	v_not_b32_e32 v1, v1
	v_ashrrev_i32_e32 v1, 31, v1
	v_xor_b32_e32 v8, vcc_hi, v1
	v_xor_b32_e32 v1, vcc_lo, v1
	; wave barrier
	ds_read_b32 v17, v19 offset:32
	v_and_b32_e32 v9, v21, v8
	v_and_b32_e32 v8, v23, v1
	v_mbcnt_lo_u32_b32 v1, v8, 0
	v_mbcnt_hi_u32_b32 v21, v9, v1
	v_cmp_eq_u32_e32 vcc, 0, v21
	v_cmp_ne_u64_e64 s[0:1], 0, v[8:9]
	s_and_b64 s[2:3], s[0:1], vcc
	; wave barrier
	s_and_saveexec_b64 s[0:1], s[2:3]
	s_cbranch_execz .LBB48_93
; %bb.92:
	v_bcnt_u32_b32 v1, v8, 0
	v_bcnt_u32_b32 v1, v9, v1
	s_waitcnt lgkmcnt(0)
	v_add_u32_e32 v1, v17, v1
	ds_write_b32 v19, v1 offset:32
.LBB48_93:
	s_or_b64 exec, exec, s[0:1]
	s_waitcnt vmcnt(2)
	v_xor_b32_e32 v22, 0xffffff80, v22
	v_lshrrev_b32_sdwa v1, s48, v22 dst_sel:DWORD dst_unused:UNUSED_PAD src0_sel:DWORD src1_sel:BYTE_0
	v_and_b32_e32 v8, s14, v1
	v_mul_u32_u24_e32 v1, 9, v8
	v_add_lshl_u32 v25, v20, v1, 2
	v_and_b32_e32 v1, 1, v8
	v_add_co_u32_e32 v9, vcc, -1, v1
	v_addc_co_u32_e64 v26, s[0:1], 0, -1, vcc
	v_cmp_ne_u32_e32 vcc, 0, v1
	v_xor_b32_e32 v1, vcc_hi, v26
	v_and_b32_e32 v26, exec_hi, v1
	v_lshlrev_b32_e32 v1, 30, v8
	v_xor_b32_e32 v9, vcc_lo, v9
	v_cmp_gt_i64_e32 vcc, 0, v[0:1]
	v_not_b32_e32 v1, v1
	v_ashrrev_i32_e32 v1, 31, v1
	v_and_b32_e32 v9, exec_lo, v9
	v_xor_b32_e32 v27, vcc_hi, v1
	v_xor_b32_e32 v1, vcc_lo, v1
	v_and_b32_e32 v9, v9, v1
	v_lshlrev_b32_e32 v1, 29, v8
	v_cmp_gt_i64_e32 vcc, 0, v[0:1]
	v_not_b32_e32 v1, v1
	v_ashrrev_i32_e32 v1, 31, v1
	v_and_b32_e32 v26, v26, v27
	v_xor_b32_e32 v27, vcc_hi, v1
	v_xor_b32_e32 v1, vcc_lo, v1
	v_and_b32_e32 v9, v9, v1
	v_lshlrev_b32_e32 v1, 28, v8
	v_cmp_gt_i64_e32 vcc, 0, v[0:1]
	v_not_b32_e32 v1, v1
	v_ashrrev_i32_e32 v1, 31, v1
	v_and_b32_e32 v26, v26, v27
	;; [unrolled: 8-line block ×5, first 2 shown]
	v_xor_b32_e32 v27, vcc_hi, v1
	v_xor_b32_e32 v1, vcc_lo, v1
	v_and_b32_e32 v9, v9, v1
	v_lshlrev_b32_e32 v1, 24, v8
	v_cmp_gt_i64_e32 vcc, 0, v[0:1]
	v_not_b32_e32 v0, v1
	v_ashrrev_i32_e32 v0, 31, v0
	v_xor_b32_e32 v1, vcc_hi, v0
	v_xor_b32_e32 v0, vcc_lo, v0
	; wave barrier
	ds_read_b32 v23, v25 offset:32
	v_and_b32_e32 v26, v26, v27
	v_and_b32_e32 v0, v9, v0
	;; [unrolled: 1-line block ×3, first 2 shown]
	v_mbcnt_lo_u32_b32 v8, v0, 0
	v_mbcnt_hi_u32_b32 v26, v1, v8
	v_cmp_eq_u32_e32 vcc, 0, v26
	v_cmp_ne_u64_e64 s[0:1], 0, v[0:1]
	s_and_b64 s[2:3], s[0:1], vcc
	; wave barrier
	s_and_saveexec_b64 s[0:1], s[2:3]
	s_cbranch_execz .LBB48_95
; %bb.94:
	v_bcnt_u32_b32 v0, v0, 0
	v_bcnt_u32_b32 v0, v1, v0
	s_waitcnt lgkmcnt(0)
	v_add_u32_e32 v0, v23, v0
	ds_write_b32 v25, v0 offset:32
.LBB48_95:
	s_or_b64 exec, exec, s[0:1]
	s_waitcnt vmcnt(1)
	v_xor_b32_e32 v24, 0xffffff80, v24
	v_lshrrev_b32_sdwa v0, s48, v24 dst_sel:DWORD dst_unused:UNUSED_PAD src0_sel:DWORD src1_sel:BYTE_0
	v_and_b32_e32 v8, s14, v0
	v_and_b32_e32 v1, 1, v8
	v_add_co_u32_e32 v9, vcc, -1, v1
	v_addc_co_u32_e64 v29, s[0:1], 0, -1, vcc
	v_cmp_ne_u32_e32 vcc, 0, v1
	v_mul_u32_u24_e32 v0, 9, v8
	v_xor_b32_e32 v1, vcc_hi, v29
	v_add_lshl_u32 v28, v20, v0, 2
	v_mov_b32_e32 v0, 0
	v_and_b32_e32 v29, exec_hi, v1
	v_lshlrev_b32_e32 v1, 30, v8
	v_xor_b32_e32 v9, vcc_lo, v9
	v_cmp_gt_i64_e32 vcc, 0, v[0:1]
	v_not_b32_e32 v1, v1
	v_ashrrev_i32_e32 v1, 31, v1
	v_and_b32_e32 v9, exec_lo, v9
	v_xor_b32_e32 v30, vcc_hi, v1
	v_xor_b32_e32 v1, vcc_lo, v1
	v_and_b32_e32 v9, v9, v1
	v_lshlrev_b32_e32 v1, 29, v8
	v_cmp_gt_i64_e32 vcc, 0, v[0:1]
	v_not_b32_e32 v1, v1
	v_ashrrev_i32_e32 v1, 31, v1
	v_and_b32_e32 v29, v29, v30
	v_xor_b32_e32 v30, vcc_hi, v1
	v_xor_b32_e32 v1, vcc_lo, v1
	v_and_b32_e32 v9, v9, v1
	v_lshlrev_b32_e32 v1, 28, v8
	v_cmp_gt_i64_e32 vcc, 0, v[0:1]
	v_not_b32_e32 v1, v1
	v_ashrrev_i32_e32 v1, 31, v1
	v_and_b32_e32 v29, v29, v30
	;; [unrolled: 8-line block ×5, first 2 shown]
	v_xor_b32_e32 v30, vcc_hi, v1
	v_xor_b32_e32 v1, vcc_lo, v1
	v_and_b32_e32 v29, v29, v30
	v_and_b32_e32 v30, v9, v1
	v_lshlrev_b32_e32 v1, 24, v8
	v_cmp_gt_i64_e32 vcc, 0, v[0:1]
	v_not_b32_e32 v1, v1
	v_ashrrev_i32_e32 v1, 31, v1
	v_xor_b32_e32 v8, vcc_hi, v1
	v_xor_b32_e32 v1, vcc_lo, v1
	; wave barrier
	ds_read_b32 v27, v28 offset:32
	v_and_b32_e32 v9, v29, v8
	v_and_b32_e32 v8, v30, v1
	v_mbcnt_lo_u32_b32 v1, v8, 0
	v_mbcnt_hi_u32_b32 v29, v9, v1
	v_cmp_eq_u32_e32 vcc, 0, v29
	v_cmp_ne_u64_e64 s[0:1], 0, v[8:9]
	s_and_b64 s[2:3], s[0:1], vcc
	; wave barrier
	s_and_saveexec_b64 s[0:1], s[2:3]
	s_cbranch_execz .LBB48_97
; %bb.96:
	v_bcnt_u32_b32 v1, v8, 0
	v_bcnt_u32_b32 v1, v9, v1
	s_waitcnt lgkmcnt(0)
	v_add_u32_e32 v1, v27, v1
	ds_write_b32 v28, v1 offset:32
.LBB48_97:
	s_or_b64 exec, exec, s[0:1]
	s_waitcnt vmcnt(0)
	v_xor_b32_e32 v30, 0xffffff80, v18
	v_lshrrev_b32_sdwa v1, s48, v30 dst_sel:DWORD dst_unused:UNUSED_PAD src0_sel:DWORD src1_sel:BYTE_0
	v_and_b32_e32 v8, s14, v1
	v_mul_u32_u24_e32 v1, 9, v8
	v_add_lshl_u32 v18, v20, v1, 2
	v_and_b32_e32 v1, 1, v8
	v_add_co_u32_e32 v9, vcc, -1, v1
	v_addc_co_u32_e64 v32, s[0:1], 0, -1, vcc
	v_cmp_ne_u32_e32 vcc, 0, v1
	v_xor_b32_e32 v1, vcc_hi, v32
	v_and_b32_e32 v32, exec_hi, v1
	v_lshlrev_b32_e32 v1, 30, v8
	v_xor_b32_e32 v9, vcc_lo, v9
	v_cmp_gt_i64_e32 vcc, 0, v[0:1]
	v_not_b32_e32 v1, v1
	v_ashrrev_i32_e32 v1, 31, v1
	v_and_b32_e32 v9, exec_lo, v9
	v_xor_b32_e32 v33, vcc_hi, v1
	v_xor_b32_e32 v1, vcc_lo, v1
	v_and_b32_e32 v9, v9, v1
	v_lshlrev_b32_e32 v1, 29, v8
	v_cmp_gt_i64_e32 vcc, 0, v[0:1]
	v_not_b32_e32 v1, v1
	v_ashrrev_i32_e32 v1, 31, v1
	v_and_b32_e32 v32, v32, v33
	v_xor_b32_e32 v33, vcc_hi, v1
	v_xor_b32_e32 v1, vcc_lo, v1
	v_and_b32_e32 v9, v9, v1
	v_lshlrev_b32_e32 v1, 28, v8
	v_cmp_gt_i64_e32 vcc, 0, v[0:1]
	v_not_b32_e32 v1, v1
	v_ashrrev_i32_e32 v1, 31, v1
	v_and_b32_e32 v32, v32, v33
	;; [unrolled: 8-line block ×5, first 2 shown]
	v_xor_b32_e32 v33, vcc_hi, v1
	v_xor_b32_e32 v1, vcc_lo, v1
	v_and_b32_e32 v9, v9, v1
	v_lshlrev_b32_e32 v1, 24, v8
	v_cmp_gt_i64_e32 vcc, 0, v[0:1]
	v_not_b32_e32 v0, v1
	v_ashrrev_i32_e32 v0, 31, v0
	v_xor_b32_e32 v1, vcc_hi, v0
	v_xor_b32_e32 v0, vcc_lo, v0
	; wave barrier
	ds_read_b32 v20, v18 offset:32
	v_and_b32_e32 v32, v32, v33
	v_and_b32_e32 v0, v9, v0
	;; [unrolled: 1-line block ×3, first 2 shown]
	v_mbcnt_lo_u32_b32 v8, v0, 0
	v_mbcnt_hi_u32_b32 v32, v1, v8
	v_cmp_eq_u32_e32 vcc, 0, v32
	v_cmp_ne_u64_e64 s[0:1], 0, v[0:1]
	v_add_u32_e32 v31, 32, v5
	s_and_b64 s[2:3], s[0:1], vcc
	; wave barrier
	s_and_saveexec_b64 s[0:1], s[2:3]
	s_cbranch_execz .LBB48_99
; %bb.98:
	v_bcnt_u32_b32 v0, v0, 0
	v_bcnt_u32_b32 v0, v1, v0
	s_waitcnt lgkmcnt(0)
	v_add_u32_e32 v0, v20, v0
	ds_write_b32 v18, v0 offset:32
.LBB48_99:
	s_or_b64 exec, exec, s[0:1]
	; wave barrier
	s_waitcnt lgkmcnt(0)
	s_barrier
	ds_read2_b32 v[8:9], v5 offset0:8 offset1:9
	ds_read2_b32 v[0:1], v31 offset0:2 offset1:3
	ds_read_b32 v33, v31 offset:16
	v_min_u32_e32 v7, 0x1c0, v7
	v_or_b32_e32 v7, 63, v7
	s_waitcnt lgkmcnt(1)
	v_add3_u32 v34, v9, v8, v0
	s_waitcnt lgkmcnt(0)
	v_add3_u32 v33, v34, v1, v33
	v_and_b32_e32 v34, 15, v6
	v_cmp_ne_u32_e32 vcc, 0, v34
	v_mov_b32_dpp v35, v33 row_shr:1 row_mask:0xf bank_mask:0xf
	v_cndmask_b32_e32 v35, 0, v35, vcc
	v_add_u32_e32 v33, v35, v33
	v_cmp_lt_u32_e32 vcc, 1, v34
	s_nop 0
	v_mov_b32_dpp v35, v33 row_shr:2 row_mask:0xf bank_mask:0xf
	v_cndmask_b32_e32 v35, 0, v35, vcc
	v_add_u32_e32 v33, v33, v35
	v_cmp_lt_u32_e32 vcc, 3, v34
	s_nop 0
	;; [unrolled: 5-line block ×3, first 2 shown]
	v_mov_b32_dpp v35, v33 row_shr:8 row_mask:0xf bank_mask:0xf
	v_cndmask_b32_e32 v34, 0, v35, vcc
	v_add_u32_e32 v33, v33, v34
	v_bfe_i32 v35, v6, 4, 1
	v_cmp_lt_u32_e32 vcc, 31, v6
	v_mov_b32_dpp v34, v33 row_bcast:15 row_mask:0xf bank_mask:0xf
	v_and_b32_e32 v34, v35, v34
	v_add_u32_e32 v33, v33, v34
	s_nop 1
	v_mov_b32_dpp v34, v33 row_bcast:31 row_mask:0xf bank_mask:0xf
	v_cndmask_b32_e32 v34, 0, v34, vcc
	v_add_u32_e32 v33, v33, v34
	v_lshrrev_b32_e32 v34, 6, v2
	v_cmp_eq_u32_e32 vcc, v7, v2
	s_and_saveexec_b64 s[0:1], vcc
	s_cbranch_execz .LBB48_101
; %bb.100:
	v_lshlrev_b32_e32 v7, 2, v34
	ds_write_b32 v7, v33
.LBB48_101:
	s_or_b64 exec, exec, s[0:1]
	v_cmp_gt_u32_e32 vcc, 8, v2
	s_waitcnt lgkmcnt(0)
	s_barrier
	s_and_saveexec_b64 s[0:1], vcc
	s_cbranch_execz .LBB48_103
; %bb.102:
	v_lshlrev_b32_e32 v7, 2, v2
	ds_read_b32 v35, v7
	v_and_b32_e32 v36, 7, v6
	v_cmp_ne_u32_e32 vcc, 0, v36
	s_waitcnt lgkmcnt(0)
	v_mov_b32_dpp v37, v35 row_shr:1 row_mask:0xf bank_mask:0xf
	v_cndmask_b32_e32 v37, 0, v37, vcc
	v_add_u32_e32 v35, v37, v35
	v_cmp_lt_u32_e32 vcc, 1, v36
	s_nop 0
	v_mov_b32_dpp v37, v35 row_shr:2 row_mask:0xf bank_mask:0xf
	v_cndmask_b32_e32 v37, 0, v37, vcc
	v_add_u32_e32 v35, v35, v37
	v_cmp_lt_u32_e32 vcc, 3, v36
	s_nop 0
	v_mov_b32_dpp v37, v35 row_shr:4 row_mask:0xf bank_mask:0xf
	v_cndmask_b32_e32 v36, 0, v37, vcc
	v_add_u32_e32 v35, v35, v36
	ds_write_b32 v7, v35
.LBB48_103:
	s_or_b64 exec, exec, s[0:1]
	v_cmp_lt_u32_e32 vcc, 63, v2
	v_mov_b32_e32 v7, 0
	s_waitcnt lgkmcnt(0)
	s_barrier
	s_and_saveexec_b64 s[0:1], vcc
	s_cbranch_execz .LBB48_105
; %bb.104:
	v_lshl_add_u32 v7, v34, 2, -4
	ds_read_b32 v7, v7
.LBB48_105:
	s_or_b64 exec, exec, s[0:1]
	v_add_u32_e32 v34, -1, v6
	v_and_b32_e32 v35, 64, v6
	v_cmp_lt_i32_e32 vcc, v34, v35
	v_cndmask_b32_e32 v34, v34, v6, vcc
	s_waitcnt lgkmcnt(0)
	v_add_u32_e32 v33, v7, v33
	v_lshlrev_b32_e32 v34, 2, v34
	ds_bpermute_b32 v33, v34, v33
	v_cmp_eq_u32_e32 vcc, 0, v6
	s_movk_i32 s2, 0xff
	s_movk_i32 s3, 0x100
	v_cmp_lt_u32_e64 s[0:1], s2, v2
	s_waitcnt lgkmcnt(0)
	v_cndmask_b32_e32 v7, v33, v7, vcc
	v_cmp_ne_u32_e32 vcc, 0, v2
	v_cndmask_b32_e32 v7, 0, v7, vcc
	v_add_u32_e32 v8, v7, v8
	v_add_u32_e32 v9, v8, v9
	v_add_u32_e32 v0, v9, v0
	v_add_u32_e32 v1, v0, v1
	ds_write2_b32 v5, v7, v8 offset0:8 offset1:9
	ds_write2_b32 v31, v9, v0 offset0:2 offset1:3
	ds_write_b32 v31, v1 offset:16
	s_waitcnt lgkmcnt(0)
	s_barrier
	ds_read_b32 v5, v10 offset:32
	ds_read_b32 v8, v14 offset:32
	ds_read_b32 v9, v19 offset:32
	ds_read_b32 v10, v25 offset:32
	ds_read_b32 v14, v28 offset:32
	ds_read_b32 v25, v18 offset:32
	v_cmp_gt_u32_e32 vcc, s3, v2
	v_pk_mov_b32 v[0:1], 0, 0
                                        ; implicit-def: $vgpr7
	s_and_saveexec_b64 s[4:5], vcc
	s_cbranch_execz .LBB48_109
; %bb.106:
	v_mul_u32_u24_e32 v0, 9, v2
	v_lshlrev_b32_e32 v7, 2, v0
	ds_read_b32 v0, v7 offset:32
	v_cmp_ne_u32_e64 s[2:3], s2, v2
	v_mov_b32_e32 v1, 0xc00
	s_and_saveexec_b64 s[10:11], s[2:3]
	s_cbranch_execz .LBB48_108
; %bb.107:
	ds_read_b32 v1, v7 offset:68
.LBB48_108:
	s_or_b64 exec, exec, s[10:11]
	s_waitcnt lgkmcnt(0)
	v_sub_u32_e32 v7, v1, v0
	v_mov_b32_e32 v1, 0
.LBB48_109:
	s_or_b64 exec, exec, s[4:5]
	s_waitcnt lgkmcnt(5)
	v_add_u32_e32 v19, v5, v11
	s_waitcnt lgkmcnt(4)
	v_add3_u32 v18, v15, v13, v8
	s_waitcnt lgkmcnt(3)
	v_add3_u32 v17, v21, v17, v9
	;; [unrolled: 2-line block ×5, first 2 shown]
	s_barrier
	ds_write_b8 v19, v3 offset:2048
	ds_write_b8 v18, v12 offset:2048
	;; [unrolled: 1-line block ×6, first 2 shown]
	s_waitcnt lgkmcnt(0)
	s_barrier
	s_and_saveexec_b64 s[2:3], s[0:1]
	s_xor_b64 s[0:1], exec, s[2:3]
; %bb.110:
	v_mov_b32_e32 v3, 0
; %bb.111:
	s_andn2_saveexec_b64 s[2:3], s[0:1]
	s_cbranch_execz .LBB48_121
; %bb.112:
	v_lshl_or_b32 v8, s6, 8, v2
	v_mov_b32_e32 v9, 0
	v_lshlrev_b64 v[10:11], 2, v[8:9]
	v_mov_b32_e32 v3, s35
	v_add_co_u32_e64 v10, s[0:1], s34, v10
	v_addc_co_u32_e64 v11, s[0:1], v3, v11, s[0:1]
	v_or_b32_e32 v8, 2.0, v7
	s_mov_b64 s[4:5], 0
	s_brev_b32 s15, 1
	s_mov_b32 s16, s6
	v_mov_b32_e32 v16, 0
	global_store_dword v[10:11], v8, off
                                        ; implicit-def: $sgpr0_sgpr1
	s_branch .LBB48_115
.LBB48_113:                             ;   in Loop: Header=BB48_115 Depth=1
	s_or_b64 exec, exec, s[12:13]
.LBB48_114:                             ;   in Loop: Header=BB48_115 Depth=1
	s_or_b64 exec, exec, s[10:11]
	v_and_b32_e32 v12, 0x3fffffff, v20
	v_add_u32_e32 v16, v12, v16
	v_cmp_eq_u32_e64 s[0:1], s15, v8
	s_and_b64 s[10:11], exec, s[0:1]
	s_or_b64 s[4:5], s[10:11], s[4:5]
	s_andn2_b64 exec, exec, s[4:5]
	s_cbranch_execz .LBB48_120
.LBB48_115:                             ; =>This Loop Header: Depth=1
                                        ;     Child Loop BB48_118 Depth 2
	s_or_b64 s[0:1], s[0:1], exec
	s_cmp_eq_u32 s16, 0
	s_cbranch_scc1 .LBB48_119
; %bb.116:                              ;   in Loop: Header=BB48_115 Depth=1
	s_add_i32 s16, s16, -1
	v_lshl_or_b32 v8, s16, 8, v2
	v_lshlrev_b64 v[12:13], 2, v[8:9]
	v_add_co_u32_e64 v12, s[0:1], s34, v12
	v_addc_co_u32_e64 v13, s[0:1], v3, v13, s[0:1]
	global_load_dword v20, v[12:13], off glc
	s_waitcnt vmcnt(0)
	v_and_b32_e32 v8, -2.0, v20
	v_cmp_eq_u32_e64 s[0:1], 0, v8
	s_and_saveexec_b64 s[10:11], s[0:1]
	s_cbranch_execz .LBB48_114
; %bb.117:                              ;   in Loop: Header=BB48_115 Depth=1
	s_mov_b64 s[12:13], 0
.LBB48_118:                             ;   Parent Loop BB48_115 Depth=1
                                        ; =>  This Inner Loop Header: Depth=2
	global_load_dword v20, v[12:13], off glc
	s_waitcnt vmcnt(0)
	v_and_b32_e32 v8, -2.0, v20
	v_cmp_ne_u32_e64 s[0:1], 0, v8
	s_or_b64 s[12:13], s[0:1], s[12:13]
	s_andn2_b64 exec, exec, s[12:13]
	s_cbranch_execnz .LBB48_118
	s_branch .LBB48_113
.LBB48_119:                             ;   in Loop: Header=BB48_115 Depth=1
                                        ; implicit-def: $sgpr16
	s_and_b64 s[10:11], exec, s[0:1]
	s_or_b64 s[4:5], s[10:11], s[4:5]
	s_andn2_b64 exec, exec, s[4:5]
	s_cbranch_execnz .LBB48_115
.LBB48_120:
	s_or_b64 exec, exec, s[4:5]
	v_add_u32_e32 v3, v16, v7
	v_or_b32_e32 v3, 0x80000000, v3
	global_store_dword v[10:11], v3, off
	v_lshlrev_b32_e32 v10, 3, v2
	global_load_dwordx2 v[8:9], v10, s[44:45]
	v_sub_co_u32_e64 v11, s[0:1], v16, v0
	v_subb_co_u32_e64 v12, s[0:1], 0, v1, s[0:1]
	v_mov_b32_e32 v3, 0
	s_waitcnt vmcnt(0)
	v_add_co_u32_e64 v8, s[0:1], v11, v8
	v_addc_co_u32_e64 v9, s[0:1], v12, v9, s[0:1]
	ds_write_b64 v10, v[8:9]
.LBB48_121:
	s_or_b64 exec, exec, s[2:3]
	s_waitcnt lgkmcnt(0)
	s_barrier
	ds_read_u8 v16, v2 offset:4096
	ds_read_u8 v26, v2 offset:3072
	;; [unrolled: 1-line block ×5, first 2 shown]
	s_waitcnt lgkmcnt(4)
	v_lshrrev_b32_sdwa v8, s48, v16 dst_sel:DWORD dst_unused:UNUSED_PAD src0_sel:DWORD src1_sel:BYTE_0
	v_and_b32_e32 v8, s14, v8
	v_lshlrev_b32_e32 v30, 3, v8
	ds_read_b64 v[8:9], v30
	ds_read_u8 v12, v2 offset:2048
	s_waitcnt lgkmcnt(2)
	v_lshrrev_b32_sdwa v10, s48, v29 dst_sel:DWORD dst_unused:UNUSED_PAD src0_sel:DWORD src1_sel:BYTE_0
	v_and_b32_e32 v10, s14, v10
	v_lshlrev_b32_e32 v31, 3, v10
	ds_read_b64 v[10:11], v31
	s_waitcnt lgkmcnt(1)
	v_lshrrev_b32_sdwa v13, s48, v12 dst_sel:DWORD dst_unused:UNUSED_PAD src0_sel:DWORD src1_sel:BYTE_0
	v_xor_b32_e32 v32, 0x80, v12
	v_lshrrev_b32_sdwa v12, s48, v28 dst_sel:DWORD dst_unused:UNUSED_PAD src0_sel:DWORD src1_sel:BYTE_0
	v_and_b32_e32 v12, s14, v12
	v_lshlrev_b32_e32 v35, 3, v12
	v_lshrrev_b32_sdwa v12, s48, v26 dst_sel:DWORD dst_unused:UNUSED_PAD src0_sel:DWORD src1_sel:BYTE_0
	v_and_b32_e32 v12, s14, v12
	v_and_b32_e32 v13, s14, v13
	v_lshlrev_b32_e32 v36, 3, v12
	v_lshrrev_b32_sdwa v12, s48, v27 dst_sel:DWORD dst_unused:UNUSED_PAD src0_sel:DWORD src1_sel:BYTE_0
	v_lshlrev_b32_e32 v33, 3, v13
	v_and_b32_e32 v12, s14, v12
	v_lshlrev_b32_e32 v37, 3, v12
	ds_read_b64 v[12:13], v33
	ds_read_b64 v[20:21], v35
	;; [unrolled: 1-line block ×4, first 2 shown]
	v_mov_b32_e32 v34, s39
	s_waitcnt lgkmcnt(3)
	v_add_co_u32_e64 v12, s[0:1], s38, v12
	v_addc_co_u32_e64 v13, s[0:1], v34, v13, s[0:1]
	v_add_co_u32_e64 v12, s[0:1], v12, v2
	v_addc_co_u32_e64 v13, s[0:1], v13, v3, s[0:1]
	global_store_byte v[12:13], v32, off
	v_mov_b32_e32 v12, s39
	s_waitcnt lgkmcnt(2)
	v_add_co_u32_e64 v13, s[0:1], s38, v20
	v_addc_co_u32_e64 v20, s[0:1], v12, v21, s[0:1]
	v_add_co_u32_e64 v12, s[0:1], v13, v2
	v_xor_b32_e32 v28, 0x80, v28
	v_addc_co_u32_e64 v13, s[0:1], v20, v3, s[0:1]
	global_store_byte v[12:13], v28, off offset:512
	v_mov_b32_e32 v12, s39
	s_waitcnt lgkmcnt(1)
	v_add_co_u32_e64 v13, s[0:1], s38, v22
	v_addc_co_u32_e64 v21, s[0:1], v12, v23, s[0:1]
	v_add_co_u32_e64 v12, s[0:1], v13, v2
	v_xor_b32_e32 v20, 0x80, v26
	v_addc_co_u32_e64 v13, s[0:1], v21, v3, s[0:1]
	global_store_byte v[12:13], v20, off offset:1024
	;; [unrolled: 8-line block ×3, first 2 shown]
	v_mov_b32_e32 v13, s39
	v_add_co_u32_e64 v8, s[0:1], s38, v8
	v_addc_co_u32_e64 v9, s[0:1], v13, v9, s[0:1]
	v_add_co_u32_e64 v8, s[0:1], v8, v2
	v_xor_b32_e32 v12, 0x80, v16
	v_addc_co_u32_e64 v9, s[0:1], v9, v3, s[0:1]
	global_store_byte v[8:9], v12, off offset:2048
	v_mov_b32_e32 v8, s39
	v_add_co_u32_e64 v9, s[0:1], s38, v10
	v_addc_co_u32_e64 v10, s[0:1], v8, v11, s[0:1]
	v_add_co_u32_e64 v8, s[0:1], v9, v2
	v_addc_co_u32_e64 v9, s[0:1], v10, v3, s[0:1]
	s_lshl_b64 s[0:1], s[30:31], 3
	s_add_u32 s0, s40, s0
	v_xor_b32_e32 v12, 0x80, v29
	s_addc_u32 s1, s41, s1
	v_lshlrev_b32_e32 v6, 3, v6
	global_store_byte v[8:9], v12, off offset:2560
	v_mov_b32_e32 v8, s1
	v_add_co_u32_e64 v6, s[0:1], s0, v6
	v_addc_co_u32_e64 v9, s[0:1], 0, v8, s[0:1]
	v_lshlrev_b32_e32 v4, 3, v4
	v_add_co_u32_e64 v8, s[0:1], v6, v4
	v_addc_co_u32_e64 v9, s[0:1], 0, v9, s[0:1]
	global_load_dwordx2 v[10:11], v[8:9], off
	global_load_dwordx2 v[12:13], v[8:9], off offset:512
	global_load_dwordx2 v[20:21], v[8:9], off offset:1024
	;; [unrolled: 1-line block ×5, first 2 shown]
	v_lshlrev_b32_e32 v4, 3, v19
	s_barrier
	v_mov_b32_e32 v9, s43
	v_lshlrev_b32_e32 v8, 3, v2
	v_or_b32_e32 v6, 0x800, v2
	v_mad_u32_u24 v6, v2, 7, v6
	v_lshlrev_b32_e32 v28, 3, v2
	s_add_i32 s7, s7, -1
	s_cmp_eq_u32 s6, s7
	s_waitcnt vmcnt(5)
	ds_write_b64 v4, v[10:11] offset:2048
	v_lshlrev_b32_e32 v4, 3, v18
	s_waitcnt vmcnt(4)
	ds_write_b64 v4, v[12:13] offset:2048
	v_lshlrev_b32_e32 v4, 3, v17
	;; [unrolled: 3-line block ×5, first 2 shown]
	s_waitcnt vmcnt(0)
	ds_write_b64 v4, v[26:27] offset:2048
	s_waitcnt lgkmcnt(0)
	s_barrier
	ds_read_b64 v[4:5], v33
	ds_read_b64 v[12:13], v35
	;; [unrolled: 1-line block ×4, first 2 shown]
	s_waitcnt lgkmcnt(3)
	v_lshlrev_b64 v[4:5], 3, v[4:5]
	v_add_co_u32_e64 v10, s[0:1], s42, v4
	v_addc_co_u32_e64 v9, s[0:1], v9, v5, s[0:1]
	v_lshlrev_b64 v[4:5], 3, v[2:3]
	v_add_co_u32_e64 v4, s[0:1], v10, v4
	v_addc_co_u32_e64 v5, s[0:1], v9, v5, s[0:1]
	ds_read_b64 v[8:9], v8 offset:2048
	ds_read_b64 v[18:19], v30
	ds_read_b64 v[20:21], v6 offset:20480
	ds_read_b64 v[22:23], v31
	s_waitcnt lgkmcnt(3)
	global_store_dwordx2 v[4:5], v[8:9], off
	ds_read2st64_b64 v[8:11], v6 offset0:8 offset1:16
	v_lshlrev_b64 v[4:5], 3, v[12:13]
	v_mov_b32_e32 v12, s43
	v_add_co_u32_e64 v4, s[0:1], s42, v4
	v_addc_co_u32_e64 v5, s[0:1], v12, v5, s[0:1]
	v_add_u32_e32 v12, 0x1000, v28
	v_add_co_u32_e64 v4, s[0:1], v4, v12
	v_addc_co_u32_e64 v5, s[0:1], 0, v5, s[0:1]
	s_waitcnt lgkmcnt(0)
	global_store_dwordx2 v[4:5], v[8:9], off
	v_lshlrev_b64 v[4:5], 3, v[14:15]
	v_mov_b32_e32 v8, s43
	v_add_co_u32_e64 v4, s[0:1], s42, v4
	v_addc_co_u32_e64 v5, s[0:1], v8, v5, s[0:1]
	v_or_b32_e32 v8, 0x2000, v28
	v_add_co_u32_e64 v4, s[0:1], v4, v8
	v_addc_co_u32_e64 v5, s[0:1], 0, v5, s[0:1]
	global_store_dwordx2 v[4:5], v[10:11], off
	ds_read2st64_b64 v[8:11], v6 offset0:24 offset1:32
	v_lshlrev_b64 v[4:5], 3, v[16:17]
	v_mov_b32_e32 v6, s43
	v_add_co_u32_e64 v4, s[0:1], s42, v4
	v_addc_co_u32_e64 v5, s[0:1], v6, v5, s[0:1]
	v_add_u32_e32 v6, 0x3000, v28
	v_add_co_u32_e64 v4, s[0:1], v4, v6
	v_addc_co_u32_e64 v5, s[0:1], 0, v5, s[0:1]
	s_waitcnt lgkmcnt(0)
	global_store_dwordx2 v[4:5], v[8:9], off
	v_lshlrev_b64 v[4:5], 3, v[18:19]
	v_mov_b32_e32 v6, s43
	v_add_co_u32_e64 v4, s[0:1], s42, v4
	v_addc_co_u32_e64 v5, s[0:1], v6, v5, s[0:1]
	v_or_b32_e32 v6, 0x4000, v28
	v_add_co_u32_e64 v4, s[0:1], v4, v6
	v_addc_co_u32_e64 v5, s[0:1], 0, v5, s[0:1]
	global_store_dwordx2 v[4:5], v[10:11], off
	v_lshlrev_b64 v[4:5], 3, v[22:23]
	v_mov_b32_e32 v6, s43
	v_add_co_u32_e64 v4, s[0:1], s42, v4
	v_addc_co_u32_e64 v5, s[0:1], v6, v5, s[0:1]
	v_add_u32_e32 v6, 0x5000, v28
	v_add_co_u32_e64 v4, s[0:1], v4, v6
	v_addc_co_u32_e64 v5, s[0:1], 0, v5, s[0:1]
	s_cselect_b64 s[0:1], -1, 0
	s_and_b64 s[2:3], vcc, s[0:1]
	global_store_dwordx2 v[4:5], v[20:21], off
                                        ; implicit-def: $vgpr4_vgpr5
	s_and_saveexec_b64 s[0:1], s[2:3]
; %bb.122:
	v_add_co_u32_e32 v4, vcc, v0, v7
	v_addc_co_u32_e32 v5, vcc, 0, v1, vcc
	s_or_b64 s[8:9], s[8:9], exec
; %bb.123:
	s_or_b64 exec, exec, s[0:1]
.LBB48_124:
	s_and_saveexec_b64 s[0:1], s[8:9]
	s_cbranch_execnz .LBB48_126
; %bb.125:
	s_endpgm
.LBB48_126:
	v_lshlrev_b32_e32 v6, 3, v2
	v_lshlrev_b64 v[0:1], 3, v[2:3]
	ds_read_b64 v[2:3], v6
	v_mov_b32_e32 v7, s47
	v_add_co_u32_e32 v0, vcc, s46, v0
	v_addc_co_u32_e32 v1, vcc, v7, v1, vcc
	s_waitcnt lgkmcnt(0)
	v_add_co_u32_e32 v2, vcc, v2, v4
	v_addc_co_u32_e32 v3, vcc, v3, v5, vcc
	global_store_dwordx2 v[0:1], v[2:3], off
	s_endpgm
.LBB48_127:
	global_load_dwordx2 v[4:5], v[18:19], off
	s_or_b64 exec, exec, s[28:29]
                                        ; implicit-def: $vgpr6_vgpr7
	s_and_saveexec_b64 s[28:29], s[0:1]
	s_cbranch_execz .LBB48_59
.LBB48_128:
	global_load_dwordx2 v[6:7], v[18:19], off offset:512
	s_or_b64 exec, exec, s[28:29]
                                        ; implicit-def: $vgpr10_vgpr11
	s_and_saveexec_b64 s[0:1], s[2:3]
	s_cbranch_execz .LBB48_60
.LBB48_129:
	global_load_dwordx2 v[10:11], v[18:19], off offset:1024
	s_or_b64 exec, exec, s[0:1]
                                        ; implicit-def: $vgpr12_vgpr13
	s_and_saveexec_b64 s[0:1], s[26:27]
	s_cbranch_execz .LBB48_61
.LBB48_130:
	global_load_dwordx2 v[12:13], v[18:19], off offset:1536
	s_or_b64 exec, exec, s[0:1]
                                        ; implicit-def: $vgpr14_vgpr15
	s_and_saveexec_b64 s[0:1], s[8:9]
	s_cbranch_execz .LBB48_62
.LBB48_131:
	global_load_dwordx2 v[14:15], v[18:19], off offset:2048
	s_or_b64 exec, exec, s[0:1]
                                        ; implicit-def: $vgpr16_vgpr17
	s_and_saveexec_b64 s[0:1], s[10:11]
	s_cbranch_execnz .LBB48_63
	s_branch .LBB48_64
.LBB48_132:
	v_lshlrev_b32_e32 v4, 3, v34
	ds_read_b64 v[4:5], v4
	ds_read_b64 v[6:7], v3 offset:2048
	v_mov_b32_e32 v10, s43
	s_waitcnt lgkmcnt(1)
	v_lshlrev_b64 v[4:5], 3, v[4:5]
	v_add_co_u32_e32 v4, vcc, s42, v4
	v_addc_co_u32_e32 v5, vcc, v10, v5, vcc
	v_add_co_u32_e32 v4, vcc, v4, v3
	v_addc_co_u32_e32 v5, vcc, 0, v5, vcc
	s_waitcnt lgkmcnt(0)
	global_store_dwordx2 v[4:5], v[6:7], off
	s_or_b64 exec, exec, s[0:1]
	s_and_saveexec_b64 s[0:1], s[16:17]
	s_cbranch_execz .LBB48_78
.LBB48_133:
	v_lshlrev_b32_e32 v4, 3, v32
	ds_read_b64 v[4:5], v4
	ds_read_b64 v[6:7], v3 offset:6144
	v_mov_b32_e32 v10, s43
	s_waitcnt lgkmcnt(1)
	v_lshlrev_b64 v[4:5], 3, v[4:5]
	v_add_co_u32_e32 v4, vcc, s42, v4
	v_addc_co_u32_e32 v5, vcc, v10, v5, vcc
	v_lshlrev_b32_e32 v10, 3, v21
	v_add_co_u32_e32 v4, vcc, v4, v10
	v_addc_co_u32_e32 v5, vcc, 0, v5, vcc
	s_waitcnt lgkmcnt(0)
	global_store_dwordx2 v[4:5], v[6:7], off
	s_or_b64 exec, exec, s[0:1]
	s_and_saveexec_b64 s[0:1], s[18:19]
	s_cbranch_execz .LBB48_79
.LBB48_134:
	v_lshlrev_b32_e32 v4, 3, v33
	ds_read_b64 v[4:5], v4
	ds_read_b64 v[6:7], v3 offset:10240
	v_mov_b32_e32 v10, s43
	s_waitcnt lgkmcnt(1)
	v_lshlrev_b64 v[4:5], 3, v[4:5]
	v_add_co_u32_e32 v4, vcc, s42, v4
	v_addc_co_u32_e32 v5, vcc, v10, v5, vcc
	v_lshlrev_b32_e32 v10, 3, v25
	v_add_co_u32_e32 v4, vcc, v4, v10
	v_addc_co_u32_e32 v5, vcc, 0, v5, vcc
	s_waitcnt lgkmcnt(0)
	global_store_dwordx2 v[4:5], v[6:7], off
	s_or_b64 exec, exec, s[0:1]
	s_and_saveexec_b64 s[0:1], s[20:21]
	s_cbranch_execz .LBB48_80
.LBB48_135:
	v_lshlrev_b32_e32 v4, 3, v19
	ds_read_b64 v[4:5], v4
	ds_read_b64 v[6:7], v3 offset:14336
	v_mov_b32_e32 v10, s43
	s_waitcnt lgkmcnt(1)
	v_lshlrev_b64 v[4:5], 3, v[4:5]
	v_add_co_u32_e32 v4, vcc, s42, v4
	v_addc_co_u32_e32 v5, vcc, v10, v5, vcc
	v_lshlrev_b32_e32 v10, 3, v26
	v_add_co_u32_e32 v4, vcc, v4, v10
	v_addc_co_u32_e32 v5, vcc, 0, v5, vcc
	s_waitcnt lgkmcnt(0)
	global_store_dwordx2 v[4:5], v[6:7], off
	s_or_b64 exec, exec, s[0:1]
	s_and_saveexec_b64 s[0:1], s[22:23]
	s_cbranch_execz .LBB48_81
.LBB48_136:
	v_lshlrev_b32_e32 v4, 3, v31
	ds_read_b64 v[4:5], v4
	ds_read_b64 v[6:7], v3 offset:18432
	v_mov_b32_e32 v10, s43
	s_waitcnt lgkmcnt(1)
	v_lshlrev_b64 v[4:5], 3, v[4:5]
	v_add_co_u32_e32 v4, vcc, s42, v4
	v_addc_co_u32_e32 v5, vcc, v10, v5, vcc
	v_lshlrev_b32_e32 v10, 3, v29
	v_add_co_u32_e32 v4, vcc, v4, v10
	v_addc_co_u32_e32 v5, vcc, 0, v5, vcc
	s_waitcnt lgkmcnt(0)
	global_store_dwordx2 v[4:5], v[6:7], off
	s_or_b64 exec, exec, s[0:1]
	s_and_saveexec_b64 s[0:1], s[24:25]
	s_cbranch_execnz .LBB48_82
	s_branch .LBB48_83
	.section	.rodata,"a",@progbits
	.p2align	6, 0x0
	.amdhsa_kernel _ZN7rocprim17ROCPRIM_304000_NS6detail25onesweep_iteration_kernelINS1_34wrapped_radix_sort_onesweep_configINS0_14default_configEaN2at4cuda3cub6detail10OpaqueTypeILi8EEEEELb0EPKaPaPKSA_PSA_mNS0_19identity_decomposerEEEvT1_T2_T3_T4_jPT5_SO_PNS1_23onesweep_lookback_stateET6_jjj
		.amdhsa_group_segment_fixed_size 26624
		.amdhsa_private_segment_fixed_size 0
		.amdhsa_kernarg_size 336
		.amdhsa_user_sgpr_count 6
		.amdhsa_user_sgpr_private_segment_buffer 1
		.amdhsa_user_sgpr_dispatch_ptr 0
		.amdhsa_user_sgpr_queue_ptr 0
		.amdhsa_user_sgpr_kernarg_segment_ptr 1
		.amdhsa_user_sgpr_dispatch_id 0
		.amdhsa_user_sgpr_flat_scratch_init 0
		.amdhsa_user_sgpr_kernarg_preload_length 0
		.amdhsa_user_sgpr_kernarg_preload_offset 0
		.amdhsa_user_sgpr_private_segment_size 0
		.amdhsa_uses_dynamic_stack 0
		.amdhsa_system_sgpr_private_segment_wavefront_offset 0
		.amdhsa_system_sgpr_workgroup_id_x 1
		.amdhsa_system_sgpr_workgroup_id_y 0
		.amdhsa_system_sgpr_workgroup_id_z 0
		.amdhsa_system_sgpr_workgroup_info 0
		.amdhsa_system_vgpr_workitem_id 2
		.amdhsa_next_free_vgpr 40
		.amdhsa_next_free_sgpr 53
		.amdhsa_accum_offset 40
		.amdhsa_reserve_vcc 1
		.amdhsa_reserve_flat_scratch 0
		.amdhsa_float_round_mode_32 0
		.amdhsa_float_round_mode_16_64 0
		.amdhsa_float_denorm_mode_32 3
		.amdhsa_float_denorm_mode_16_64 3
		.amdhsa_dx10_clamp 1
		.amdhsa_ieee_mode 1
		.amdhsa_fp16_overflow 0
		.amdhsa_tg_split 0
		.amdhsa_exception_fp_ieee_invalid_op 0
		.amdhsa_exception_fp_denorm_src 0
		.amdhsa_exception_fp_ieee_div_zero 0
		.amdhsa_exception_fp_ieee_overflow 0
		.amdhsa_exception_fp_ieee_underflow 0
		.amdhsa_exception_fp_ieee_inexact 0
		.amdhsa_exception_int_div_zero 0
	.end_amdhsa_kernel
	.section	.text._ZN7rocprim17ROCPRIM_304000_NS6detail25onesweep_iteration_kernelINS1_34wrapped_radix_sort_onesweep_configINS0_14default_configEaN2at4cuda3cub6detail10OpaqueTypeILi8EEEEELb0EPKaPaPKSA_PSA_mNS0_19identity_decomposerEEEvT1_T2_T3_T4_jPT5_SO_PNS1_23onesweep_lookback_stateET6_jjj,"axG",@progbits,_ZN7rocprim17ROCPRIM_304000_NS6detail25onesweep_iteration_kernelINS1_34wrapped_radix_sort_onesweep_configINS0_14default_configEaN2at4cuda3cub6detail10OpaqueTypeILi8EEEEELb0EPKaPaPKSA_PSA_mNS0_19identity_decomposerEEEvT1_T2_T3_T4_jPT5_SO_PNS1_23onesweep_lookback_stateET6_jjj,comdat
.Lfunc_end48:
	.size	_ZN7rocprim17ROCPRIM_304000_NS6detail25onesweep_iteration_kernelINS1_34wrapped_radix_sort_onesweep_configINS0_14default_configEaN2at4cuda3cub6detail10OpaqueTypeILi8EEEEELb0EPKaPaPKSA_PSA_mNS0_19identity_decomposerEEEvT1_T2_T3_T4_jPT5_SO_PNS1_23onesweep_lookback_stateET6_jjj, .Lfunc_end48-_ZN7rocprim17ROCPRIM_304000_NS6detail25onesweep_iteration_kernelINS1_34wrapped_radix_sort_onesweep_configINS0_14default_configEaN2at4cuda3cub6detail10OpaqueTypeILi8EEEEELb0EPKaPaPKSA_PSA_mNS0_19identity_decomposerEEEvT1_T2_T3_T4_jPT5_SO_PNS1_23onesweep_lookback_stateET6_jjj
                                        ; -- End function
	.section	.AMDGPU.csdata,"",@progbits
; Kernel info:
; codeLenInByte = 11244
; NumSgprs: 57
; NumVgprs: 40
; NumAgprs: 0
; TotalNumVgprs: 40
; ScratchSize: 0
; MemoryBound: 0
; FloatMode: 240
; IeeeMode: 1
; LDSByteSize: 26624 bytes/workgroup (compile time only)
; SGPRBlocks: 7
; VGPRBlocks: 4
; NumSGPRsForWavesPerEU: 57
; NumVGPRsForWavesPerEU: 40
; AccumOffset: 40
; Occupancy: 4
; WaveLimiterHint : 1
; COMPUTE_PGM_RSRC2:SCRATCH_EN: 0
; COMPUTE_PGM_RSRC2:USER_SGPR: 6
; COMPUTE_PGM_RSRC2:TRAP_HANDLER: 0
; COMPUTE_PGM_RSRC2:TGID_X_EN: 1
; COMPUTE_PGM_RSRC2:TGID_Y_EN: 0
; COMPUTE_PGM_RSRC2:TGID_Z_EN: 0
; COMPUTE_PGM_RSRC2:TIDIG_COMP_CNT: 2
; COMPUTE_PGM_RSRC3_GFX90A:ACCUM_OFFSET: 9
; COMPUTE_PGM_RSRC3_GFX90A:TG_SPLIT: 0
	.section	.text._ZN7rocprim17ROCPRIM_304000_NS6detail25onesweep_iteration_kernelINS1_34wrapped_radix_sort_onesweep_configINS0_14default_configEaN2at4cuda3cub6detail10OpaqueTypeILi8EEEEELb0EPaSC_PSA_SD_mNS0_19identity_decomposerEEEvT1_T2_T3_T4_jPT5_SK_PNS1_23onesweep_lookback_stateET6_jjj,"axG",@progbits,_ZN7rocprim17ROCPRIM_304000_NS6detail25onesweep_iteration_kernelINS1_34wrapped_radix_sort_onesweep_configINS0_14default_configEaN2at4cuda3cub6detail10OpaqueTypeILi8EEEEELb0EPaSC_PSA_SD_mNS0_19identity_decomposerEEEvT1_T2_T3_T4_jPT5_SK_PNS1_23onesweep_lookback_stateET6_jjj,comdat
	.protected	_ZN7rocprim17ROCPRIM_304000_NS6detail25onesweep_iteration_kernelINS1_34wrapped_radix_sort_onesweep_configINS0_14default_configEaN2at4cuda3cub6detail10OpaqueTypeILi8EEEEELb0EPaSC_PSA_SD_mNS0_19identity_decomposerEEEvT1_T2_T3_T4_jPT5_SK_PNS1_23onesweep_lookback_stateET6_jjj ; -- Begin function _ZN7rocprim17ROCPRIM_304000_NS6detail25onesweep_iteration_kernelINS1_34wrapped_radix_sort_onesweep_configINS0_14default_configEaN2at4cuda3cub6detail10OpaqueTypeILi8EEEEELb0EPaSC_PSA_SD_mNS0_19identity_decomposerEEEvT1_T2_T3_T4_jPT5_SK_PNS1_23onesweep_lookback_stateET6_jjj
	.globl	_ZN7rocprim17ROCPRIM_304000_NS6detail25onesweep_iteration_kernelINS1_34wrapped_radix_sort_onesweep_configINS0_14default_configEaN2at4cuda3cub6detail10OpaqueTypeILi8EEEEELb0EPaSC_PSA_SD_mNS0_19identity_decomposerEEEvT1_T2_T3_T4_jPT5_SK_PNS1_23onesweep_lookback_stateET6_jjj
	.p2align	8
	.type	_ZN7rocprim17ROCPRIM_304000_NS6detail25onesweep_iteration_kernelINS1_34wrapped_radix_sort_onesweep_configINS0_14default_configEaN2at4cuda3cub6detail10OpaqueTypeILi8EEEEELb0EPaSC_PSA_SD_mNS0_19identity_decomposerEEEvT1_T2_T3_T4_jPT5_SK_PNS1_23onesweep_lookback_stateET6_jjj,@function
_ZN7rocprim17ROCPRIM_304000_NS6detail25onesweep_iteration_kernelINS1_34wrapped_radix_sort_onesweep_configINS0_14default_configEaN2at4cuda3cub6detail10OpaqueTypeILi8EEEEELb0EPaSC_PSA_SD_mNS0_19identity_decomposerEEEvT1_T2_T3_T4_jPT5_SK_PNS1_23onesweep_lookback_stateET6_jjj: ; @_ZN7rocprim17ROCPRIM_304000_NS6detail25onesweep_iteration_kernelINS1_34wrapped_radix_sort_onesweep_configINS0_14default_configEaN2at4cuda3cub6detail10OpaqueTypeILi8EEEEELb0EPaSC_PSA_SD_mNS0_19identity_decomposerEEEvT1_T2_T3_T4_jPT5_SK_PNS1_23onesweep_lookback_stateET6_jjj
; %bb.0:
	s_load_dwordx4 s[48:51], s[4:5], 0x44
	s_load_dwordx8 s[36:43], s[4:5], 0x0
	s_load_dwordx4 s[44:47], s[4:5], 0x28
	s_load_dwordx2 s[34:35], s[4:5], 0x38
	s_mul_i32 s30, s6, 0xc00
	s_waitcnt lgkmcnt(0)
	s_cmp_ge_u32 s6, s50
	v_mbcnt_lo_u32_b32 v1, -1, 0
	s_cbranch_scc0 .LBB49_86
; %bb.1:
	s_load_dword s0, s[4:5], 0x20
	s_mul_i32 s33, s50, 0xfffff400
	v_and_b32_e32 v2, 0x3ff, v0
	v_mbcnt_hi_u32_b32 v6, -1, v1
	v_and_b32_e32 v3, 0x1c0, v2
	s_waitcnt lgkmcnt(0)
	s_add_i32 s33, s33, s0
	s_add_u32 s0, s36, s30
	s_addc_u32 s1, s37, 0
	v_mov_b32_e32 v5, s1
	v_add_co_u32_e32 v7, vcc, s0, v6
	v_mul_u32_u24_e32 v4, 6, v3
	v_addc_co_u32_e32 v5, vcc, 0, v5, vcc
	v_add_co_u32_e32 v8, vcc, v7, v4
	v_addc_co_u32_e32 v9, vcc, 0, v5, vcc
	v_or_b32_e32 v7, v6, v4
	s_mov_b32 s31, 0
	v_cmp_gt_u32_e32 vcc, s33, v7
	v_mov_b32_e32 v5, 0x7f
	v_mov_b32_e32 v12, 0x7f
	;; [unrolled: 1-line block ×6, first 2 shown]
	s_and_saveexec_b64 s[0:1], vcc
	s_cbranch_execz .LBB49_3
; %bb.2:
	global_load_ubyte v5, v[8:9], off
	v_mov_b32_e32 v14, 0x7f
	v_mov_b32_e32 v21, 0x7f
	;; [unrolled: 1-line block ×5, first 2 shown]
.LBB49_3:
	s_or_b64 exec, exec, s[0:1]
	v_add_u32_e32 v10, 64, v7
	v_cmp_gt_u32_e64 s[0:1], s33, v10
	s_and_saveexec_b64 s[2:3], s[0:1]
	s_cbranch_execz .LBB49_5
; %bb.4:
	global_load_ubyte v14, v[8:9], off offset:64
.LBB49_5:
	s_or_b64 exec, exec, s[2:3]
	v_add_u32_e32 v10, 0x80, v7
	v_cmp_gt_u32_e64 s[2:3], s33, v10
	s_and_saveexec_b64 s[8:9], s[2:3]
	s_cbranch_execz .LBB49_7
; %bb.6:
	global_load_ubyte v21, v[8:9], off offset:128
.LBB49_7:
	;; [unrolled: 8-line block ×5, first 2 shown]
	s_or_b64 exec, exec, s[12:13]
	s_load_dword s12, s[4:5], 0x5c
	s_load_dword s7, s[4:5], 0x50
	s_add_u32 s13, s4, 0x50
	s_addc_u32 s14, s5, 0
	v_mov_b32_e32 v8, 0
	s_waitcnt lgkmcnt(0)
	s_lshr_b32 s15, s12, 16
	s_cmp_lt_u32 s6, s7
	s_cselect_b32 s12, 12, 18
	s_add_u32 s12, s13, s12
	s_addc_u32 s13, s14, 0
	global_load_ushort v10, v8, s[12:13]
	s_waitcnt vmcnt(1)
	v_xor_b32_e32 v5, 0xffffff80, v5
	s_lshl_b32 s12, -1, s49
	v_lshrrev_b32_sdwa v13, s48, v5 dst_sel:DWORD dst_unused:UNUSED_PAD src0_sel:DWORD src1_sel:BYTE_0
	s_not_b32 s52, s12
	v_and_b32_e32 v13, s52, v13
	v_and_b32_e32 v17, 1, v13
	v_bfe_u32 v9, v0, 10, 10
	v_bfe_u32 v11, v0, 20, 10
	v_add_co_u32_e64 v18, s[12:13], -1, v17
	v_mad_u32_u24 v11, v11, s15, v9
	v_lshlrev_b32_e32 v9, 30, v13
	v_addc_co_u32_e64 v19, s[12:13], 0, -1, s[12:13]
	v_cmp_ne_u32_e64 s[12:13], 0, v17
	v_cmp_gt_i64_e64 s[14:15], 0, v[8:9]
	v_not_b32_e32 v17, v9
	v_lshlrev_b32_e32 v9, 29, v13
	v_xor_b32_e32 v19, s13, v19
	v_xor_b32_e32 v18, s12, v18
	v_ashrrev_i32_e32 v17, 31, v17
	v_cmp_gt_i64_e64 s[12:13], 0, v[8:9]
	v_not_b32_e32 v22, v9
	v_lshlrev_b32_e32 v9, 28, v13
	v_and_b32_e32 v19, exec_hi, v19
	v_and_b32_e32 v18, exec_lo, v18
	v_xor_b32_e32 v23, s15, v17
	v_xor_b32_e32 v17, s14, v17
	v_ashrrev_i32_e32 v22, 31, v22
	v_cmp_gt_i64_e64 s[14:15], 0, v[8:9]
	v_not_b32_e32 v24, v9
	v_lshlrev_b32_e32 v9, 27, v13
	v_and_b32_e32 v19, v19, v23
	v_and_b32_e32 v17, v18, v17
	v_xor_b32_e32 v18, s13, v22
	v_xor_b32_e32 v22, s12, v22
	v_ashrrev_i32_e32 v23, 31, v24
	v_cmp_gt_i64_e64 s[12:13], 0, v[8:9]
	v_not_b32_e32 v24, v9
	v_lshlrev_b32_e32 v9, 26, v13
	v_and_b32_e32 v18, v19, v18
	v_and_b32_e32 v17, v17, v22
	;; [unrolled: 8-line block ×3, first 2 shown]
	v_xor_b32_e32 v19, s13, v23
	v_xor_b32_e32 v22, s12, v23
	v_ashrrev_i32_e32 v23, 31, v24
	v_cmp_gt_i64_e64 s[12:13], 0, v[8:9]
	v_not_b32_e32 v24, v9
	v_lshlrev_b32_e32 v9, 24, v13
	v_mul_u32_u24_e32 v15, 9, v13
	v_and_b32_e32 v13, v18, v19
	v_and_b32_e32 v17, v17, v22
	v_xor_b32_e32 v18, s15, v23
	v_xor_b32_e32 v19, s14, v23
	v_ashrrev_i32_e32 v22, 31, v24
	v_cmp_gt_i64_e64 s[14:15], 0, v[8:9]
	v_not_b32_e32 v9, v9
	v_and_b32_e32 v13, v13, v18
	v_and_b32_e32 v17, v17, v19
	v_xor_b32_e32 v18, s13, v22
	v_xor_b32_e32 v19, s12, v22
	v_ashrrev_i32_e32 v9, 31, v9
	v_and_b32_e32 v13, v13, v18
	v_and_b32_e32 v18, v17, v19
	v_mul_u32_u24_e32 v7, 5, v2
	v_lshlrev_b32_e32 v7, 2, v7
	ds_write2_b32 v7, v8, v8 offset0:8 offset1:9
	ds_write2_b32 v7, v8, v8 offset0:10 offset1:11
	ds_write_b32 v7, v8 offset:48
	s_waitcnt lgkmcnt(0)
	s_barrier
	s_waitcnt lgkmcnt(0)
	; wave barrier
	s_waitcnt vmcnt(0)
	v_mad_u64_u32 v[10:11], s[12:13], v11, v10, v[2:3]
	v_lshrrev_b32_e32 v27, 6, v10
	v_xor_b32_e32 v10, s15, v9
	v_xor_b32_e32 v9, s14, v9
	v_and_b32_e32 v11, v13, v10
	v_and_b32_e32 v10, v18, v9
	v_mbcnt_lo_u32_b32 v9, v10, 0
	v_mbcnt_hi_u32_b32 v13, v11, v9
	v_cmp_eq_u32_e64 s[12:13], 0, v13
	v_cmp_ne_u64_e64 s[14:15], 0, v[10:11]
	v_add_lshl_u32 v17, v27, v15, 2
	s_and_b64 s[14:15], s[14:15], s[12:13]
	s_and_saveexec_b64 s[12:13], s[14:15]
	s_cbranch_execz .LBB49_15
; %bb.14:
	v_bcnt_u32_b32 v9, v10, 0
	v_bcnt_u32_b32 v9, v11, v9
	ds_write_b32 v17, v9 offset:32
.LBB49_15:
	s_or_b64 exec, exec, s[12:13]
	v_xor_b32_e32 v14, 0xffffff80, v14
	v_lshrrev_b32_sdwa v9, s48, v14 dst_sel:DWORD dst_unused:UNUSED_PAD src0_sel:DWORD src1_sel:BYTE_0
	v_and_b32_e32 v10, s52, v9
	v_mul_u32_u24_e32 v9, 9, v10
	v_add_lshl_u32 v18, v27, v9, 2
	v_and_b32_e32 v9, 1, v10
	v_add_co_u32_e64 v11, s[12:13], -1, v9
	v_addc_co_u32_e64 v19, s[12:13], 0, -1, s[12:13]
	v_cmp_ne_u32_e64 s[12:13], 0, v9
	v_xor_b32_e32 v9, s13, v19
	v_and_b32_e32 v19, exec_hi, v9
	v_lshlrev_b32_e32 v9, 30, v10
	v_xor_b32_e32 v11, s12, v11
	v_cmp_gt_i64_e64 s[12:13], 0, v[8:9]
	v_not_b32_e32 v9, v9
	v_ashrrev_i32_e32 v9, 31, v9
	v_and_b32_e32 v11, exec_lo, v11
	v_xor_b32_e32 v22, s13, v9
	v_xor_b32_e32 v9, s12, v9
	v_and_b32_e32 v11, v11, v9
	v_lshlrev_b32_e32 v9, 29, v10
	v_cmp_gt_i64_e64 s[12:13], 0, v[8:9]
	v_not_b32_e32 v9, v9
	v_ashrrev_i32_e32 v9, 31, v9
	v_and_b32_e32 v19, v19, v22
	v_xor_b32_e32 v22, s13, v9
	v_xor_b32_e32 v9, s12, v9
	v_and_b32_e32 v11, v11, v9
	v_lshlrev_b32_e32 v9, 28, v10
	v_cmp_gt_i64_e64 s[12:13], 0, v[8:9]
	v_not_b32_e32 v9, v9
	v_ashrrev_i32_e32 v9, 31, v9
	v_and_b32_e32 v19, v19, v22
	;; [unrolled: 8-line block ×5, first 2 shown]
	v_xor_b32_e32 v22, s13, v9
	v_xor_b32_e32 v9, s12, v9
	v_and_b32_e32 v11, v11, v9
	v_lshlrev_b32_e32 v9, 24, v10
	v_cmp_gt_i64_e64 s[12:13], 0, v[8:9]
	v_not_b32_e32 v8, v9
	v_ashrrev_i32_e32 v8, 31, v8
	v_xor_b32_e32 v9, s13, v8
	v_xor_b32_e32 v8, s12, v8
	; wave barrier
	ds_read_b32 v15, v18 offset:32
	v_and_b32_e32 v19, v19, v22
	v_and_b32_e32 v8, v11, v8
	;; [unrolled: 1-line block ×3, first 2 shown]
	v_mbcnt_lo_u32_b32 v10, v8, 0
	v_mbcnt_hi_u32_b32 v19, v9, v10
	v_cmp_eq_u32_e64 s[12:13], 0, v19
	v_cmp_ne_u64_e64 s[14:15], 0, v[8:9]
	s_and_b64 s[14:15], s[14:15], s[12:13]
	; wave barrier
	s_and_saveexec_b64 s[12:13], s[14:15]
	s_cbranch_execz .LBB49_17
; %bb.16:
	v_bcnt_u32_b32 v8, v8, 0
	v_bcnt_u32_b32 v8, v9, v8
	s_waitcnt lgkmcnt(0)
	v_add_u32_e32 v8, v15, v8
	ds_write_b32 v18, v8 offset:32
.LBB49_17:
	s_or_b64 exec, exec, s[12:13]
	v_xor_b32_e32 v21, 0xffffff80, v21
	v_lshrrev_b32_sdwa v8, s48, v21 dst_sel:DWORD dst_unused:UNUSED_PAD src0_sel:DWORD src1_sel:BYTE_0
	v_and_b32_e32 v10, s52, v8
	v_and_b32_e32 v9, 1, v10
	v_add_co_u32_e64 v11, s[12:13], -1, v9
	v_addc_co_u32_e64 v24, s[12:13], 0, -1, s[12:13]
	v_cmp_ne_u32_e64 s[12:13], 0, v9
	v_mul_u32_u24_e32 v8, 9, v10
	v_xor_b32_e32 v9, s13, v24
	v_add_lshl_u32 v23, v27, v8, 2
	v_mov_b32_e32 v8, 0
	v_and_b32_e32 v24, exec_hi, v9
	v_lshlrev_b32_e32 v9, 30, v10
	v_xor_b32_e32 v11, s12, v11
	v_cmp_gt_i64_e64 s[12:13], 0, v[8:9]
	v_not_b32_e32 v9, v9
	v_ashrrev_i32_e32 v9, 31, v9
	v_and_b32_e32 v11, exec_lo, v11
	v_xor_b32_e32 v25, s13, v9
	v_xor_b32_e32 v9, s12, v9
	v_and_b32_e32 v11, v11, v9
	v_lshlrev_b32_e32 v9, 29, v10
	v_cmp_gt_i64_e64 s[12:13], 0, v[8:9]
	v_not_b32_e32 v9, v9
	v_ashrrev_i32_e32 v9, 31, v9
	v_and_b32_e32 v24, v24, v25
	v_xor_b32_e32 v25, s13, v9
	v_xor_b32_e32 v9, s12, v9
	v_and_b32_e32 v11, v11, v9
	v_lshlrev_b32_e32 v9, 28, v10
	v_cmp_gt_i64_e64 s[12:13], 0, v[8:9]
	v_not_b32_e32 v9, v9
	v_ashrrev_i32_e32 v9, 31, v9
	v_and_b32_e32 v24, v24, v25
	;; [unrolled: 8-line block ×5, first 2 shown]
	v_xor_b32_e32 v25, s13, v9
	v_xor_b32_e32 v9, s12, v9
	v_and_b32_e32 v24, v24, v25
	v_and_b32_e32 v25, v11, v9
	v_lshlrev_b32_e32 v9, 24, v10
	v_cmp_gt_i64_e64 s[12:13], 0, v[8:9]
	v_not_b32_e32 v9, v9
	v_ashrrev_i32_e32 v9, 31, v9
	v_xor_b32_e32 v10, s13, v9
	v_xor_b32_e32 v9, s12, v9
	; wave barrier
	ds_read_b32 v22, v23 offset:32
	v_and_b32_e32 v11, v24, v10
	v_and_b32_e32 v10, v25, v9
	v_mbcnt_lo_u32_b32 v9, v10, 0
	v_mbcnt_hi_u32_b32 v24, v11, v9
	v_cmp_eq_u32_e64 s[12:13], 0, v24
	v_cmp_ne_u64_e64 s[14:15], 0, v[10:11]
	s_and_b64 s[14:15], s[14:15], s[12:13]
	; wave barrier
	s_and_saveexec_b64 s[12:13], s[14:15]
	s_cbranch_execz .LBB49_19
; %bb.18:
	v_bcnt_u32_b32 v9, v10, 0
	v_bcnt_u32_b32 v9, v11, v9
	s_waitcnt lgkmcnt(0)
	v_add_u32_e32 v9, v22, v9
	ds_write_b32 v23, v9 offset:32
.LBB49_19:
	s_or_b64 exec, exec, s[12:13]
	v_xor_b32_e32 v25, 0xffffff80, v20
	v_lshrrev_b32_sdwa v9, s48, v25 dst_sel:DWORD dst_unused:UNUSED_PAD src0_sel:DWORD src1_sel:BYTE_0
	v_and_b32_e32 v10, s52, v9
	v_mul_u32_u24_e32 v9, 9, v10
	v_add_lshl_u32 v20, v27, v9, 2
	v_and_b32_e32 v9, 1, v10
	v_add_co_u32_e64 v11, s[12:13], -1, v9
	v_addc_co_u32_e64 v28, s[12:13], 0, -1, s[12:13]
	v_cmp_ne_u32_e64 s[12:13], 0, v9
	v_xor_b32_e32 v9, s13, v28
	v_and_b32_e32 v28, exec_hi, v9
	v_lshlrev_b32_e32 v9, 30, v10
	v_xor_b32_e32 v11, s12, v11
	v_cmp_gt_i64_e64 s[12:13], 0, v[8:9]
	v_not_b32_e32 v9, v9
	v_ashrrev_i32_e32 v9, 31, v9
	v_and_b32_e32 v11, exec_lo, v11
	v_xor_b32_e32 v29, s13, v9
	v_xor_b32_e32 v9, s12, v9
	v_and_b32_e32 v11, v11, v9
	v_lshlrev_b32_e32 v9, 29, v10
	v_cmp_gt_i64_e64 s[12:13], 0, v[8:9]
	v_not_b32_e32 v9, v9
	v_ashrrev_i32_e32 v9, 31, v9
	v_and_b32_e32 v28, v28, v29
	v_xor_b32_e32 v29, s13, v9
	v_xor_b32_e32 v9, s12, v9
	v_and_b32_e32 v11, v11, v9
	v_lshlrev_b32_e32 v9, 28, v10
	v_cmp_gt_i64_e64 s[12:13], 0, v[8:9]
	v_not_b32_e32 v9, v9
	v_ashrrev_i32_e32 v9, 31, v9
	v_and_b32_e32 v28, v28, v29
	;; [unrolled: 8-line block ×5, first 2 shown]
	v_xor_b32_e32 v29, s13, v9
	v_xor_b32_e32 v9, s12, v9
	v_and_b32_e32 v11, v11, v9
	v_lshlrev_b32_e32 v9, 24, v10
	v_cmp_gt_i64_e64 s[12:13], 0, v[8:9]
	v_not_b32_e32 v8, v9
	v_ashrrev_i32_e32 v8, 31, v8
	v_xor_b32_e32 v9, s13, v8
	v_xor_b32_e32 v8, s12, v8
	; wave barrier
	ds_read_b32 v26, v20 offset:32
	v_and_b32_e32 v28, v28, v29
	v_and_b32_e32 v8, v11, v8
	v_and_b32_e32 v9, v28, v9
	v_mbcnt_lo_u32_b32 v10, v8, 0
	v_mbcnt_hi_u32_b32 v29, v9, v10
	v_cmp_eq_u32_e64 s[12:13], 0, v29
	v_cmp_ne_u64_e64 s[14:15], 0, v[8:9]
	s_and_b64 s[14:15], s[14:15], s[12:13]
	; wave barrier
	s_and_saveexec_b64 s[12:13], s[14:15]
	s_cbranch_execz .LBB49_21
; %bb.20:
	v_bcnt_u32_b32 v8, v8, 0
	v_bcnt_u32_b32 v8, v9, v8
	s_waitcnt lgkmcnt(0)
	v_add_u32_e32 v8, v26, v8
	ds_write_b32 v20, v8 offset:32
.LBB49_21:
	s_or_b64 exec, exec, s[12:13]
	v_xor_b32_e32 v16, 0xffffff80, v16
	v_lshrrev_b32_sdwa v8, s48, v16 dst_sel:DWORD dst_unused:UNUSED_PAD src0_sel:DWORD src1_sel:BYTE_0
	v_and_b32_e32 v10, s52, v8
	v_and_b32_e32 v9, 1, v10
	v_add_co_u32_e64 v11, s[12:13], -1, v9
	v_addc_co_u32_e64 v31, s[12:13], 0, -1, s[12:13]
	v_cmp_ne_u32_e64 s[12:13], 0, v9
	v_mul_u32_u24_e32 v8, 9, v10
	v_xor_b32_e32 v9, s13, v31
	v_add_lshl_u32 v28, v27, v8, 2
	v_mov_b32_e32 v8, 0
	v_and_b32_e32 v31, exec_hi, v9
	v_lshlrev_b32_e32 v9, 30, v10
	v_xor_b32_e32 v11, s12, v11
	v_cmp_gt_i64_e64 s[12:13], 0, v[8:9]
	v_not_b32_e32 v9, v9
	v_ashrrev_i32_e32 v9, 31, v9
	v_and_b32_e32 v11, exec_lo, v11
	v_xor_b32_e32 v32, s13, v9
	v_xor_b32_e32 v9, s12, v9
	v_and_b32_e32 v11, v11, v9
	v_lshlrev_b32_e32 v9, 29, v10
	v_cmp_gt_i64_e64 s[12:13], 0, v[8:9]
	v_not_b32_e32 v9, v9
	v_ashrrev_i32_e32 v9, 31, v9
	v_and_b32_e32 v31, v31, v32
	v_xor_b32_e32 v32, s13, v9
	v_xor_b32_e32 v9, s12, v9
	v_and_b32_e32 v11, v11, v9
	v_lshlrev_b32_e32 v9, 28, v10
	v_cmp_gt_i64_e64 s[12:13], 0, v[8:9]
	v_not_b32_e32 v9, v9
	v_ashrrev_i32_e32 v9, 31, v9
	v_and_b32_e32 v31, v31, v32
	;; [unrolled: 8-line block ×5, first 2 shown]
	v_xor_b32_e32 v32, s13, v9
	v_xor_b32_e32 v9, s12, v9
	v_and_b32_e32 v31, v31, v32
	v_and_b32_e32 v32, v11, v9
	v_lshlrev_b32_e32 v9, 24, v10
	v_cmp_gt_i64_e64 s[12:13], 0, v[8:9]
	v_not_b32_e32 v9, v9
	v_ashrrev_i32_e32 v9, 31, v9
	v_xor_b32_e32 v10, s13, v9
	v_xor_b32_e32 v9, s12, v9
	; wave barrier
	ds_read_b32 v30, v28 offset:32
	v_and_b32_e32 v11, v31, v10
	v_and_b32_e32 v10, v32, v9
	v_mbcnt_lo_u32_b32 v9, v10, 0
	v_mbcnt_hi_u32_b32 v31, v11, v9
	v_cmp_eq_u32_e64 s[12:13], 0, v31
	v_cmp_ne_u64_e64 s[14:15], 0, v[10:11]
	s_and_b64 s[14:15], s[14:15], s[12:13]
	; wave barrier
	s_and_saveexec_b64 s[12:13], s[14:15]
	s_cbranch_execz .LBB49_23
; %bb.22:
	v_bcnt_u32_b32 v9, v10, 0
	v_bcnt_u32_b32 v9, v11, v9
	s_waitcnt lgkmcnt(0)
	v_add_u32_e32 v9, v30, v9
	ds_write_b32 v28, v9 offset:32
.LBB49_23:
	s_or_b64 exec, exec, s[12:13]
	v_xor_b32_e32 v12, 0xffffff80, v12
	v_lshrrev_b32_sdwa v9, s48, v12 dst_sel:DWORD dst_unused:UNUSED_PAD src0_sel:DWORD src1_sel:BYTE_0
	v_and_b32_e32 v10, s52, v9
	v_mul_u32_u24_e32 v9, 9, v10
	v_add_lshl_u32 v27, v27, v9, 2
	v_and_b32_e32 v9, 1, v10
	v_add_co_u32_e64 v11, s[12:13], -1, v9
	v_addc_co_u32_e64 v34, s[12:13], 0, -1, s[12:13]
	v_cmp_ne_u32_e64 s[12:13], 0, v9
	v_xor_b32_e32 v9, s13, v34
	v_and_b32_e32 v34, exec_hi, v9
	v_lshlrev_b32_e32 v9, 30, v10
	v_xor_b32_e32 v11, s12, v11
	v_cmp_gt_i64_e64 s[12:13], 0, v[8:9]
	v_not_b32_e32 v9, v9
	v_ashrrev_i32_e32 v9, 31, v9
	v_and_b32_e32 v11, exec_lo, v11
	v_xor_b32_e32 v35, s13, v9
	v_xor_b32_e32 v9, s12, v9
	v_and_b32_e32 v11, v11, v9
	v_lshlrev_b32_e32 v9, 29, v10
	v_cmp_gt_i64_e64 s[12:13], 0, v[8:9]
	v_not_b32_e32 v9, v9
	v_ashrrev_i32_e32 v9, 31, v9
	v_and_b32_e32 v34, v34, v35
	v_xor_b32_e32 v35, s13, v9
	v_xor_b32_e32 v9, s12, v9
	v_and_b32_e32 v11, v11, v9
	v_lshlrev_b32_e32 v9, 28, v10
	v_cmp_gt_i64_e64 s[12:13], 0, v[8:9]
	v_not_b32_e32 v9, v9
	v_ashrrev_i32_e32 v9, 31, v9
	v_and_b32_e32 v34, v34, v35
	;; [unrolled: 8-line block ×5, first 2 shown]
	v_xor_b32_e32 v35, s13, v9
	v_xor_b32_e32 v9, s12, v9
	v_and_b32_e32 v11, v11, v9
	v_lshlrev_b32_e32 v9, 24, v10
	v_cmp_gt_i64_e64 s[12:13], 0, v[8:9]
	v_not_b32_e32 v8, v9
	v_ashrrev_i32_e32 v8, 31, v8
	v_xor_b32_e32 v9, s13, v8
	v_xor_b32_e32 v8, s12, v8
	; wave barrier
	ds_read_b32 v32, v27 offset:32
	v_and_b32_e32 v34, v34, v35
	v_and_b32_e32 v8, v11, v8
	;; [unrolled: 1-line block ×3, first 2 shown]
	v_mbcnt_lo_u32_b32 v10, v8, 0
	v_mbcnt_hi_u32_b32 v34, v9, v10
	v_cmp_eq_u32_e64 s[12:13], 0, v34
	v_cmp_ne_u64_e64 s[14:15], 0, v[8:9]
	v_add_u32_e32 v33, 32, v7
	s_and_b64 s[14:15], s[14:15], s[12:13]
	; wave barrier
	s_and_saveexec_b64 s[12:13], s[14:15]
	s_cbranch_execz .LBB49_25
; %bb.24:
	v_bcnt_u32_b32 v8, v8, 0
	v_bcnt_u32_b32 v8, v9, v8
	s_waitcnt lgkmcnt(0)
	v_add_u32_e32 v8, v32, v8
	ds_write_b32 v27, v8 offset:32
.LBB49_25:
	s_or_b64 exec, exec, s[12:13]
	; wave barrier
	s_waitcnt lgkmcnt(0)
	s_barrier
	ds_read2_b32 v[10:11], v7 offset0:8 offset1:9
	ds_read2_b32 v[8:9], v33 offset0:2 offset1:3
	ds_read_b32 v35, v33 offset:16
	v_min_u32_e32 v3, 0x1c0, v3
	v_or_b32_e32 v3, 63, v3
	s_waitcnt lgkmcnt(1)
	v_add3_u32 v36, v11, v10, v8
	s_waitcnt lgkmcnt(0)
	v_add3_u32 v35, v36, v9, v35
	v_and_b32_e32 v36, 15, v6
	v_cmp_ne_u32_e64 s[12:13], 0, v36
	v_mov_b32_dpp v37, v35 row_shr:1 row_mask:0xf bank_mask:0xf
	v_cndmask_b32_e64 v37, 0, v37, s[12:13]
	v_add_u32_e32 v35, v37, v35
	v_cmp_lt_u32_e64 s[12:13], 1, v36
	s_nop 0
	v_mov_b32_dpp v37, v35 row_shr:2 row_mask:0xf bank_mask:0xf
	v_cndmask_b32_e64 v37, 0, v37, s[12:13]
	v_add_u32_e32 v35, v35, v37
	v_cmp_lt_u32_e64 s[12:13], 3, v36
	s_nop 0
	;; [unrolled: 5-line block ×3, first 2 shown]
	v_mov_b32_dpp v37, v35 row_shr:8 row_mask:0xf bank_mask:0xf
	v_cndmask_b32_e64 v36, 0, v37, s[12:13]
	v_add_u32_e32 v35, v35, v36
	v_bfe_i32 v37, v6, 4, 1
	v_cmp_lt_u32_e64 s[12:13], 31, v6
	v_mov_b32_dpp v36, v35 row_bcast:15 row_mask:0xf bank_mask:0xf
	v_and_b32_e32 v36, v37, v36
	v_add_u32_e32 v35, v35, v36
	s_nop 1
	v_mov_b32_dpp v36, v35 row_bcast:31 row_mask:0xf bank_mask:0xf
	v_cndmask_b32_e64 v36, 0, v36, s[12:13]
	v_add_u32_e32 v35, v35, v36
	v_lshrrev_b32_e32 v36, 6, v2
	v_cmp_eq_u32_e64 s[12:13], v3, v2
	s_and_saveexec_b64 s[14:15], s[12:13]
	s_cbranch_execz .LBB49_27
; %bb.26:
	v_lshlrev_b32_e32 v3, 2, v36
	ds_write_b32 v3, v35
.LBB49_27:
	s_or_b64 exec, exec, s[14:15]
	v_cmp_gt_u32_e64 s[12:13], 8, v2
	s_waitcnt lgkmcnt(0)
	s_barrier
	s_and_saveexec_b64 s[14:15], s[12:13]
	s_cbranch_execz .LBB49_29
; %bb.28:
	v_lshlrev_b32_e32 v3, 2, v2
	ds_read_b32 v37, v3
	v_and_b32_e32 v38, 7, v6
	v_cmp_ne_u32_e64 s[12:13], 0, v38
	s_waitcnt lgkmcnt(0)
	v_mov_b32_dpp v39, v37 row_shr:1 row_mask:0xf bank_mask:0xf
	v_cndmask_b32_e64 v39, 0, v39, s[12:13]
	v_add_u32_e32 v37, v39, v37
	v_cmp_lt_u32_e64 s[12:13], 1, v38
	s_nop 0
	v_mov_b32_dpp v39, v37 row_shr:2 row_mask:0xf bank_mask:0xf
	v_cndmask_b32_e64 v39, 0, v39, s[12:13]
	v_add_u32_e32 v37, v37, v39
	v_cmp_lt_u32_e64 s[12:13], 3, v38
	s_nop 0
	v_mov_b32_dpp v39, v37 row_shr:4 row_mask:0xf bank_mask:0xf
	v_cndmask_b32_e64 v38, 0, v39, s[12:13]
	v_add_u32_e32 v37, v37, v38
	ds_write_b32 v3, v37
.LBB49_29:
	s_or_b64 exec, exec, s[14:15]
	v_cmp_lt_u32_e64 s[12:13], 63, v2
	v_mov_b32_e32 v3, 0
	s_waitcnt lgkmcnt(0)
	s_barrier
	s_and_saveexec_b64 s[14:15], s[12:13]
	s_cbranch_execz .LBB49_31
; %bb.30:
	v_lshl_add_u32 v3, v36, 2, -4
	ds_read_b32 v3, v3
.LBB49_31:
	s_or_b64 exec, exec, s[14:15]
	v_add_u32_e32 v36, -1, v6
	v_and_b32_e32 v37, 64, v6
	v_cmp_lt_i32_e64 s[12:13], v36, v37
	v_cndmask_b32_e64 v36, v36, v6, s[12:13]
	s_waitcnt lgkmcnt(0)
	v_add_u32_e32 v35, v3, v35
	v_lshlrev_b32_e32 v36, 2, v36
	ds_bpermute_b32 v35, v36, v35
	v_cmp_eq_u32_e64 s[12:13], 0, v6
	s_waitcnt lgkmcnt(0)
	v_cndmask_b32_e64 v3, v35, v3, s[12:13]
	v_cmp_ne_u32_e64 s[12:13], 0, v2
	v_cndmask_b32_e64 v3, 0, v3, s[12:13]
	v_add_u32_e32 v10, v3, v10
	v_add_u32_e32 v11, v10, v11
	;; [unrolled: 1-line block ×4, first 2 shown]
	ds_write2_b32 v7, v3, v10 offset0:8 offset1:9
	ds_write2_b32 v33, v11, v8 offset0:2 offset1:3
	ds_write_b32 v33, v9 offset:16
	s_waitcnt lgkmcnt(0)
	s_barrier
	ds_read_b32 v3, v17 offset:32
	ds_read_b32 v7, v18 offset:32
	;; [unrolled: 1-line block ×6, first 2 shown]
	s_movk_i32 s12, 0x100
	v_cmp_gt_u32_e64 s[12:13], s12, v2
	v_pk_mov_b32 v[8:9], 0, 0
                                        ; implicit-def: $vgpr20
	s_and_saveexec_b64 s[16:17], s[12:13]
	s_cbranch_execz .LBB49_35
; %bb.32:
	v_mul_u32_u24_e32 v8, 9, v2
	v_lshlrev_b32_e32 v20, 2, v8
	ds_read_b32 v8, v20 offset:32
	s_movk_i32 s14, 0xff
	v_cmp_ne_u32_e64 s[14:15], s14, v2
	v_mov_b32_e32 v9, 0xc00
	s_and_saveexec_b64 s[18:19], s[14:15]
	s_cbranch_execz .LBB49_34
; %bb.33:
	ds_read_b32 v9, v20 offset:68
.LBB49_34:
	s_or_b64 exec, exec, s[18:19]
	s_waitcnt lgkmcnt(0)
	v_sub_u32_e32 v20, v9, v8
	v_mov_b32_e32 v9, 0
.LBB49_35:
	s_or_b64 exec, exec, s[16:17]
	s_waitcnt lgkmcnt(5)
	v_add_u32_e32 v28, v3, v13
	s_waitcnt lgkmcnt(4)
	v_add3_u32 v27, v19, v15, v7
	s_waitcnt lgkmcnt(3)
	v_add3_u32 v24, v24, v22, v10
	;; [unrolled: 2-line block ×5, first 2 shown]
	s_barrier
	ds_write_b8 v28, v5 offset:2048
	ds_write_b8 v27, v14 offset:2048
	;; [unrolled: 1-line block ×6, first 2 shown]
	s_waitcnt lgkmcnt(0)
	s_barrier
	s_and_saveexec_b64 s[16:17], s[12:13]
	s_cbranch_execz .LBB49_45
; %bb.36:
	v_lshl_or_b32 v10, s6, 8, v2
	v_mov_b32_e32 v11, 0
	v_lshlrev_b64 v[12:13], 2, v[10:11]
	v_mov_b32_e32 v5, s35
	v_add_co_u32_e64 v12, s[14:15], s34, v12
	v_addc_co_u32_e64 v13, s[14:15], v5, v13, s[14:15]
	v_or_b32_e32 v7, 2.0, v20
	global_store_dword v[12:13], v7, off
	s_mov_b64 s[18:19], 0
	s_brev_b32 s24, 1
	s_mov_b32 s25, s6
	v_mov_b32_e32 v7, 0
                                        ; implicit-def: $sgpr14_sgpr15
	s_branch .LBB49_38
.LBB49_37:                              ;   in Loop: Header=BB49_38 Depth=1
	s_or_b64 exec, exec, s[20:21]
	v_and_b32_e32 v14, 0x3fffffff, v16
	v_add_u32_e32 v7, v14, v7
	v_cmp_eq_u32_e64 s[14:15], s24, v10
	s_and_b64 s[20:21], exec, s[14:15]
	s_or_b64 s[18:19], s[20:21], s[18:19]
	s_andn2_b64 exec, exec, s[18:19]
	s_cbranch_execz .LBB49_44
.LBB49_38:                              ; =>This Loop Header: Depth=1
                                        ;     Child Loop BB49_41 Depth 2
	s_or_b64 s[14:15], s[14:15], exec
	s_cmp_eq_u32 s25, 0
	s_cbranch_scc1 .LBB49_43
; %bb.39:                               ;   in Loop: Header=BB49_38 Depth=1
	s_add_i32 s25, s25, -1
	v_lshl_or_b32 v10, s25, 8, v2
	v_lshlrev_b64 v[14:15], 2, v[10:11]
	v_add_co_u32_e64 v14, s[14:15], s34, v14
	v_addc_co_u32_e64 v15, s[14:15], v5, v15, s[14:15]
	global_load_dword v16, v[14:15], off glc
	s_waitcnt vmcnt(0)
	v_and_b32_e32 v10, -2.0, v16
	v_cmp_eq_u32_e64 s[14:15], 0, v10
	s_and_saveexec_b64 s[20:21], s[14:15]
	s_cbranch_execz .LBB49_37
; %bb.40:                               ;   in Loop: Header=BB49_38 Depth=1
	s_mov_b64 s[22:23], 0
.LBB49_41:                              ;   Parent Loop BB49_38 Depth=1
                                        ; =>  This Inner Loop Header: Depth=2
	global_load_dword v16, v[14:15], off glc
	s_waitcnt vmcnt(0)
	v_and_b32_e32 v10, -2.0, v16
	v_cmp_ne_u32_e64 s[14:15], 0, v10
	s_or_b64 s[22:23], s[14:15], s[22:23]
	s_andn2_b64 exec, exec, s[22:23]
	s_cbranch_execnz .LBB49_41
; %bb.42:                               ;   in Loop: Header=BB49_38 Depth=1
	s_or_b64 exec, exec, s[22:23]
	s_branch .LBB49_37
.LBB49_43:                              ;   in Loop: Header=BB49_38 Depth=1
                                        ; implicit-def: $sgpr25
	s_and_b64 s[20:21], exec, s[14:15]
	s_or_b64 s[18:19], s[20:21], s[18:19]
	s_andn2_b64 exec, exec, s[18:19]
	s_cbranch_execnz .LBB49_38
.LBB49_44:
	s_or_b64 exec, exec, s[18:19]
	v_add_u32_e32 v5, v7, v20
	v_or_b32_e32 v5, 0x80000000, v5
	global_store_dword v[12:13], v5, off
	v_lshlrev_b32_e32 v5, 3, v2
	global_load_dwordx2 v[10:11], v5, s[44:45]
	v_sub_co_u32_e64 v7, s[14:15], v7, v8
	v_subb_co_u32_e64 v12, s[14:15], 0, v9, s[14:15]
	s_waitcnt vmcnt(0)
	v_add_co_u32_e64 v10, s[14:15], v7, v10
	v_addc_co_u32_e64 v11, s[14:15], v12, v11, s[14:15]
	ds_write_b64 v5, v[10:11]
.LBB49_45:
	s_or_b64 exec, exec, s[16:17]
	v_cmp_gt_u32_e64 s[14:15], s33, v2
	s_waitcnt lgkmcnt(0)
	s_barrier
	s_and_saveexec_b64 s[18:19], s[14:15]
	s_cbranch_execz .LBB49_47
; %bb.46:
	ds_read_u8 v5, v2 offset:2048
	s_waitcnt lgkmcnt(0)
	v_lshrrev_b32_sdwa v7, s48, v5 dst_sel:DWORD dst_unused:UNUSED_PAD src0_sel:DWORD src1_sel:BYTE_0
	v_and_b32_e32 v7, s52, v7
	v_lshlrev_b32_e32 v7, 3, v7
	ds_read_b64 v[10:11], v7
	v_mov_b32_e32 v7, s39
	v_xor_b32_e32 v5, 0x80, v5
	s_waitcnt lgkmcnt(0)
	v_add_co_u32_e64 v10, s[16:17], s38, v10
	v_addc_co_u32_e64 v7, s[16:17], v7, v11, s[16:17]
	v_add_co_u32_e64 v10, s[16:17], v10, v2
	v_addc_co_u32_e64 v11, s[16:17], 0, v7, s[16:17]
	global_store_byte v[10:11], v5, off
.LBB49_47:
	s_or_b64 exec, exec, s[18:19]
	v_add_u32_e32 v21, 0x200, v2
	v_cmp_gt_u32_e64 s[16:17], s33, v21
	s_and_saveexec_b64 s[20:21], s[16:17]
	s_cbranch_execz .LBB49_49
; %bb.48:
	ds_read_u8 v5, v2 offset:2560
	s_waitcnt lgkmcnt(0)
	v_lshrrev_b32_sdwa v7, s48, v5 dst_sel:DWORD dst_unused:UNUSED_PAD src0_sel:DWORD src1_sel:BYTE_0
	v_and_b32_e32 v7, s52, v7
	v_lshlrev_b32_e32 v7, 3, v7
	ds_read_b64 v[10:11], v7
	v_mov_b32_e32 v7, s39
	v_xor_b32_e32 v5, 0x80, v5
	s_waitcnt lgkmcnt(0)
	v_add_co_u32_e64 v10, s[18:19], s38, v10
	v_addc_co_u32_e64 v7, s[18:19], v7, v11, s[18:19]
	v_add_co_u32_e64 v10, s[18:19], v10, v2
	v_addc_co_u32_e64 v11, s[18:19], 0, v7, s[18:19]
	global_store_byte v[10:11], v5, off offset:512
.LBB49_49:
	s_or_b64 exec, exec, s[20:21]
	v_or_b32_e32 v25, 0x400, v2
	v_cmp_gt_u32_e64 s[18:19], s33, v25
	s_and_saveexec_b64 s[22:23], s[18:19]
	s_cbranch_execz .LBB49_51
; %bb.50:
	ds_read_u8 v5, v2 offset:3072
	s_waitcnt lgkmcnt(0)
	v_lshrrev_b32_sdwa v7, s48, v5 dst_sel:DWORD dst_unused:UNUSED_PAD src0_sel:DWORD src1_sel:BYTE_0
	v_and_b32_e32 v7, s52, v7
	v_lshlrev_b32_e32 v7, 3, v7
	ds_read_b64 v[10:11], v7
	v_mov_b32_e32 v7, s39
	v_xor_b32_e32 v5, 0x80, v5
	s_waitcnt lgkmcnt(0)
	v_add_co_u32_e64 v10, s[20:21], s38, v10
	v_addc_co_u32_e64 v7, s[20:21], v7, v11, s[20:21]
	v_add_co_u32_e64 v10, s[20:21], v10, v2
	v_addc_co_u32_e64 v11, s[20:21], 0, v7, s[20:21]
	global_store_byte v[10:11], v5, off offset:1024
.LBB49_51:
	s_or_b64 exec, exec, s[22:23]
	v_add_u32_e32 v26, 0x600, v2
	v_cmp_gt_u32_e64 s[20:21], s33, v26
	s_and_saveexec_b64 s[24:25], s[20:21]
	s_cbranch_execz .LBB49_53
; %bb.52:
	ds_read_u8 v5, v2 offset:3584
	s_waitcnt lgkmcnt(0)
	v_lshrrev_b32_sdwa v7, s48, v5 dst_sel:DWORD dst_unused:UNUSED_PAD src0_sel:DWORD src1_sel:BYTE_0
	v_and_b32_e32 v7, s52, v7
	v_lshlrev_b32_e32 v7, 3, v7
	ds_read_b64 v[10:11], v7
	v_mov_b32_e32 v7, s39
	v_xor_b32_e32 v5, 0x80, v5
	s_waitcnt lgkmcnt(0)
	v_add_co_u32_e64 v10, s[22:23], s38, v10
	v_addc_co_u32_e64 v7, s[22:23], v7, v11, s[22:23]
	v_add_co_u32_e64 v10, s[22:23], v10, v2
	v_addc_co_u32_e64 v11, s[22:23], 0, v7, s[22:23]
	global_store_byte v[10:11], v5, off offset:1536
.LBB49_53:
	s_or_b64 exec, exec, s[24:25]
	v_or_b32_e32 v29, 0x800, v2
	v_cmp_gt_u32_e64 s[22:23], s33, v29
	s_and_saveexec_b64 s[28:29], s[22:23]
	s_cbranch_execz .LBB49_55
; %bb.54:
	ds_read_u8 v5, v2 offset:4096
	s_waitcnt lgkmcnt(0)
	v_lshrrev_b32_sdwa v7, s48, v5 dst_sel:DWORD dst_unused:UNUSED_PAD src0_sel:DWORD src1_sel:BYTE_0
	v_and_b32_e32 v7, s52, v7
	v_lshlrev_b32_e32 v7, 3, v7
	ds_read_b64 v[10:11], v7
	v_mov_b32_e32 v7, s39
	v_xor_b32_e32 v5, 0x80, v5
	s_waitcnt lgkmcnt(0)
	v_add_co_u32_e64 v10, s[24:25], s38, v10
	v_addc_co_u32_e64 v7, s[24:25], v7, v11, s[24:25]
	v_add_co_u32_e64 v10, s[24:25], v10, v2
	v_addc_co_u32_e64 v11, s[24:25], 0, v7, s[24:25]
	global_store_byte v[10:11], v5, off offset:2048
.LBB49_55:
	s_or_b64 exec, exec, s[28:29]
	v_add_u32_e32 v30, 0xa00, v2
	v_cmp_gt_u32_e64 s[24:25], s33, v30
	s_and_saveexec_b64 s[50:51], s[24:25]
	s_cbranch_execz .LBB49_57
; %bb.56:
	ds_read_u8 v5, v2 offset:4608
	s_waitcnt lgkmcnt(0)
	v_lshrrev_b32_sdwa v7, s48, v5 dst_sel:DWORD dst_unused:UNUSED_PAD src0_sel:DWORD src1_sel:BYTE_0
	v_and_b32_e32 v7, s52, v7
	v_lshlrev_b32_e32 v7, 3, v7
	ds_read_b64 v[10:11], v7
	v_mov_b32_e32 v7, s39
	v_xor_b32_e32 v5, 0x80, v5
	s_waitcnt lgkmcnt(0)
	v_add_co_u32_e64 v10, s[28:29], s38, v10
	v_addc_co_u32_e64 v7, s[28:29], v7, v11, s[28:29]
	v_add_co_u32_e64 v10, s[28:29], v10, v2
	v_addc_co_u32_e64 v11, s[28:29], 0, v7, s[28:29]
	global_store_byte v[10:11], v5, off offset:2560
.LBB49_57:
	s_or_b64 exec, exec, s[50:51]
	s_lshl_b64 s[28:29], s[30:31], 3
	s_add_u32 s28, s40, s28
	s_addc_u32 s29, s41, s29
	v_lshlrev_b32_e32 v5, 3, v6
	v_mov_b32_e32 v6, s29
	v_add_co_u32_e64 v5, s[28:29], s28, v5
	v_addc_co_u32_e64 v6, s[28:29], 0, v6, s[28:29]
	v_lshlrev_b32_e32 v4, 3, v4
	v_add_co_u32_e64 v18, s[28:29], v5, v4
	v_addc_co_u32_e64 v19, s[28:29], 0, v6, s[28:29]
                                        ; implicit-def: $vgpr4_vgpr5
	s_and_saveexec_b64 s[28:29], vcc
	s_xor_b64 s[28:29], exec, s[28:29]
	s_cbranch_execnz .LBB49_127
; %bb.58:
	s_or_b64 exec, exec, s[28:29]
                                        ; implicit-def: $vgpr6_vgpr7
	s_and_saveexec_b64 s[28:29], s[0:1]
	s_cbranch_execnz .LBB49_128
.LBB49_59:
	s_or_b64 exec, exec, s[28:29]
                                        ; implicit-def: $vgpr10_vgpr11
	s_and_saveexec_b64 s[0:1], s[2:3]
	s_cbranch_execnz .LBB49_129
.LBB49_60:
	s_or_b64 exec, exec, s[0:1]
                                        ; implicit-def: $vgpr12_vgpr13
	s_and_saveexec_b64 s[0:1], s[26:27]
	s_cbranch_execnz .LBB49_130
.LBB49_61:
	s_or_b64 exec, exec, s[0:1]
                                        ; implicit-def: $vgpr14_vgpr15
	s_and_saveexec_b64 s[0:1], s[8:9]
	s_cbranch_execnz .LBB49_131
.LBB49_62:
	s_or_b64 exec, exec, s[0:1]
                                        ; implicit-def: $vgpr16_vgpr17
	s_and_saveexec_b64 s[0:1], s[10:11]
	s_cbranch_execz .LBB49_64
.LBB49_63:
	global_load_dwordx2 v[16:17], v[18:19], off offset:2560
.LBB49_64:
	s_or_b64 exec, exec, s[0:1]
	v_mov_b32_e32 v32, 0
	v_mov_b32_e32 v34, 0
	s_and_saveexec_b64 s[0:1], s[14:15]
	s_cbranch_execz .LBB49_66
; %bb.65:
	ds_read_u8 v18, v2 offset:2048
	s_waitcnt lgkmcnt(0)
	v_lshrrev_b32_e32 v18, s48, v18
	v_and_b32_e32 v34, s52, v18
.LBB49_66:
	s_or_b64 exec, exec, s[0:1]
	s_and_saveexec_b64 s[0:1], s[16:17]
	s_cbranch_execz .LBB49_68
; %bb.67:
	ds_read_u8 v18, v2 offset:2560
	s_waitcnt lgkmcnt(0)
	v_lshrrev_b32_e32 v18, s48, v18
	v_and_b32_e32 v32, s52, v18
.LBB49_68:
	s_or_b64 exec, exec, s[0:1]
	v_mov_b32_e32 v19, 0
	v_mov_b32_e32 v33, 0
	s_and_saveexec_b64 s[0:1], s[18:19]
	s_cbranch_execz .LBB49_70
; %bb.69:
	ds_read_u8 v18, v2 offset:3072
	s_waitcnt lgkmcnt(0)
	v_lshrrev_b32_e32 v18, s48, v18
	v_and_b32_e32 v33, s52, v18
.LBB49_70:
	s_or_b64 exec, exec, s[0:1]
	s_and_saveexec_b64 s[0:1], s[20:21]
	s_cbranch_execz .LBB49_72
; %bb.71:
	ds_read_u8 v18, v2 offset:3584
	s_waitcnt lgkmcnt(0)
	v_lshrrev_b32_e32 v18, s48, v18
	v_and_b32_e32 v19, s52, v18
.LBB49_72:
	;; [unrolled: 20-line block ×3, first 2 shown]
	s_or_b64 exec, exec, s[0:1]
	v_lshlrev_b32_e32 v28, 3, v28
	s_barrier
	s_waitcnt vmcnt(0)
	ds_write_b64 v28, v[4:5] offset:2048
	v_lshlrev_b32_e32 v4, 3, v27
	ds_write_b64 v4, v[6:7] offset:2048
	v_lshlrev_b32_e32 v4, 3, v24
	;; [unrolled: 2-line block ×4, first 2 shown]
	v_lshlrev_b32_e32 v3, 3, v3
	ds_write_b64 v4, v[14:15] offset:2048
	ds_write_b64 v3, v[16:17] offset:2048
	v_lshlrev_b32_e32 v3, 3, v2
	s_waitcnt lgkmcnt(0)
	s_barrier
	s_and_saveexec_b64 s[0:1], s[14:15]
	s_cbranch_execnz .LBB49_132
; %bb.77:
	s_or_b64 exec, exec, s[0:1]
	s_and_saveexec_b64 s[0:1], s[16:17]
	s_cbranch_execnz .LBB49_133
.LBB49_78:
	s_or_b64 exec, exec, s[0:1]
	s_and_saveexec_b64 s[0:1], s[18:19]
	s_cbranch_execnz .LBB49_134
.LBB49_79:
	s_or_b64 exec, exec, s[0:1]
	s_and_saveexec_b64 s[0:1], s[20:21]
	s_cbranch_execnz .LBB49_135
.LBB49_80:
	s_or_b64 exec, exec, s[0:1]
	s_and_saveexec_b64 s[0:1], s[22:23]
	s_cbranch_execnz .LBB49_136
.LBB49_81:
	s_or_b64 exec, exec, s[0:1]
	s_and_saveexec_b64 s[0:1], s[24:25]
	s_cbranch_execz .LBB49_83
.LBB49_82:
	v_lshlrev_b32_e32 v4, 3, v18
	ds_read_b64 v[4:5], v4
	ds_read_b64 v[6:7], v3 offset:22528
	v_mov_b32_e32 v3, s43
	s_waitcnt lgkmcnt(1)
	v_lshlrev_b64 v[4:5], 3, v[4:5]
	v_add_co_u32_e32 v4, vcc, s42, v4
	v_addc_co_u32_e32 v3, vcc, v3, v5, vcc
	v_lshlrev_b32_e32 v5, 3, v30
	v_add_co_u32_e32 v4, vcc, v4, v5
	v_addc_co_u32_e32 v5, vcc, 0, v3, vcc
	s_waitcnt lgkmcnt(0)
	global_store_dwordx2 v[4:5], v[6:7], off
.LBB49_83:
	s_or_b64 exec, exec, s[0:1]
	s_add_i32 s7, s7, -1
	s_cmp_eq_u32 s6, s7
	s_cselect_b64 s[0:1], -1, 0
	s_and_b64 s[2:3], s[12:13], s[0:1]
	s_mov_b64 s[0:1], 0
	s_mov_b64 s[8:9], 0
                                        ; implicit-def: $vgpr4_vgpr5
	s_and_saveexec_b64 s[10:11], s[2:3]
	s_xor_b64 s[2:3], exec, s[10:11]
; %bb.84:
	v_add_co_u32_e32 v4, vcc, v8, v20
	s_mov_b64 s[8:9], exec
	v_mov_b32_e32 v3, 0
	v_addc_co_u32_e32 v5, vcc, 0, v9, vcc
; %bb.85:
	s_or_b64 exec, exec, s[2:3]
	s_and_b64 vcc, exec, s[0:1]
	s_cbranch_vccnz .LBB49_87
	s_branch .LBB49_124
.LBB49_86:
	s_mov_b64 s[8:9], 0
                                        ; implicit-def: $vgpr4_vgpr5
                                        ; implicit-def: $vgpr2_vgpr3
	s_cbranch_execz .LBB49_124
.LBB49_87:
	s_add_u32 s0, s36, s30
	v_and_b32_e32 v2, 0x3ff, v0
	s_addc_u32 s1, s37, 0
	v_mbcnt_hi_u32_b32 v6, -1, v1
	v_and_b32_e32 v7, 0x1c0, v2
	v_mov_b32_e32 v1, s1
	v_add_co_u32_e32 v3, vcc, s0, v6
	v_mul_u32_u24_e32 v4, 6, v7
	v_addc_co_u32_e32 v1, vcc, 0, v1, vcc
	v_add_co_u32_e32 v10, vcc, v3, v4
	v_addc_co_u32_e32 v11, vcc, 0, v1, vcc
	global_load_ubyte v1, v[10:11], off
	s_load_dword s0, s[4:5], 0x5c
	s_load_dword s7, s[4:5], 0x50
	s_add_u32 s1, s4, 0x50
	s_addc_u32 s2, s5, 0
	v_mov_b32_e32 v8, 0
	s_waitcnt lgkmcnt(0)
	s_lshr_b32 s3, s0, 16
	s_cmp_lt_u32 s6, s7
	s_cselect_b32 s0, 12, 18
	s_add_u32 s0, s1, s0
	s_addc_u32 s1, s2, 0
	global_load_ushort v13, v8, s[0:1]
	v_mul_u32_u24_e32 v5, 5, v2
	v_lshlrev_b32_e32 v5, 2, v5
	ds_write2_b32 v5, v8, v8 offset0:8 offset1:9
	ds_write2_b32 v5, v8, v8 offset0:10 offset1:11
	ds_write_b32 v5, v8 offset:48
	global_load_ubyte v12, v[10:11], off offset:64
	global_load_ubyte v16, v[10:11], off offset:128
	;; [unrolled: 1-line block ×5, first 2 shown]
	v_bfe_u32 v3, v0, 10, 10
	v_bfe_u32 v0, v0, 20, 10
	v_mad_u32_u24 v0, v0, s3, v3
	s_lshl_b32 s0, -1, s49
	s_not_b32 s14, s0
	s_mov_b32 s31, 0
	s_waitcnt lgkmcnt(0)
	s_barrier
	s_waitcnt lgkmcnt(0)
	; wave barrier
	s_waitcnt vmcnt(6)
	v_xor_b32_e32 v3, 0x80, v1
	v_lshrrev_b32_e32 v1, s48, v3
	v_and_b32_e32 v11, s14, v1
	v_and_b32_e32 v1, 1, v11
	v_add_co_u32_e32 v14, vcc, -1, v1
	v_lshlrev_b32_e32 v9, 30, v11
	v_addc_co_u32_e64 v15, s[0:1], 0, -1, vcc
	v_cmp_ne_u32_e32 vcc, 0, v1
	v_cmp_gt_i64_e64 s[0:1], 0, v[8:9]
	v_not_b32_e32 v17, v9
	v_lshlrev_b32_e32 v9, 29, v11
	s_waitcnt vmcnt(5)
	v_mad_u64_u32 v[0:1], s[2:3], v0, v13, v[2:3]
	v_xor_b32_e32 v1, vcc_hi, v15
	v_xor_b32_e32 v13, vcc_lo, v14
	v_ashrrev_i32_e32 v14, 31, v17
	v_cmp_gt_i64_e32 vcc, 0, v[8:9]
	v_not_b32_e32 v15, v9
	v_lshlrev_b32_e32 v9, 28, v11
	v_lshrrev_b32_e32 v20, 6, v0
	v_and_b32_e32 v0, exec_hi, v1
	v_and_b32_e32 v1, exec_lo, v13
	v_xor_b32_e32 v13, s1, v14
	v_xor_b32_e32 v14, s0, v14
	v_ashrrev_i32_e32 v15, 31, v15
	v_cmp_gt_i64_e64 s[0:1], 0, v[8:9]
	v_not_b32_e32 v17, v9
	v_lshlrev_b32_e32 v9, 27, v11
	v_and_b32_e32 v0, v0, v13
	v_and_b32_e32 v1, v1, v14
	v_xor_b32_e32 v13, vcc_hi, v15
	v_xor_b32_e32 v14, vcc_lo, v15
	v_ashrrev_i32_e32 v15, 31, v17
	v_cmp_gt_i64_e32 vcc, 0, v[8:9]
	v_not_b32_e32 v9, v9
	v_and_b32_e32 v0, v0, v13
	v_and_b32_e32 v1, v1, v14
	v_xor_b32_e32 v13, s1, v15
	v_xor_b32_e32 v14, s0, v15
	v_ashrrev_i32_e32 v9, 31, v9
	v_and_b32_e32 v0, v0, v13
	v_and_b32_e32 v1, v1, v14
	v_xor_b32_e32 v13, vcc_hi, v9
	v_xor_b32_e32 v9, vcc_lo, v9
	v_and_b32_e32 v1, v1, v9
	v_lshlrev_b32_e32 v9, 26, v11
	v_cmp_gt_i64_e32 vcc, 0, v[8:9]
	v_not_b32_e32 v9, v9
	v_ashrrev_i32_e32 v9, 31, v9
	v_and_b32_e32 v0, v0, v13
	v_xor_b32_e32 v13, vcc_hi, v9
	v_xor_b32_e32 v9, vcc_lo, v9
	v_and_b32_e32 v1, v1, v9
	v_lshlrev_b32_e32 v9, 25, v11
	v_cmp_gt_i64_e32 vcc, 0, v[8:9]
	v_not_b32_e32 v9, v9
	v_ashrrev_i32_e32 v9, 31, v9
	v_and_b32_e32 v0, v0, v13
	v_xor_b32_e32 v13, vcc_hi, v9
	v_xor_b32_e32 v9, vcc_lo, v9
	v_and_b32_e32 v0, v0, v13
	v_and_b32_e32 v13, v1, v9
	v_lshlrev_b32_e32 v9, 24, v11
	v_not_b32_e32 v1, v9
	v_cmp_gt_i64_e32 vcc, 0, v[8:9]
	v_ashrrev_i32_e32 v1, 31, v1
	v_mul_u32_u24_e32 v10, 9, v11
	v_xor_b32_e32 v9, vcc_hi, v1
	v_xor_b32_e32 v11, vcc_lo, v1
	v_and_b32_e32 v1, v0, v9
	v_and_b32_e32 v0, v13, v11
	v_mbcnt_lo_u32_b32 v9, v0, 0
	v_mbcnt_hi_u32_b32 v11, v1, v9
	v_cmp_eq_u32_e32 vcc, 0, v11
	v_cmp_ne_u64_e64 s[0:1], 0, v[0:1]
	v_add_lshl_u32 v10, v20, v10, 2
	s_and_b64 s[2:3], s[0:1], vcc
	s_and_saveexec_b64 s[0:1], s[2:3]
	s_cbranch_execz .LBB49_89
; %bb.88:
	v_bcnt_u32_b32 v0, v0, 0
	v_bcnt_u32_b32 v0, v1, v0
	ds_write_b32 v10, v0 offset:32
.LBB49_89:
	s_or_b64 exec, exec, s[0:1]
	s_waitcnt vmcnt(4)
	v_xor_b32_e32 v12, 0xffffff80, v12
	v_lshrrev_b32_sdwa v0, s48, v12 dst_sel:DWORD dst_unused:UNUSED_PAD src0_sel:DWORD src1_sel:BYTE_0
	v_and_b32_e32 v0, s14, v0
	v_mul_u32_u24_e32 v1, 9, v0
	v_add_lshl_u32 v14, v20, v1, 2
	v_and_b32_e32 v1, 1, v0
	v_add_co_u32_e32 v9, vcc, -1, v1
	v_addc_co_u32_e64 v15, s[0:1], 0, -1, vcc
	v_cmp_ne_u32_e32 vcc, 0, v1
	v_xor_b32_e32 v9, vcc_lo, v9
	v_xor_b32_e32 v1, vcc_hi, v15
	v_and_b32_e32 v15, exec_lo, v9
	v_lshlrev_b32_e32 v9, 30, v0
	v_cmp_gt_i64_e32 vcc, 0, v[8:9]
	v_not_b32_e32 v9, v9
	v_ashrrev_i32_e32 v9, 31, v9
	v_xor_b32_e32 v17, vcc_hi, v9
	v_xor_b32_e32 v9, vcc_lo, v9
	v_and_b32_e32 v15, v15, v9
	v_lshlrev_b32_e32 v9, 29, v0
	v_cmp_gt_i64_e32 vcc, 0, v[8:9]
	v_not_b32_e32 v9, v9
	v_and_b32_e32 v1, exec_hi, v1
	v_ashrrev_i32_e32 v9, 31, v9
	v_and_b32_e32 v1, v1, v17
	v_xor_b32_e32 v17, vcc_hi, v9
	v_xor_b32_e32 v9, vcc_lo, v9
	v_and_b32_e32 v15, v15, v9
	v_lshlrev_b32_e32 v9, 28, v0
	v_cmp_gt_i64_e32 vcc, 0, v[8:9]
	v_not_b32_e32 v9, v9
	v_ashrrev_i32_e32 v9, 31, v9
	v_and_b32_e32 v1, v1, v17
	v_xor_b32_e32 v17, vcc_hi, v9
	v_xor_b32_e32 v9, vcc_lo, v9
	v_and_b32_e32 v15, v15, v9
	v_lshlrev_b32_e32 v9, 27, v0
	v_cmp_gt_i64_e32 vcc, 0, v[8:9]
	v_not_b32_e32 v9, v9
	;; [unrolled: 8-line block ×4, first 2 shown]
	v_ashrrev_i32_e32 v9, 31, v9
	v_and_b32_e32 v1, v1, v17
	v_xor_b32_e32 v17, vcc_hi, v9
	v_xor_b32_e32 v9, vcc_lo, v9
	v_and_b32_e32 v15, v15, v9
	v_lshlrev_b32_e32 v9, 24, v0
	v_not_b32_e32 v0, v9
	v_cmp_gt_i64_e32 vcc, 0, v[8:9]
	v_ashrrev_i32_e32 v0, 31, v0
	v_xor_b32_e32 v8, vcc_hi, v0
	v_xor_b32_e32 v0, vcc_lo, v0
	; wave barrier
	ds_read_b32 v13, v14 offset:32
	v_and_b32_e32 v1, v1, v17
	v_and_b32_e32 v0, v15, v0
	;; [unrolled: 1-line block ×3, first 2 shown]
	v_mbcnt_lo_u32_b32 v8, v0, 0
	v_mbcnt_hi_u32_b32 v15, v1, v8
	v_cmp_eq_u32_e32 vcc, 0, v15
	v_cmp_ne_u64_e64 s[0:1], 0, v[0:1]
	s_and_b64 s[2:3], s[0:1], vcc
	; wave barrier
	s_and_saveexec_b64 s[0:1], s[2:3]
	s_cbranch_execz .LBB49_91
; %bb.90:
	v_bcnt_u32_b32 v0, v0, 0
	v_bcnt_u32_b32 v0, v1, v0
	s_waitcnt lgkmcnt(0)
	v_add_u32_e32 v0, v13, v0
	ds_write_b32 v14, v0 offset:32
.LBB49_91:
	s_or_b64 exec, exec, s[0:1]
	s_waitcnt vmcnt(3)
	v_xor_b32_e32 v16, 0xffffff80, v16
	v_lshrrev_b32_sdwa v0, s48, v16 dst_sel:DWORD dst_unused:UNUSED_PAD src0_sel:DWORD src1_sel:BYTE_0
	v_and_b32_e32 v8, s14, v0
	v_and_b32_e32 v1, 1, v8
	v_add_co_u32_e32 v9, vcc, -1, v1
	v_addc_co_u32_e64 v21, s[0:1], 0, -1, vcc
	v_cmp_ne_u32_e32 vcc, 0, v1
	v_mul_u32_u24_e32 v0, 9, v8
	v_xor_b32_e32 v1, vcc_hi, v21
	v_add_lshl_u32 v19, v20, v0, 2
	v_mov_b32_e32 v0, 0
	v_and_b32_e32 v21, exec_hi, v1
	v_lshlrev_b32_e32 v1, 30, v8
	v_xor_b32_e32 v9, vcc_lo, v9
	v_cmp_gt_i64_e32 vcc, 0, v[0:1]
	v_not_b32_e32 v1, v1
	v_ashrrev_i32_e32 v1, 31, v1
	v_and_b32_e32 v9, exec_lo, v9
	v_xor_b32_e32 v23, vcc_hi, v1
	v_xor_b32_e32 v1, vcc_lo, v1
	v_and_b32_e32 v9, v9, v1
	v_lshlrev_b32_e32 v1, 29, v8
	v_cmp_gt_i64_e32 vcc, 0, v[0:1]
	v_not_b32_e32 v1, v1
	v_ashrrev_i32_e32 v1, 31, v1
	v_and_b32_e32 v21, v21, v23
	v_xor_b32_e32 v23, vcc_hi, v1
	v_xor_b32_e32 v1, vcc_lo, v1
	v_and_b32_e32 v9, v9, v1
	v_lshlrev_b32_e32 v1, 28, v8
	v_cmp_gt_i64_e32 vcc, 0, v[0:1]
	v_not_b32_e32 v1, v1
	v_ashrrev_i32_e32 v1, 31, v1
	v_and_b32_e32 v21, v21, v23
	;; [unrolled: 8-line block ×5, first 2 shown]
	v_xor_b32_e32 v23, vcc_hi, v1
	v_xor_b32_e32 v1, vcc_lo, v1
	v_and_b32_e32 v21, v21, v23
	v_and_b32_e32 v23, v9, v1
	v_lshlrev_b32_e32 v1, 24, v8
	v_cmp_gt_i64_e32 vcc, 0, v[0:1]
	v_not_b32_e32 v1, v1
	v_ashrrev_i32_e32 v1, 31, v1
	v_xor_b32_e32 v8, vcc_hi, v1
	v_xor_b32_e32 v1, vcc_lo, v1
	; wave barrier
	ds_read_b32 v17, v19 offset:32
	v_and_b32_e32 v9, v21, v8
	v_and_b32_e32 v8, v23, v1
	v_mbcnt_lo_u32_b32 v1, v8, 0
	v_mbcnt_hi_u32_b32 v21, v9, v1
	v_cmp_eq_u32_e32 vcc, 0, v21
	v_cmp_ne_u64_e64 s[0:1], 0, v[8:9]
	s_and_b64 s[2:3], s[0:1], vcc
	; wave barrier
	s_and_saveexec_b64 s[0:1], s[2:3]
	s_cbranch_execz .LBB49_93
; %bb.92:
	v_bcnt_u32_b32 v1, v8, 0
	v_bcnt_u32_b32 v1, v9, v1
	s_waitcnt lgkmcnt(0)
	v_add_u32_e32 v1, v17, v1
	ds_write_b32 v19, v1 offset:32
.LBB49_93:
	s_or_b64 exec, exec, s[0:1]
	s_waitcnt vmcnt(2)
	v_xor_b32_e32 v22, 0xffffff80, v22
	v_lshrrev_b32_sdwa v1, s48, v22 dst_sel:DWORD dst_unused:UNUSED_PAD src0_sel:DWORD src1_sel:BYTE_0
	v_and_b32_e32 v8, s14, v1
	v_mul_u32_u24_e32 v1, 9, v8
	v_add_lshl_u32 v25, v20, v1, 2
	v_and_b32_e32 v1, 1, v8
	v_add_co_u32_e32 v9, vcc, -1, v1
	v_addc_co_u32_e64 v26, s[0:1], 0, -1, vcc
	v_cmp_ne_u32_e32 vcc, 0, v1
	v_xor_b32_e32 v1, vcc_hi, v26
	v_and_b32_e32 v26, exec_hi, v1
	v_lshlrev_b32_e32 v1, 30, v8
	v_xor_b32_e32 v9, vcc_lo, v9
	v_cmp_gt_i64_e32 vcc, 0, v[0:1]
	v_not_b32_e32 v1, v1
	v_ashrrev_i32_e32 v1, 31, v1
	v_and_b32_e32 v9, exec_lo, v9
	v_xor_b32_e32 v27, vcc_hi, v1
	v_xor_b32_e32 v1, vcc_lo, v1
	v_and_b32_e32 v9, v9, v1
	v_lshlrev_b32_e32 v1, 29, v8
	v_cmp_gt_i64_e32 vcc, 0, v[0:1]
	v_not_b32_e32 v1, v1
	v_ashrrev_i32_e32 v1, 31, v1
	v_and_b32_e32 v26, v26, v27
	v_xor_b32_e32 v27, vcc_hi, v1
	v_xor_b32_e32 v1, vcc_lo, v1
	v_and_b32_e32 v9, v9, v1
	v_lshlrev_b32_e32 v1, 28, v8
	v_cmp_gt_i64_e32 vcc, 0, v[0:1]
	v_not_b32_e32 v1, v1
	v_ashrrev_i32_e32 v1, 31, v1
	v_and_b32_e32 v26, v26, v27
	;; [unrolled: 8-line block ×5, first 2 shown]
	v_xor_b32_e32 v27, vcc_hi, v1
	v_xor_b32_e32 v1, vcc_lo, v1
	v_and_b32_e32 v9, v9, v1
	v_lshlrev_b32_e32 v1, 24, v8
	v_cmp_gt_i64_e32 vcc, 0, v[0:1]
	v_not_b32_e32 v0, v1
	v_ashrrev_i32_e32 v0, 31, v0
	v_xor_b32_e32 v1, vcc_hi, v0
	v_xor_b32_e32 v0, vcc_lo, v0
	; wave barrier
	ds_read_b32 v23, v25 offset:32
	v_and_b32_e32 v26, v26, v27
	v_and_b32_e32 v0, v9, v0
	;; [unrolled: 1-line block ×3, first 2 shown]
	v_mbcnt_lo_u32_b32 v8, v0, 0
	v_mbcnt_hi_u32_b32 v26, v1, v8
	v_cmp_eq_u32_e32 vcc, 0, v26
	v_cmp_ne_u64_e64 s[0:1], 0, v[0:1]
	s_and_b64 s[2:3], s[0:1], vcc
	; wave barrier
	s_and_saveexec_b64 s[0:1], s[2:3]
	s_cbranch_execz .LBB49_95
; %bb.94:
	v_bcnt_u32_b32 v0, v0, 0
	v_bcnt_u32_b32 v0, v1, v0
	s_waitcnt lgkmcnt(0)
	v_add_u32_e32 v0, v23, v0
	ds_write_b32 v25, v0 offset:32
.LBB49_95:
	s_or_b64 exec, exec, s[0:1]
	s_waitcnt vmcnt(1)
	v_xor_b32_e32 v24, 0xffffff80, v24
	v_lshrrev_b32_sdwa v0, s48, v24 dst_sel:DWORD dst_unused:UNUSED_PAD src0_sel:DWORD src1_sel:BYTE_0
	v_and_b32_e32 v8, s14, v0
	v_and_b32_e32 v1, 1, v8
	v_add_co_u32_e32 v9, vcc, -1, v1
	v_addc_co_u32_e64 v29, s[0:1], 0, -1, vcc
	v_cmp_ne_u32_e32 vcc, 0, v1
	v_mul_u32_u24_e32 v0, 9, v8
	v_xor_b32_e32 v1, vcc_hi, v29
	v_add_lshl_u32 v28, v20, v0, 2
	v_mov_b32_e32 v0, 0
	v_and_b32_e32 v29, exec_hi, v1
	v_lshlrev_b32_e32 v1, 30, v8
	v_xor_b32_e32 v9, vcc_lo, v9
	v_cmp_gt_i64_e32 vcc, 0, v[0:1]
	v_not_b32_e32 v1, v1
	v_ashrrev_i32_e32 v1, 31, v1
	v_and_b32_e32 v9, exec_lo, v9
	v_xor_b32_e32 v30, vcc_hi, v1
	v_xor_b32_e32 v1, vcc_lo, v1
	v_and_b32_e32 v9, v9, v1
	v_lshlrev_b32_e32 v1, 29, v8
	v_cmp_gt_i64_e32 vcc, 0, v[0:1]
	v_not_b32_e32 v1, v1
	v_ashrrev_i32_e32 v1, 31, v1
	v_and_b32_e32 v29, v29, v30
	v_xor_b32_e32 v30, vcc_hi, v1
	v_xor_b32_e32 v1, vcc_lo, v1
	v_and_b32_e32 v9, v9, v1
	v_lshlrev_b32_e32 v1, 28, v8
	v_cmp_gt_i64_e32 vcc, 0, v[0:1]
	v_not_b32_e32 v1, v1
	v_ashrrev_i32_e32 v1, 31, v1
	v_and_b32_e32 v29, v29, v30
	;; [unrolled: 8-line block ×5, first 2 shown]
	v_xor_b32_e32 v30, vcc_hi, v1
	v_xor_b32_e32 v1, vcc_lo, v1
	v_and_b32_e32 v29, v29, v30
	v_and_b32_e32 v30, v9, v1
	v_lshlrev_b32_e32 v1, 24, v8
	v_cmp_gt_i64_e32 vcc, 0, v[0:1]
	v_not_b32_e32 v1, v1
	v_ashrrev_i32_e32 v1, 31, v1
	v_xor_b32_e32 v8, vcc_hi, v1
	v_xor_b32_e32 v1, vcc_lo, v1
	; wave barrier
	ds_read_b32 v27, v28 offset:32
	v_and_b32_e32 v9, v29, v8
	v_and_b32_e32 v8, v30, v1
	v_mbcnt_lo_u32_b32 v1, v8, 0
	v_mbcnt_hi_u32_b32 v29, v9, v1
	v_cmp_eq_u32_e32 vcc, 0, v29
	v_cmp_ne_u64_e64 s[0:1], 0, v[8:9]
	s_and_b64 s[2:3], s[0:1], vcc
	; wave barrier
	s_and_saveexec_b64 s[0:1], s[2:3]
	s_cbranch_execz .LBB49_97
; %bb.96:
	v_bcnt_u32_b32 v1, v8, 0
	v_bcnt_u32_b32 v1, v9, v1
	s_waitcnt lgkmcnt(0)
	v_add_u32_e32 v1, v27, v1
	ds_write_b32 v28, v1 offset:32
.LBB49_97:
	s_or_b64 exec, exec, s[0:1]
	s_waitcnt vmcnt(0)
	v_xor_b32_e32 v30, 0xffffff80, v18
	v_lshrrev_b32_sdwa v1, s48, v30 dst_sel:DWORD dst_unused:UNUSED_PAD src0_sel:DWORD src1_sel:BYTE_0
	v_and_b32_e32 v8, s14, v1
	v_mul_u32_u24_e32 v1, 9, v8
	v_add_lshl_u32 v18, v20, v1, 2
	v_and_b32_e32 v1, 1, v8
	v_add_co_u32_e32 v9, vcc, -1, v1
	v_addc_co_u32_e64 v32, s[0:1], 0, -1, vcc
	v_cmp_ne_u32_e32 vcc, 0, v1
	v_xor_b32_e32 v1, vcc_hi, v32
	v_and_b32_e32 v32, exec_hi, v1
	v_lshlrev_b32_e32 v1, 30, v8
	v_xor_b32_e32 v9, vcc_lo, v9
	v_cmp_gt_i64_e32 vcc, 0, v[0:1]
	v_not_b32_e32 v1, v1
	v_ashrrev_i32_e32 v1, 31, v1
	v_and_b32_e32 v9, exec_lo, v9
	v_xor_b32_e32 v33, vcc_hi, v1
	v_xor_b32_e32 v1, vcc_lo, v1
	v_and_b32_e32 v9, v9, v1
	v_lshlrev_b32_e32 v1, 29, v8
	v_cmp_gt_i64_e32 vcc, 0, v[0:1]
	v_not_b32_e32 v1, v1
	v_ashrrev_i32_e32 v1, 31, v1
	v_and_b32_e32 v32, v32, v33
	v_xor_b32_e32 v33, vcc_hi, v1
	v_xor_b32_e32 v1, vcc_lo, v1
	v_and_b32_e32 v9, v9, v1
	v_lshlrev_b32_e32 v1, 28, v8
	v_cmp_gt_i64_e32 vcc, 0, v[0:1]
	v_not_b32_e32 v1, v1
	v_ashrrev_i32_e32 v1, 31, v1
	v_and_b32_e32 v32, v32, v33
	;; [unrolled: 8-line block ×5, first 2 shown]
	v_xor_b32_e32 v33, vcc_hi, v1
	v_xor_b32_e32 v1, vcc_lo, v1
	v_and_b32_e32 v9, v9, v1
	v_lshlrev_b32_e32 v1, 24, v8
	v_cmp_gt_i64_e32 vcc, 0, v[0:1]
	v_not_b32_e32 v0, v1
	v_ashrrev_i32_e32 v0, 31, v0
	v_xor_b32_e32 v1, vcc_hi, v0
	v_xor_b32_e32 v0, vcc_lo, v0
	; wave barrier
	ds_read_b32 v20, v18 offset:32
	v_and_b32_e32 v32, v32, v33
	v_and_b32_e32 v0, v9, v0
	;; [unrolled: 1-line block ×3, first 2 shown]
	v_mbcnt_lo_u32_b32 v8, v0, 0
	v_mbcnt_hi_u32_b32 v32, v1, v8
	v_cmp_eq_u32_e32 vcc, 0, v32
	v_cmp_ne_u64_e64 s[0:1], 0, v[0:1]
	v_add_u32_e32 v31, 32, v5
	s_and_b64 s[2:3], s[0:1], vcc
	; wave barrier
	s_and_saveexec_b64 s[0:1], s[2:3]
	s_cbranch_execz .LBB49_99
; %bb.98:
	v_bcnt_u32_b32 v0, v0, 0
	v_bcnt_u32_b32 v0, v1, v0
	s_waitcnt lgkmcnt(0)
	v_add_u32_e32 v0, v20, v0
	ds_write_b32 v18, v0 offset:32
.LBB49_99:
	s_or_b64 exec, exec, s[0:1]
	; wave barrier
	s_waitcnt lgkmcnt(0)
	s_barrier
	ds_read2_b32 v[8:9], v5 offset0:8 offset1:9
	ds_read2_b32 v[0:1], v31 offset0:2 offset1:3
	ds_read_b32 v33, v31 offset:16
	v_min_u32_e32 v7, 0x1c0, v7
	v_or_b32_e32 v7, 63, v7
	s_waitcnt lgkmcnt(1)
	v_add3_u32 v34, v9, v8, v0
	s_waitcnt lgkmcnt(0)
	v_add3_u32 v33, v34, v1, v33
	v_and_b32_e32 v34, 15, v6
	v_cmp_ne_u32_e32 vcc, 0, v34
	v_mov_b32_dpp v35, v33 row_shr:1 row_mask:0xf bank_mask:0xf
	v_cndmask_b32_e32 v35, 0, v35, vcc
	v_add_u32_e32 v33, v35, v33
	v_cmp_lt_u32_e32 vcc, 1, v34
	s_nop 0
	v_mov_b32_dpp v35, v33 row_shr:2 row_mask:0xf bank_mask:0xf
	v_cndmask_b32_e32 v35, 0, v35, vcc
	v_add_u32_e32 v33, v33, v35
	v_cmp_lt_u32_e32 vcc, 3, v34
	s_nop 0
	;; [unrolled: 5-line block ×3, first 2 shown]
	v_mov_b32_dpp v35, v33 row_shr:8 row_mask:0xf bank_mask:0xf
	v_cndmask_b32_e32 v34, 0, v35, vcc
	v_add_u32_e32 v33, v33, v34
	v_bfe_i32 v35, v6, 4, 1
	v_cmp_lt_u32_e32 vcc, 31, v6
	v_mov_b32_dpp v34, v33 row_bcast:15 row_mask:0xf bank_mask:0xf
	v_and_b32_e32 v34, v35, v34
	v_add_u32_e32 v33, v33, v34
	s_nop 1
	v_mov_b32_dpp v34, v33 row_bcast:31 row_mask:0xf bank_mask:0xf
	v_cndmask_b32_e32 v34, 0, v34, vcc
	v_add_u32_e32 v33, v33, v34
	v_lshrrev_b32_e32 v34, 6, v2
	v_cmp_eq_u32_e32 vcc, v7, v2
	s_and_saveexec_b64 s[0:1], vcc
	s_cbranch_execz .LBB49_101
; %bb.100:
	v_lshlrev_b32_e32 v7, 2, v34
	ds_write_b32 v7, v33
.LBB49_101:
	s_or_b64 exec, exec, s[0:1]
	v_cmp_gt_u32_e32 vcc, 8, v2
	s_waitcnt lgkmcnt(0)
	s_barrier
	s_and_saveexec_b64 s[0:1], vcc
	s_cbranch_execz .LBB49_103
; %bb.102:
	v_lshlrev_b32_e32 v7, 2, v2
	ds_read_b32 v35, v7
	v_and_b32_e32 v36, 7, v6
	v_cmp_ne_u32_e32 vcc, 0, v36
	s_waitcnt lgkmcnt(0)
	v_mov_b32_dpp v37, v35 row_shr:1 row_mask:0xf bank_mask:0xf
	v_cndmask_b32_e32 v37, 0, v37, vcc
	v_add_u32_e32 v35, v37, v35
	v_cmp_lt_u32_e32 vcc, 1, v36
	s_nop 0
	v_mov_b32_dpp v37, v35 row_shr:2 row_mask:0xf bank_mask:0xf
	v_cndmask_b32_e32 v37, 0, v37, vcc
	v_add_u32_e32 v35, v35, v37
	v_cmp_lt_u32_e32 vcc, 3, v36
	s_nop 0
	v_mov_b32_dpp v37, v35 row_shr:4 row_mask:0xf bank_mask:0xf
	v_cndmask_b32_e32 v36, 0, v37, vcc
	v_add_u32_e32 v35, v35, v36
	ds_write_b32 v7, v35
.LBB49_103:
	s_or_b64 exec, exec, s[0:1]
	v_cmp_lt_u32_e32 vcc, 63, v2
	v_mov_b32_e32 v7, 0
	s_waitcnt lgkmcnt(0)
	s_barrier
	s_and_saveexec_b64 s[0:1], vcc
	s_cbranch_execz .LBB49_105
; %bb.104:
	v_lshl_add_u32 v7, v34, 2, -4
	ds_read_b32 v7, v7
.LBB49_105:
	s_or_b64 exec, exec, s[0:1]
	v_add_u32_e32 v34, -1, v6
	v_and_b32_e32 v35, 64, v6
	v_cmp_lt_i32_e32 vcc, v34, v35
	v_cndmask_b32_e32 v34, v34, v6, vcc
	s_waitcnt lgkmcnt(0)
	v_add_u32_e32 v33, v7, v33
	v_lshlrev_b32_e32 v34, 2, v34
	ds_bpermute_b32 v33, v34, v33
	v_cmp_eq_u32_e32 vcc, 0, v6
	s_movk_i32 s2, 0xff
	s_movk_i32 s3, 0x100
	v_cmp_lt_u32_e64 s[0:1], s2, v2
	s_waitcnt lgkmcnt(0)
	v_cndmask_b32_e32 v7, v33, v7, vcc
	v_cmp_ne_u32_e32 vcc, 0, v2
	v_cndmask_b32_e32 v7, 0, v7, vcc
	v_add_u32_e32 v8, v7, v8
	v_add_u32_e32 v9, v8, v9
	;; [unrolled: 1-line block ×4, first 2 shown]
	ds_write2_b32 v5, v7, v8 offset0:8 offset1:9
	ds_write2_b32 v31, v9, v0 offset0:2 offset1:3
	ds_write_b32 v31, v1 offset:16
	s_waitcnt lgkmcnt(0)
	s_barrier
	ds_read_b32 v5, v10 offset:32
	ds_read_b32 v8, v14 offset:32
	;; [unrolled: 1-line block ×6, first 2 shown]
	v_cmp_gt_u32_e32 vcc, s3, v2
	v_pk_mov_b32 v[0:1], 0, 0
                                        ; implicit-def: $vgpr7
	s_and_saveexec_b64 s[4:5], vcc
	s_cbranch_execz .LBB49_109
; %bb.106:
	v_mul_u32_u24_e32 v0, 9, v2
	v_lshlrev_b32_e32 v7, 2, v0
	ds_read_b32 v0, v7 offset:32
	v_cmp_ne_u32_e64 s[2:3], s2, v2
	v_mov_b32_e32 v1, 0xc00
	s_and_saveexec_b64 s[10:11], s[2:3]
	s_cbranch_execz .LBB49_108
; %bb.107:
	ds_read_b32 v1, v7 offset:68
.LBB49_108:
	s_or_b64 exec, exec, s[10:11]
	s_waitcnt lgkmcnt(0)
	v_sub_u32_e32 v7, v1, v0
	v_mov_b32_e32 v1, 0
.LBB49_109:
	s_or_b64 exec, exec, s[4:5]
	s_waitcnt lgkmcnt(5)
	v_add_u32_e32 v19, v5, v11
	s_waitcnt lgkmcnt(4)
	v_add3_u32 v18, v15, v13, v8
	s_waitcnt lgkmcnt(3)
	v_add3_u32 v17, v21, v17, v9
	;; [unrolled: 2-line block ×5, first 2 shown]
	s_barrier
	ds_write_b8 v19, v3 offset:2048
	ds_write_b8 v18, v12 offset:2048
	;; [unrolled: 1-line block ×6, first 2 shown]
	s_waitcnt lgkmcnt(0)
	s_barrier
	s_and_saveexec_b64 s[2:3], s[0:1]
	s_xor_b64 s[0:1], exec, s[2:3]
; %bb.110:
	v_mov_b32_e32 v3, 0
; %bb.111:
	s_andn2_saveexec_b64 s[2:3], s[0:1]
	s_cbranch_execz .LBB49_121
; %bb.112:
	v_lshl_or_b32 v8, s6, 8, v2
	v_mov_b32_e32 v9, 0
	v_lshlrev_b64 v[10:11], 2, v[8:9]
	v_mov_b32_e32 v3, s35
	v_add_co_u32_e64 v10, s[0:1], s34, v10
	v_addc_co_u32_e64 v11, s[0:1], v3, v11, s[0:1]
	v_or_b32_e32 v8, 2.0, v7
	s_mov_b64 s[4:5], 0
	s_brev_b32 s15, 1
	s_mov_b32 s16, s6
	v_mov_b32_e32 v16, 0
	global_store_dword v[10:11], v8, off
                                        ; implicit-def: $sgpr0_sgpr1
	s_branch .LBB49_115
.LBB49_113:                             ;   in Loop: Header=BB49_115 Depth=1
	s_or_b64 exec, exec, s[12:13]
.LBB49_114:                             ;   in Loop: Header=BB49_115 Depth=1
	s_or_b64 exec, exec, s[10:11]
	v_and_b32_e32 v12, 0x3fffffff, v20
	v_add_u32_e32 v16, v12, v16
	v_cmp_eq_u32_e64 s[0:1], s15, v8
	s_and_b64 s[10:11], exec, s[0:1]
	s_or_b64 s[4:5], s[10:11], s[4:5]
	s_andn2_b64 exec, exec, s[4:5]
	s_cbranch_execz .LBB49_120
.LBB49_115:                             ; =>This Loop Header: Depth=1
                                        ;     Child Loop BB49_118 Depth 2
	s_or_b64 s[0:1], s[0:1], exec
	s_cmp_eq_u32 s16, 0
	s_cbranch_scc1 .LBB49_119
; %bb.116:                              ;   in Loop: Header=BB49_115 Depth=1
	s_add_i32 s16, s16, -1
	v_lshl_or_b32 v8, s16, 8, v2
	v_lshlrev_b64 v[12:13], 2, v[8:9]
	v_add_co_u32_e64 v12, s[0:1], s34, v12
	v_addc_co_u32_e64 v13, s[0:1], v3, v13, s[0:1]
	global_load_dword v20, v[12:13], off glc
	s_waitcnt vmcnt(0)
	v_and_b32_e32 v8, -2.0, v20
	v_cmp_eq_u32_e64 s[0:1], 0, v8
	s_and_saveexec_b64 s[10:11], s[0:1]
	s_cbranch_execz .LBB49_114
; %bb.117:                              ;   in Loop: Header=BB49_115 Depth=1
	s_mov_b64 s[12:13], 0
.LBB49_118:                             ;   Parent Loop BB49_115 Depth=1
                                        ; =>  This Inner Loop Header: Depth=2
	global_load_dword v20, v[12:13], off glc
	s_waitcnt vmcnt(0)
	v_and_b32_e32 v8, -2.0, v20
	v_cmp_ne_u32_e64 s[0:1], 0, v8
	s_or_b64 s[12:13], s[0:1], s[12:13]
	s_andn2_b64 exec, exec, s[12:13]
	s_cbranch_execnz .LBB49_118
	s_branch .LBB49_113
.LBB49_119:                             ;   in Loop: Header=BB49_115 Depth=1
                                        ; implicit-def: $sgpr16
	s_and_b64 s[10:11], exec, s[0:1]
	s_or_b64 s[4:5], s[10:11], s[4:5]
	s_andn2_b64 exec, exec, s[4:5]
	s_cbranch_execnz .LBB49_115
.LBB49_120:
	s_or_b64 exec, exec, s[4:5]
	v_add_u32_e32 v3, v16, v7
	v_or_b32_e32 v3, 0x80000000, v3
	global_store_dword v[10:11], v3, off
	v_lshlrev_b32_e32 v10, 3, v2
	global_load_dwordx2 v[8:9], v10, s[44:45]
	v_sub_co_u32_e64 v11, s[0:1], v16, v0
	v_subb_co_u32_e64 v12, s[0:1], 0, v1, s[0:1]
	v_mov_b32_e32 v3, 0
	s_waitcnt vmcnt(0)
	v_add_co_u32_e64 v8, s[0:1], v11, v8
	v_addc_co_u32_e64 v9, s[0:1], v12, v9, s[0:1]
	ds_write_b64 v10, v[8:9]
.LBB49_121:
	s_or_b64 exec, exec, s[2:3]
	s_waitcnt lgkmcnt(0)
	s_barrier
	ds_read_u8 v16, v2 offset:4096
	ds_read_u8 v26, v2 offset:3072
	;; [unrolled: 1-line block ×5, first 2 shown]
	s_waitcnt lgkmcnt(4)
	v_lshrrev_b32_sdwa v8, s48, v16 dst_sel:DWORD dst_unused:UNUSED_PAD src0_sel:DWORD src1_sel:BYTE_0
	v_and_b32_e32 v8, s14, v8
	v_lshlrev_b32_e32 v30, 3, v8
	ds_read_b64 v[8:9], v30
	ds_read_u8 v12, v2 offset:2048
	s_waitcnt lgkmcnt(2)
	v_lshrrev_b32_sdwa v10, s48, v29 dst_sel:DWORD dst_unused:UNUSED_PAD src0_sel:DWORD src1_sel:BYTE_0
	v_and_b32_e32 v10, s14, v10
	v_lshlrev_b32_e32 v31, 3, v10
	ds_read_b64 v[10:11], v31
	s_waitcnt lgkmcnt(1)
	v_lshrrev_b32_sdwa v13, s48, v12 dst_sel:DWORD dst_unused:UNUSED_PAD src0_sel:DWORD src1_sel:BYTE_0
	v_xor_b32_e32 v32, 0x80, v12
	v_lshrrev_b32_sdwa v12, s48, v28 dst_sel:DWORD dst_unused:UNUSED_PAD src0_sel:DWORD src1_sel:BYTE_0
	v_and_b32_e32 v12, s14, v12
	v_lshlrev_b32_e32 v35, 3, v12
	v_lshrrev_b32_sdwa v12, s48, v26 dst_sel:DWORD dst_unused:UNUSED_PAD src0_sel:DWORD src1_sel:BYTE_0
	v_and_b32_e32 v12, s14, v12
	v_and_b32_e32 v13, s14, v13
	v_lshlrev_b32_e32 v36, 3, v12
	v_lshrrev_b32_sdwa v12, s48, v27 dst_sel:DWORD dst_unused:UNUSED_PAD src0_sel:DWORD src1_sel:BYTE_0
	v_lshlrev_b32_e32 v33, 3, v13
	v_and_b32_e32 v12, s14, v12
	v_lshlrev_b32_e32 v37, 3, v12
	ds_read_b64 v[12:13], v33
	ds_read_b64 v[20:21], v35
	;; [unrolled: 1-line block ×4, first 2 shown]
	v_mov_b32_e32 v34, s39
	s_waitcnt lgkmcnt(3)
	v_add_co_u32_e64 v12, s[0:1], s38, v12
	v_addc_co_u32_e64 v13, s[0:1], v34, v13, s[0:1]
	v_add_co_u32_e64 v12, s[0:1], v12, v2
	v_addc_co_u32_e64 v13, s[0:1], v13, v3, s[0:1]
	global_store_byte v[12:13], v32, off
	v_mov_b32_e32 v12, s39
	s_waitcnt lgkmcnt(2)
	v_add_co_u32_e64 v13, s[0:1], s38, v20
	v_addc_co_u32_e64 v20, s[0:1], v12, v21, s[0:1]
	v_add_co_u32_e64 v12, s[0:1], v13, v2
	v_xor_b32_e32 v28, 0x80, v28
	v_addc_co_u32_e64 v13, s[0:1], v20, v3, s[0:1]
	global_store_byte v[12:13], v28, off offset:512
	v_mov_b32_e32 v12, s39
	s_waitcnt lgkmcnt(1)
	v_add_co_u32_e64 v13, s[0:1], s38, v22
	v_addc_co_u32_e64 v21, s[0:1], v12, v23, s[0:1]
	v_add_co_u32_e64 v12, s[0:1], v13, v2
	v_xor_b32_e32 v20, 0x80, v26
	v_addc_co_u32_e64 v13, s[0:1], v21, v3, s[0:1]
	global_store_byte v[12:13], v20, off offset:1024
	;; [unrolled: 8-line block ×3, first 2 shown]
	v_mov_b32_e32 v13, s39
	v_add_co_u32_e64 v8, s[0:1], s38, v8
	v_addc_co_u32_e64 v9, s[0:1], v13, v9, s[0:1]
	v_add_co_u32_e64 v8, s[0:1], v8, v2
	v_xor_b32_e32 v12, 0x80, v16
	v_addc_co_u32_e64 v9, s[0:1], v9, v3, s[0:1]
	global_store_byte v[8:9], v12, off offset:2048
	v_mov_b32_e32 v8, s39
	v_add_co_u32_e64 v9, s[0:1], s38, v10
	v_addc_co_u32_e64 v10, s[0:1], v8, v11, s[0:1]
	v_add_co_u32_e64 v8, s[0:1], v9, v2
	v_addc_co_u32_e64 v9, s[0:1], v10, v3, s[0:1]
	s_lshl_b64 s[0:1], s[30:31], 3
	s_add_u32 s0, s40, s0
	v_xor_b32_e32 v12, 0x80, v29
	s_addc_u32 s1, s41, s1
	v_lshlrev_b32_e32 v6, 3, v6
	global_store_byte v[8:9], v12, off offset:2560
	v_mov_b32_e32 v8, s1
	v_add_co_u32_e64 v6, s[0:1], s0, v6
	v_addc_co_u32_e64 v9, s[0:1], 0, v8, s[0:1]
	v_lshlrev_b32_e32 v4, 3, v4
	v_add_co_u32_e64 v8, s[0:1], v6, v4
	v_addc_co_u32_e64 v9, s[0:1], 0, v9, s[0:1]
	global_load_dwordx2 v[10:11], v[8:9], off
	global_load_dwordx2 v[12:13], v[8:9], off offset:512
	global_load_dwordx2 v[20:21], v[8:9], off offset:1024
	;; [unrolled: 1-line block ×5, first 2 shown]
	v_lshlrev_b32_e32 v4, 3, v19
	s_barrier
	v_mov_b32_e32 v9, s43
	v_lshlrev_b32_e32 v8, 3, v2
	v_or_b32_e32 v6, 0x800, v2
	v_mad_u32_u24 v6, v2, 7, v6
	v_lshlrev_b32_e32 v28, 3, v2
	s_add_i32 s7, s7, -1
	s_cmp_eq_u32 s6, s7
	s_waitcnt vmcnt(5)
	ds_write_b64 v4, v[10:11] offset:2048
	v_lshlrev_b32_e32 v4, 3, v18
	s_waitcnt vmcnt(4)
	ds_write_b64 v4, v[12:13] offset:2048
	v_lshlrev_b32_e32 v4, 3, v17
	;; [unrolled: 3-line block ×5, first 2 shown]
	s_waitcnt vmcnt(0)
	ds_write_b64 v4, v[26:27] offset:2048
	s_waitcnt lgkmcnt(0)
	s_barrier
	ds_read_b64 v[4:5], v33
	ds_read_b64 v[12:13], v35
	;; [unrolled: 1-line block ×4, first 2 shown]
	s_waitcnt lgkmcnt(3)
	v_lshlrev_b64 v[4:5], 3, v[4:5]
	v_add_co_u32_e64 v10, s[0:1], s42, v4
	v_addc_co_u32_e64 v9, s[0:1], v9, v5, s[0:1]
	v_lshlrev_b64 v[4:5], 3, v[2:3]
	v_add_co_u32_e64 v4, s[0:1], v10, v4
	v_addc_co_u32_e64 v5, s[0:1], v9, v5, s[0:1]
	ds_read_b64 v[8:9], v8 offset:2048
	ds_read_b64 v[18:19], v30
	ds_read_b64 v[20:21], v6 offset:20480
	ds_read_b64 v[22:23], v31
	s_waitcnt lgkmcnt(3)
	global_store_dwordx2 v[4:5], v[8:9], off
	ds_read2st64_b64 v[8:11], v6 offset0:8 offset1:16
	v_lshlrev_b64 v[4:5], 3, v[12:13]
	v_mov_b32_e32 v12, s43
	v_add_co_u32_e64 v4, s[0:1], s42, v4
	v_addc_co_u32_e64 v5, s[0:1], v12, v5, s[0:1]
	v_add_u32_e32 v12, 0x1000, v28
	v_add_co_u32_e64 v4, s[0:1], v4, v12
	v_addc_co_u32_e64 v5, s[0:1], 0, v5, s[0:1]
	s_waitcnt lgkmcnt(0)
	global_store_dwordx2 v[4:5], v[8:9], off
	v_lshlrev_b64 v[4:5], 3, v[14:15]
	v_mov_b32_e32 v8, s43
	v_add_co_u32_e64 v4, s[0:1], s42, v4
	v_addc_co_u32_e64 v5, s[0:1], v8, v5, s[0:1]
	v_or_b32_e32 v8, 0x2000, v28
	v_add_co_u32_e64 v4, s[0:1], v4, v8
	v_addc_co_u32_e64 v5, s[0:1], 0, v5, s[0:1]
	global_store_dwordx2 v[4:5], v[10:11], off
	ds_read2st64_b64 v[8:11], v6 offset0:24 offset1:32
	v_lshlrev_b64 v[4:5], 3, v[16:17]
	v_mov_b32_e32 v6, s43
	v_add_co_u32_e64 v4, s[0:1], s42, v4
	v_addc_co_u32_e64 v5, s[0:1], v6, v5, s[0:1]
	v_add_u32_e32 v6, 0x3000, v28
	v_add_co_u32_e64 v4, s[0:1], v4, v6
	v_addc_co_u32_e64 v5, s[0:1], 0, v5, s[0:1]
	s_waitcnt lgkmcnt(0)
	global_store_dwordx2 v[4:5], v[8:9], off
	v_lshlrev_b64 v[4:5], 3, v[18:19]
	v_mov_b32_e32 v6, s43
	v_add_co_u32_e64 v4, s[0:1], s42, v4
	v_addc_co_u32_e64 v5, s[0:1], v6, v5, s[0:1]
	v_or_b32_e32 v6, 0x4000, v28
	v_add_co_u32_e64 v4, s[0:1], v4, v6
	v_addc_co_u32_e64 v5, s[0:1], 0, v5, s[0:1]
	global_store_dwordx2 v[4:5], v[10:11], off
	v_lshlrev_b64 v[4:5], 3, v[22:23]
	v_mov_b32_e32 v6, s43
	v_add_co_u32_e64 v4, s[0:1], s42, v4
	v_addc_co_u32_e64 v5, s[0:1], v6, v5, s[0:1]
	v_add_u32_e32 v6, 0x5000, v28
	v_add_co_u32_e64 v4, s[0:1], v4, v6
	v_addc_co_u32_e64 v5, s[0:1], 0, v5, s[0:1]
	s_cselect_b64 s[0:1], -1, 0
	s_and_b64 s[2:3], vcc, s[0:1]
	global_store_dwordx2 v[4:5], v[20:21], off
                                        ; implicit-def: $vgpr4_vgpr5
	s_and_saveexec_b64 s[0:1], s[2:3]
; %bb.122:
	v_add_co_u32_e32 v4, vcc, v0, v7
	v_addc_co_u32_e32 v5, vcc, 0, v1, vcc
	s_or_b64 s[8:9], s[8:9], exec
; %bb.123:
	s_or_b64 exec, exec, s[0:1]
.LBB49_124:
	s_and_saveexec_b64 s[0:1], s[8:9]
	s_cbranch_execnz .LBB49_126
; %bb.125:
	s_endpgm
.LBB49_126:
	v_lshlrev_b32_e32 v6, 3, v2
	v_lshlrev_b64 v[0:1], 3, v[2:3]
	ds_read_b64 v[2:3], v6
	v_mov_b32_e32 v7, s47
	v_add_co_u32_e32 v0, vcc, s46, v0
	v_addc_co_u32_e32 v1, vcc, v7, v1, vcc
	s_waitcnt lgkmcnt(0)
	v_add_co_u32_e32 v2, vcc, v2, v4
	v_addc_co_u32_e32 v3, vcc, v3, v5, vcc
	global_store_dwordx2 v[0:1], v[2:3], off
	s_endpgm
.LBB49_127:
	global_load_dwordx2 v[4:5], v[18:19], off
	s_or_b64 exec, exec, s[28:29]
                                        ; implicit-def: $vgpr6_vgpr7
	s_and_saveexec_b64 s[28:29], s[0:1]
	s_cbranch_execz .LBB49_59
.LBB49_128:
	global_load_dwordx2 v[6:7], v[18:19], off offset:512
	s_or_b64 exec, exec, s[28:29]
                                        ; implicit-def: $vgpr10_vgpr11
	s_and_saveexec_b64 s[0:1], s[2:3]
	s_cbranch_execz .LBB49_60
.LBB49_129:
	global_load_dwordx2 v[10:11], v[18:19], off offset:1024
	s_or_b64 exec, exec, s[0:1]
                                        ; implicit-def: $vgpr12_vgpr13
	s_and_saveexec_b64 s[0:1], s[26:27]
	s_cbranch_execz .LBB49_61
.LBB49_130:
	global_load_dwordx2 v[12:13], v[18:19], off offset:1536
	s_or_b64 exec, exec, s[0:1]
                                        ; implicit-def: $vgpr14_vgpr15
	s_and_saveexec_b64 s[0:1], s[8:9]
	s_cbranch_execz .LBB49_62
.LBB49_131:
	global_load_dwordx2 v[14:15], v[18:19], off offset:2048
	s_or_b64 exec, exec, s[0:1]
                                        ; implicit-def: $vgpr16_vgpr17
	s_and_saveexec_b64 s[0:1], s[10:11]
	s_cbranch_execnz .LBB49_63
	s_branch .LBB49_64
.LBB49_132:
	v_lshlrev_b32_e32 v4, 3, v34
	ds_read_b64 v[4:5], v4
	ds_read_b64 v[6:7], v3 offset:2048
	v_mov_b32_e32 v10, s43
	s_waitcnt lgkmcnt(1)
	v_lshlrev_b64 v[4:5], 3, v[4:5]
	v_add_co_u32_e32 v4, vcc, s42, v4
	v_addc_co_u32_e32 v5, vcc, v10, v5, vcc
	v_add_co_u32_e32 v4, vcc, v4, v3
	v_addc_co_u32_e32 v5, vcc, 0, v5, vcc
	s_waitcnt lgkmcnt(0)
	global_store_dwordx2 v[4:5], v[6:7], off
	s_or_b64 exec, exec, s[0:1]
	s_and_saveexec_b64 s[0:1], s[16:17]
	s_cbranch_execz .LBB49_78
.LBB49_133:
	v_lshlrev_b32_e32 v4, 3, v32
	ds_read_b64 v[4:5], v4
	ds_read_b64 v[6:7], v3 offset:6144
	v_mov_b32_e32 v10, s43
	s_waitcnt lgkmcnt(1)
	v_lshlrev_b64 v[4:5], 3, v[4:5]
	v_add_co_u32_e32 v4, vcc, s42, v4
	v_addc_co_u32_e32 v5, vcc, v10, v5, vcc
	v_lshlrev_b32_e32 v10, 3, v21
	v_add_co_u32_e32 v4, vcc, v4, v10
	v_addc_co_u32_e32 v5, vcc, 0, v5, vcc
	s_waitcnt lgkmcnt(0)
	global_store_dwordx2 v[4:5], v[6:7], off
	s_or_b64 exec, exec, s[0:1]
	s_and_saveexec_b64 s[0:1], s[18:19]
	s_cbranch_execz .LBB49_79
.LBB49_134:
	v_lshlrev_b32_e32 v4, 3, v33
	ds_read_b64 v[4:5], v4
	ds_read_b64 v[6:7], v3 offset:10240
	v_mov_b32_e32 v10, s43
	s_waitcnt lgkmcnt(1)
	v_lshlrev_b64 v[4:5], 3, v[4:5]
	v_add_co_u32_e32 v4, vcc, s42, v4
	v_addc_co_u32_e32 v5, vcc, v10, v5, vcc
	v_lshlrev_b32_e32 v10, 3, v25
	v_add_co_u32_e32 v4, vcc, v4, v10
	v_addc_co_u32_e32 v5, vcc, 0, v5, vcc
	s_waitcnt lgkmcnt(0)
	global_store_dwordx2 v[4:5], v[6:7], off
	s_or_b64 exec, exec, s[0:1]
	s_and_saveexec_b64 s[0:1], s[20:21]
	s_cbranch_execz .LBB49_80
.LBB49_135:
	v_lshlrev_b32_e32 v4, 3, v19
	ds_read_b64 v[4:5], v4
	ds_read_b64 v[6:7], v3 offset:14336
	v_mov_b32_e32 v10, s43
	s_waitcnt lgkmcnt(1)
	v_lshlrev_b64 v[4:5], 3, v[4:5]
	v_add_co_u32_e32 v4, vcc, s42, v4
	v_addc_co_u32_e32 v5, vcc, v10, v5, vcc
	v_lshlrev_b32_e32 v10, 3, v26
	v_add_co_u32_e32 v4, vcc, v4, v10
	v_addc_co_u32_e32 v5, vcc, 0, v5, vcc
	s_waitcnt lgkmcnt(0)
	global_store_dwordx2 v[4:5], v[6:7], off
	s_or_b64 exec, exec, s[0:1]
	s_and_saveexec_b64 s[0:1], s[22:23]
	s_cbranch_execz .LBB49_81
.LBB49_136:
	v_lshlrev_b32_e32 v4, 3, v31
	ds_read_b64 v[4:5], v4
	ds_read_b64 v[6:7], v3 offset:18432
	v_mov_b32_e32 v10, s43
	s_waitcnt lgkmcnt(1)
	v_lshlrev_b64 v[4:5], 3, v[4:5]
	v_add_co_u32_e32 v4, vcc, s42, v4
	v_addc_co_u32_e32 v5, vcc, v10, v5, vcc
	v_lshlrev_b32_e32 v10, 3, v29
	v_add_co_u32_e32 v4, vcc, v4, v10
	v_addc_co_u32_e32 v5, vcc, 0, v5, vcc
	s_waitcnt lgkmcnt(0)
	global_store_dwordx2 v[4:5], v[6:7], off
	s_or_b64 exec, exec, s[0:1]
	s_and_saveexec_b64 s[0:1], s[24:25]
	s_cbranch_execnz .LBB49_82
	s_branch .LBB49_83
	.section	.rodata,"a",@progbits
	.p2align	6, 0x0
	.amdhsa_kernel _ZN7rocprim17ROCPRIM_304000_NS6detail25onesweep_iteration_kernelINS1_34wrapped_radix_sort_onesweep_configINS0_14default_configEaN2at4cuda3cub6detail10OpaqueTypeILi8EEEEELb0EPaSC_PSA_SD_mNS0_19identity_decomposerEEEvT1_T2_T3_T4_jPT5_SK_PNS1_23onesweep_lookback_stateET6_jjj
		.amdhsa_group_segment_fixed_size 26624
		.amdhsa_private_segment_fixed_size 0
		.amdhsa_kernarg_size 336
		.amdhsa_user_sgpr_count 6
		.amdhsa_user_sgpr_private_segment_buffer 1
		.amdhsa_user_sgpr_dispatch_ptr 0
		.amdhsa_user_sgpr_queue_ptr 0
		.amdhsa_user_sgpr_kernarg_segment_ptr 1
		.amdhsa_user_sgpr_dispatch_id 0
		.amdhsa_user_sgpr_flat_scratch_init 0
		.amdhsa_user_sgpr_kernarg_preload_length 0
		.amdhsa_user_sgpr_kernarg_preload_offset 0
		.amdhsa_user_sgpr_private_segment_size 0
		.amdhsa_uses_dynamic_stack 0
		.amdhsa_system_sgpr_private_segment_wavefront_offset 0
		.amdhsa_system_sgpr_workgroup_id_x 1
		.amdhsa_system_sgpr_workgroup_id_y 0
		.amdhsa_system_sgpr_workgroup_id_z 0
		.amdhsa_system_sgpr_workgroup_info 0
		.amdhsa_system_vgpr_workitem_id 2
		.amdhsa_next_free_vgpr 40
		.amdhsa_next_free_sgpr 53
		.amdhsa_accum_offset 40
		.amdhsa_reserve_vcc 1
		.amdhsa_reserve_flat_scratch 0
		.amdhsa_float_round_mode_32 0
		.amdhsa_float_round_mode_16_64 0
		.amdhsa_float_denorm_mode_32 3
		.amdhsa_float_denorm_mode_16_64 3
		.amdhsa_dx10_clamp 1
		.amdhsa_ieee_mode 1
		.amdhsa_fp16_overflow 0
		.amdhsa_tg_split 0
		.amdhsa_exception_fp_ieee_invalid_op 0
		.amdhsa_exception_fp_denorm_src 0
		.amdhsa_exception_fp_ieee_div_zero 0
		.amdhsa_exception_fp_ieee_overflow 0
		.amdhsa_exception_fp_ieee_underflow 0
		.amdhsa_exception_fp_ieee_inexact 0
		.amdhsa_exception_int_div_zero 0
	.end_amdhsa_kernel
	.section	.text._ZN7rocprim17ROCPRIM_304000_NS6detail25onesweep_iteration_kernelINS1_34wrapped_radix_sort_onesweep_configINS0_14default_configEaN2at4cuda3cub6detail10OpaqueTypeILi8EEEEELb0EPaSC_PSA_SD_mNS0_19identity_decomposerEEEvT1_T2_T3_T4_jPT5_SK_PNS1_23onesweep_lookback_stateET6_jjj,"axG",@progbits,_ZN7rocprim17ROCPRIM_304000_NS6detail25onesweep_iteration_kernelINS1_34wrapped_radix_sort_onesweep_configINS0_14default_configEaN2at4cuda3cub6detail10OpaqueTypeILi8EEEEELb0EPaSC_PSA_SD_mNS0_19identity_decomposerEEEvT1_T2_T3_T4_jPT5_SK_PNS1_23onesweep_lookback_stateET6_jjj,comdat
.Lfunc_end49:
	.size	_ZN7rocprim17ROCPRIM_304000_NS6detail25onesweep_iteration_kernelINS1_34wrapped_radix_sort_onesweep_configINS0_14default_configEaN2at4cuda3cub6detail10OpaqueTypeILi8EEEEELb0EPaSC_PSA_SD_mNS0_19identity_decomposerEEEvT1_T2_T3_T4_jPT5_SK_PNS1_23onesweep_lookback_stateET6_jjj, .Lfunc_end49-_ZN7rocprim17ROCPRIM_304000_NS6detail25onesweep_iteration_kernelINS1_34wrapped_radix_sort_onesweep_configINS0_14default_configEaN2at4cuda3cub6detail10OpaqueTypeILi8EEEEELb0EPaSC_PSA_SD_mNS0_19identity_decomposerEEEvT1_T2_T3_T4_jPT5_SK_PNS1_23onesweep_lookback_stateET6_jjj
                                        ; -- End function
	.section	.AMDGPU.csdata,"",@progbits
; Kernel info:
; codeLenInByte = 11244
; NumSgprs: 57
; NumVgprs: 40
; NumAgprs: 0
; TotalNumVgprs: 40
; ScratchSize: 0
; MemoryBound: 0
; FloatMode: 240
; IeeeMode: 1
; LDSByteSize: 26624 bytes/workgroup (compile time only)
; SGPRBlocks: 7
; VGPRBlocks: 4
; NumSGPRsForWavesPerEU: 57
; NumVGPRsForWavesPerEU: 40
; AccumOffset: 40
; Occupancy: 4
; WaveLimiterHint : 1
; COMPUTE_PGM_RSRC2:SCRATCH_EN: 0
; COMPUTE_PGM_RSRC2:USER_SGPR: 6
; COMPUTE_PGM_RSRC2:TRAP_HANDLER: 0
; COMPUTE_PGM_RSRC2:TGID_X_EN: 1
; COMPUTE_PGM_RSRC2:TGID_Y_EN: 0
; COMPUTE_PGM_RSRC2:TGID_Z_EN: 0
; COMPUTE_PGM_RSRC2:TIDIG_COMP_CNT: 2
; COMPUTE_PGM_RSRC3_GFX90A:ACCUM_OFFSET: 9
; COMPUTE_PGM_RSRC3_GFX90A:TG_SPLIT: 0
	.section	.text._ZN7rocprim17ROCPRIM_304000_NS6detail28radix_sort_block_sort_kernelINS1_36wrapped_radix_sort_block_sort_configINS0_13kernel_configILj256ELj4ELj4294967295EEEsN2at4cuda3cub6detail10OpaqueTypeILi8EEEEELb1EPKsPsPKSB_PSB_NS0_19identity_decomposerEEEvT1_T2_T3_T4_jT5_jj,"axG",@progbits,_ZN7rocprim17ROCPRIM_304000_NS6detail28radix_sort_block_sort_kernelINS1_36wrapped_radix_sort_block_sort_configINS0_13kernel_configILj256ELj4ELj4294967295EEEsN2at4cuda3cub6detail10OpaqueTypeILi8EEEEELb1EPKsPsPKSB_PSB_NS0_19identity_decomposerEEEvT1_T2_T3_T4_jT5_jj,comdat
	.protected	_ZN7rocprim17ROCPRIM_304000_NS6detail28radix_sort_block_sort_kernelINS1_36wrapped_radix_sort_block_sort_configINS0_13kernel_configILj256ELj4ELj4294967295EEEsN2at4cuda3cub6detail10OpaqueTypeILi8EEEEELb1EPKsPsPKSB_PSB_NS0_19identity_decomposerEEEvT1_T2_T3_T4_jT5_jj ; -- Begin function _ZN7rocprim17ROCPRIM_304000_NS6detail28radix_sort_block_sort_kernelINS1_36wrapped_radix_sort_block_sort_configINS0_13kernel_configILj256ELj4ELj4294967295EEEsN2at4cuda3cub6detail10OpaqueTypeILi8EEEEELb1EPKsPsPKSB_PSB_NS0_19identity_decomposerEEEvT1_T2_T3_T4_jT5_jj
	.globl	_ZN7rocprim17ROCPRIM_304000_NS6detail28radix_sort_block_sort_kernelINS1_36wrapped_radix_sort_block_sort_configINS0_13kernel_configILj256ELj4ELj4294967295EEEsN2at4cuda3cub6detail10OpaqueTypeILi8EEEEELb1EPKsPsPKSB_PSB_NS0_19identity_decomposerEEEvT1_T2_T3_T4_jT5_jj
	.p2align	8
	.type	_ZN7rocprim17ROCPRIM_304000_NS6detail28radix_sort_block_sort_kernelINS1_36wrapped_radix_sort_block_sort_configINS0_13kernel_configILj256ELj4ELj4294967295EEEsN2at4cuda3cub6detail10OpaqueTypeILi8EEEEELb1EPKsPsPKSB_PSB_NS0_19identity_decomposerEEEvT1_T2_T3_T4_jT5_jj,@function
_ZN7rocprim17ROCPRIM_304000_NS6detail28radix_sort_block_sort_kernelINS1_36wrapped_radix_sort_block_sort_configINS0_13kernel_configILj256ELj4ELj4294967295EEEsN2at4cuda3cub6detail10OpaqueTypeILi8EEEEELb1EPKsPsPKSB_PSB_NS0_19identity_decomposerEEEvT1_T2_T3_T4_jT5_jj: ; @_ZN7rocprim17ROCPRIM_304000_NS6detail28radix_sort_block_sort_kernelINS1_36wrapped_radix_sort_block_sort_configINS0_13kernel_configILj256ELj4ELj4294967295EEEsN2at4cuda3cub6detail10OpaqueTypeILi8EEEEELb1EPKsPsPKSB_PSB_NS0_19identity_decomposerEEEvT1_T2_T3_T4_jT5_jj
; %bb.0:
	s_load_dword s2, s[4:5], 0x20
	s_load_dwordx8 s[36:43], s[4:5], 0x0
	s_lshl_b32 s28, s6, 10
	s_mov_b32 s29, 0
	v_mbcnt_lo_u32_b32 v1, -1, 0
	s_waitcnt lgkmcnt(0)
	s_lshr_b32 s0, s2, 10
	s_cmp_lg_u32 s6, s0
	s_cselect_b64 s[30:31], -1, 0
	s_lshl_b64 s[34:35], s[28:29], 1
	v_and_b32_e32 v8, 0x3ff, v0
	s_add_u32 s1, s36, s34
	v_mbcnt_hi_u32_b32 v1, -1, v1
	s_addc_u32 s3, s37, s35
	v_lshlrev_b32_e32 v6, 2, v8
	v_lshlrev_b32_e32 v2, 1, v1
	v_and_b32_e32 v7, 0x300, v6
	v_mov_b32_e32 v3, s3
	v_add_co_u32_e32 v2, vcc, s1, v2
	v_addc_co_u32_e32 v3, vcc, 0, v3, vcc
	v_lshlrev_b32_e32 v4, 1, v7
	v_add_co_u32_e32 v4, vcc, v2, v4
	s_cmp_eq_u32 s6, s0
	v_addc_co_u32_e32 v5, vcc, 0, v3, vcc
	v_lshlrev_b32_e32 v13, 3, v1
	v_lshlrev_b32_e32 v12, 3, v7
	v_add_u32_e32 v9, v1, v7
	s_cbranch_scc1 .LBB50_2
; %bb.1:
	s_lshl_b64 s[0:1], s[28:29], 3
	s_add_u32 s0, s40, s0
	s_addc_u32 s1, s41, s1
	v_mov_b32_e32 v2, s1
	v_add_co_u32_e32 v3, vcc, s0, v13
	v_addc_co_u32_e32 v16, vcc, 0, v2, vcc
	v_add_co_u32_e32 v2, vcc, v3, v12
	v_addc_co_u32_e32 v3, vcc, 0, v16, vcc
	global_load_ushort v10, v[4:5], off
	global_load_ushort v11, v[4:5], off offset:128
	global_load_ushort v14, v[4:5], off offset:256
	;; [unrolled: 1-line block ×3, first 2 shown]
	global_load_dwordx2 v[20:21], v[2:3], off
	global_load_dwordx2 v[22:23], v[2:3], off offset:512
	global_load_dwordx2 v[24:25], v[2:3], off offset:1024
	;; [unrolled: 1-line block ×3, first 2 shown]
	s_mov_b32 s0, 0x5040100
	s_waitcnt vmcnt(6)
	v_perm_b32 v2, v11, v10, s0
	s_waitcnt vmcnt(4)
	v_perm_b32 v3, v15, v14, s0
	v_add_u32_e32 v14, v1, v7
	v_add_u32_e32 v7, 64, v14
	v_add_u32_e32 v10, 0x80, v14
	v_add_u32_e32 v11, 0xc0, v14
	s_sub_i32 s33, s2, s28
	s_cbranch_execz .LBB50_3
	s_branch .LBB50_17
.LBB50_2:
                                        ; implicit-def: $vgpr2_vgpr3
                                        ; implicit-def: $vgpr20_vgpr21
                                        ; implicit-def: $vgpr22_vgpr23
                                        ; implicit-def: $vgpr24_vgpr25
                                        ; implicit-def: $vgpr26_vgpr27
                                        ; implicit-def: $vgpr14
                                        ; implicit-def: $vgpr7
                                        ; implicit-def: $vgpr10
                                        ; implicit-def: $vgpr11
	s_sub_i32 s33, s2, s28
.LBB50_3:
	s_mov_b32 s0, 0x80008000
	s_mov_b32 s1, s0
	v_cmp_gt_u32_e32 vcc, s33, v9
	v_pk_mov_b32 v[2:3], s[0:1], s[0:1] op_sel:[0,1]
	s_and_saveexec_b64 s[0:1], vcc
	s_cbranch_execz .LBB50_5
; %bb.4:
	global_load_ushort v2, v[4:5], off
	s_movk_i32 s2, 0x8000
	v_mov_b32_e32 v3, 0x5040100
	s_waitcnt vmcnt(0)
	v_perm_b32 v2, s2, v2, v3
	v_mov_b32_e32 v3, 0x80008000
.LBB50_5:
	s_or_b64 exec, exec, s[0:1]
	v_add_u32_e32 v7, 64, v9
	v_cmp_gt_u32_e64 s[0:1], s33, v7
	s_and_saveexec_b64 s[2:3], s[0:1]
	s_cbranch_execz .LBB50_7
; %bb.6:
	global_load_ushort v10, v[4:5], off offset:128
	s_mov_b32 s6, 0x5040100
	s_waitcnt vmcnt(0)
	v_perm_b32 v2, v10, v2, s6
.LBB50_7:
	s_or_b64 exec, exec, s[2:3]
	v_add_u32_e32 v10, 0x80, v9
	v_cmp_gt_u32_e64 s[2:3], s33, v10
	s_and_saveexec_b64 s[6:7], s[2:3]
	s_cbranch_execz .LBB50_9
; %bb.8:
	global_load_ushort v11, v[4:5], off offset:256
	s_mov_b32 s8, 0xffff
	s_waitcnt vmcnt(0)
	v_bfi_b32 v3, s8, v11, v3
.LBB50_9:
	s_or_b64 exec, exec, s[6:7]
	v_add_u32_e32 v11, 0xc0, v9
	v_cmp_gt_u32_e64 s[6:7], s33, v11
	s_and_saveexec_b64 s[8:9], s[6:7]
	s_cbranch_execz .LBB50_11
; %bb.10:
	global_load_ushort v4, v[4:5], off offset:384
	s_mov_b32 s10, 0x5040100
	s_waitcnt vmcnt(0)
	v_perm_b32 v3, v4, v3, s10
.LBB50_11:
	s_or_b64 exec, exec, s[8:9]
	s_lshl_b64 s[8:9], s[28:29], 3
	s_add_u32 s8, s40, s8
	s_addc_u32 s9, s41, s9
	v_mov_b32_e32 v4, s9
	v_add_co_u32_e64 v5, s[8:9], s8, v13
	v_addc_co_u32_e64 v13, s[8:9], 0, v4, s[8:9]
	v_add_co_u32_e64 v4, s[8:9], v5, v12
	v_addc_co_u32_e64 v5, s[8:9], 0, v13, s[8:9]
                                        ; implicit-def: $vgpr20_vgpr21
	s_and_saveexec_b64 s[8:9], vcc
	s_cbranch_execnz .LBB50_54
; %bb.12:
	s_or_b64 exec, exec, s[8:9]
                                        ; implicit-def: $vgpr22_vgpr23
	s_and_saveexec_b64 s[8:9], s[0:1]
	s_cbranch_execnz .LBB50_55
.LBB50_13:
	s_or_b64 exec, exec, s[8:9]
                                        ; implicit-def: $vgpr24_vgpr25
	s_and_saveexec_b64 s[0:1], s[2:3]
	s_cbranch_execnz .LBB50_56
.LBB50_14:
	s_or_b64 exec, exec, s[0:1]
                                        ; implicit-def: $vgpr26_vgpr27
	s_and_saveexec_b64 s[0:1], s[6:7]
	s_cbranch_execz .LBB50_16
.LBB50_15:
	global_load_dwordx2 v[26:27], v[4:5], off offset:1536
.LBB50_16:
	s_or_b64 exec, exec, s[0:1]
	v_mov_b32_e32 v14, v9
.LBB50_17:
	s_load_dwordx2 s[36:37], s[4:5], 0x28
	s_load_dword s0, s[4:5], 0x3c
	v_xor_b32_e32 v48, 0x7fff7fff, v3
	v_bfe_u32 v3, v0, 10, 10
	v_bfe_u32 v0, v0, 20, 10
	s_mov_b32 s26, 0
	s_waitcnt lgkmcnt(0)
	s_lshr_b32 s1, s0, 16
	s_and_b32 s0, s0, 0xffff
	v_mad_u32_u24 v0, v0, s1, v3
	v_mad_u64_u32 v[4:5], s[0:1], v0, s0, v[8:9]
	v_and_b32_e32 v0, 15, v1
	v_cmp_eq_u32_e64 s[0:1], 0, v0
	v_cmp_lt_u32_e64 s[2:3], 1, v0
	v_cmp_lt_u32_e64 s[4:5], 3, v0
	;; [unrolled: 1-line block ×3, first 2 shown]
	v_and_b32_e32 v0, 16, v1
	v_cmp_eq_u32_e64 s[8:9], 0, v0
	v_and_b32_e32 v0, 0x3c0, v8
	v_min_u32_e32 v0, 0xc0, v0
	v_or_b32_e32 v0, 63, v0
	v_cmp_eq_u32_e64 s[12:13], v0, v8
	v_add_u32_e32 v0, -1, v1
	v_and_b32_e32 v3, 64, v1
	v_cmp_lt_i32_e32 vcc, v0, v3
	v_cndmask_b32_e32 v0, v0, v1, vcc
	v_cmp_lt_u32_e64 s[10:11], 31, v1
	v_lshlrev_b32_e32 v31, 2, v0
	v_cmp_eq_u32_e64 s[18:19], 0, v1
	v_lshrrev_b32_e32 v0, 4, v8
	v_and_b32_e32 v1, 3, v1
	v_lshlrev_b32_e32 v9, 2, v6
	v_lshrrev_b32_e32 v29, 6, v4
	v_and_b32_e32 v32, 60, v0
	v_mul_i32_i24_e32 v0, -12, v8
	v_cmp_eq_u32_e64 s[22:23], 0, v1
	v_cmp_lt_u32_e64 s[24:25], 1, v1
	v_lshlrev_b32_e32 v34, 1, v14
	v_lshlrev_b32_e32 v35, 1, v7
	;; [unrolled: 1-line block ×4, first 2 shown]
	v_mul_lo_u32 v1, v14, 6
	v_mul_lo_u32 v3, v7, 6
	;; [unrolled: 1-line block ×4, first 2 shown]
	s_mov_b32 s27, s26
	s_mov_b32 s44, s26
	;; [unrolled: 1-line block ×3, first 2 shown]
	s_add_i32 s40, s37, s36
	v_cmp_gt_u32_e64 s[14:15], 4, v8
	v_cmp_lt_u32_e64 s[16:17], 63, v8
	v_cmp_eq_u32_e64 s[20:21], 0, v8
	v_add_u32_e32 v33, -4, v32
	v_xor_b32_e32 v44, 0x7fff7fff, v2
	v_pk_mov_b32 v[12:13], s[26:27], s[26:27] op_sel:[0,1]
	v_pk_mov_b32 v[16:17], s[44:45], s[44:45] op_sel:[0,1]
	v_add_u32_e32 v38, v9, v0
	v_add_u32_e32 v39, v34, v1
	;; [unrolled: 1-line block ×5, first 2 shown]
	s_mov_b32 s41, 0x5040100
	v_mov_b32_e32 v18, 0
	s_branch .LBB50_19
.LBB50_18:                              ;   in Loop: Header=BB50_19 Depth=1
	v_mad_u64_u32 v[20:21], s[26:27], v47, 6, v[30:31]
	s_barrier
	ds_write_b16 v30, v44
	ds_write_b16 v28, v45
	ds_write_b16 v2, v43
	ds_write_b16 v0, v46
	s_waitcnt lgkmcnt(0)
	s_barrier
	ds_read_u16 v44, v34
	ds_read_u16 v48, v35
	ds_read_u16 v50, v36
	ds_read_u16 v51, v37
	s_waitcnt lgkmcnt(0)
	s_barrier
	ds_write_b64 v20, v[14:15]
	v_mad_u64_u32 v[20:21], s[26:27], v19, 6, v[28:29]
	ds_write_b64 v20, v[10:11]
	v_mad_u64_u32 v[20:21], s[26:27], v3, 6, v[2:3]
	;; [unrolled: 2-line block ×3, first 2 shown]
	ds_write_b64 v20, v[4:5]
	s_waitcnt lgkmcnt(0)
	s_barrier
	ds_read_b64 v[20:21], v39
	ds_read_b64 v[22:23], v40
	ds_read_b64 v[24:25], v41
	ds_read_b64 v[26:27], v42
	v_perm_b32 v44, v48, v44, s41
	v_perm_b32 v48, v51, v50, s41
	s_add_i32 s37, s37, -8
	s_waitcnt lgkmcnt(0)
	s_barrier
	s_cbranch_execz .LBB50_35
.LBB50_19:                              ; =>This Inner Loop Header: Depth=1
	s_min_u32 s26, s37, 8
	s_lshl_b32 s26, -1, s26
	s_not_b32 s44, s26
	v_lshrrev_b32_sdwa v0, s36, v44 dst_sel:DWORD dst_unused:UNUSED_PAD src0_sel:DWORD src1_sel:WORD_0
	v_and_b32_e32 v0, s44, v0
	v_lshl_add_u32 v1, v0, 2, v29
	s_waitcnt vmcnt(0)
	v_pk_mov_b32 v[14:15], v[20:21], v[20:21] op_sel:[0,1]
	v_lshl_add_u32 v20, v1, 2, 16
	v_and_b32_e32 v1, 1, v0
	v_add_co_u32_e32 v2, vcc, -1, v1
	v_addc_co_u32_e64 v3, s[26:27], 0, -1, vcc
	v_cmp_ne_u32_e32 vcc, 0, v1
	v_lshlrev_b32_e32 v19, 30, v0
	v_xor_b32_e32 v1, vcc_hi, v3
	v_not_b32_e32 v3, v19
	v_xor_b32_e32 v2, vcc_lo, v2
	v_cmp_gt_i64_e32 vcc, 0, v[18:19]
	v_ashrrev_i32_e32 v3, 31, v3
	v_and_b32_e32 v1, exec_hi, v1
	v_xor_b32_e32 v19, vcc_hi, v3
	v_and_b32_e32 v2, exec_lo, v2
	v_xor_b32_e32 v3, vcc_lo, v3
	v_and_b32_e32 v1, v1, v19
	v_lshlrev_b32_e32 v19, 29, v0
	v_and_b32_e32 v2, v2, v3
	v_not_b32_e32 v3, v19
	v_cmp_gt_i64_e32 vcc, 0, v[18:19]
	v_ashrrev_i32_e32 v3, 31, v3
	v_xor_b32_e32 v19, vcc_hi, v3
	v_xor_b32_e32 v3, vcc_lo, v3
	v_and_b32_e32 v1, v1, v19
	v_lshlrev_b32_e32 v19, 28, v0
	v_and_b32_e32 v2, v2, v3
	v_not_b32_e32 v3, v19
	v_cmp_gt_i64_e32 vcc, 0, v[18:19]
	v_ashrrev_i32_e32 v3, 31, v3
	v_xor_b32_e32 v19, vcc_hi, v3
	;; [unrolled: 8-line block ×5, first 2 shown]
	v_and_b32_e32 v1, v1, v19
	v_lshlrev_b32_e32 v19, 24, v0
	v_not_b32_e32 v0, v19
	v_xor_b32_e32 v3, vcc_lo, v3
	v_cmp_gt_i64_e32 vcc, 0, v[18:19]
	v_ashrrev_i32_e32 v0, 31, v0
	v_and_b32_e32 v2, v2, v3
	v_xor_b32_e32 v3, vcc_hi, v0
	v_xor_b32_e32 v0, vcc_lo, v0
	v_and_b32_e32 v0, v2, v0
	v_and_b32_e32 v1, v1, v3
	v_mbcnt_lo_u32_b32 v2, v0, 0
	v_mbcnt_hi_u32_b32 v21, v1, v2
	v_cmp_eq_u32_e32 vcc, 0, v21
	v_cmp_ne_u64_e64 s[26:27], 0, v[0:1]
	v_mov_b32_e32 v43, v48
	v_pk_mov_b32 v[10:11], v[22:23], v[22:23] op_sel:[0,1]
	v_pk_mov_b32 v[6:7], v[24:25], v[24:25] op_sel:[0,1]
	;; [unrolled: 1-line block ×3, first 2 shown]
	s_and_b64 s[46:47], s[26:27], vcc
	ds_write2_b64 v9, v[12:13], v[16:17] offset0:2 offset1:3
	s_waitcnt lgkmcnt(0)
	s_barrier
	s_waitcnt lgkmcnt(0)
	; wave barrier
	s_and_saveexec_b64 s[26:27], s[46:47]
	s_cbranch_execz .LBB50_21
; %bb.20:                               ;   in Loop: Header=BB50_19 Depth=1
	v_bcnt_u32_b32 v0, v0, 0
	v_bcnt_u32_b32 v0, v1, v0
	ds_write_b32 v20, v0
.LBB50_21:                              ;   in Loop: Header=BB50_19 Depth=1
	s_or_b64 exec, exec, s[26:27]
	v_lshrrev_b32_e32 v45, 16, v44
	v_lshrrev_b32_e32 v0, s36, v45
	v_and_b32_e32 v0, s44, v0
	v_lshlrev_b32_e32 v1, 2, v0
	v_add_lshl_u32 v1, v1, v29, 2
	; wave barrier
	v_add_u32_e32 v23, 16, v1
	ds_read_b32 v22, v1 offset:16
	v_and_b32_e32 v1, 1, v0
	v_add_co_u32_e32 v2, vcc, -1, v1
	v_addc_co_u32_e64 v3, s[26:27], 0, -1, vcc
	v_cmp_ne_u32_e32 vcc, 0, v1
	v_lshlrev_b32_e32 v19, 30, v0
	v_xor_b32_e32 v1, vcc_hi, v3
	v_not_b32_e32 v3, v19
	v_xor_b32_e32 v2, vcc_lo, v2
	v_cmp_gt_i64_e32 vcc, 0, v[18:19]
	v_ashrrev_i32_e32 v3, 31, v3
	v_and_b32_e32 v1, exec_hi, v1
	v_xor_b32_e32 v19, vcc_hi, v3
	v_and_b32_e32 v2, exec_lo, v2
	v_xor_b32_e32 v3, vcc_lo, v3
	v_and_b32_e32 v1, v1, v19
	v_lshlrev_b32_e32 v19, 29, v0
	v_and_b32_e32 v2, v2, v3
	v_not_b32_e32 v3, v19
	v_cmp_gt_i64_e32 vcc, 0, v[18:19]
	v_ashrrev_i32_e32 v3, 31, v3
	v_xor_b32_e32 v19, vcc_hi, v3
	v_xor_b32_e32 v3, vcc_lo, v3
	v_and_b32_e32 v1, v1, v19
	v_lshlrev_b32_e32 v19, 28, v0
	v_and_b32_e32 v2, v2, v3
	v_not_b32_e32 v3, v19
	v_cmp_gt_i64_e32 vcc, 0, v[18:19]
	v_ashrrev_i32_e32 v3, 31, v3
	v_xor_b32_e32 v19, vcc_hi, v3
	v_xor_b32_e32 v3, vcc_lo, v3
	v_and_b32_e32 v1, v1, v19
	v_lshlrev_b32_e32 v19, 27, v0
	v_and_b32_e32 v2, v2, v3
	v_not_b32_e32 v3, v19
	v_cmp_gt_i64_e32 vcc, 0, v[18:19]
	v_ashrrev_i32_e32 v3, 31, v3
	v_xor_b32_e32 v19, vcc_hi, v3
	v_xor_b32_e32 v3, vcc_lo, v3
	v_and_b32_e32 v1, v1, v19
	v_lshlrev_b32_e32 v19, 26, v0
	v_and_b32_e32 v2, v2, v3
	v_not_b32_e32 v3, v19
	v_cmp_gt_i64_e32 vcc, 0, v[18:19]
	v_ashrrev_i32_e32 v3, 31, v3
	v_xor_b32_e32 v19, vcc_hi, v3
	v_xor_b32_e32 v3, vcc_lo, v3
	v_and_b32_e32 v1, v1, v19
	v_lshlrev_b32_e32 v19, 25, v0
	v_and_b32_e32 v2, v2, v3
	v_not_b32_e32 v3, v19
	v_cmp_gt_i64_e32 vcc, 0, v[18:19]
	v_ashrrev_i32_e32 v3, 31, v3
	v_xor_b32_e32 v19, vcc_hi, v3
	v_and_b32_e32 v1, v1, v19
	v_lshlrev_b32_e32 v19, 24, v0
	v_not_b32_e32 v0, v19
	v_xor_b32_e32 v3, vcc_lo, v3
	v_cmp_gt_i64_e32 vcc, 0, v[18:19]
	v_ashrrev_i32_e32 v0, 31, v0
	v_and_b32_e32 v2, v2, v3
	v_xor_b32_e32 v3, vcc_hi, v0
	v_xor_b32_e32 v0, vcc_lo, v0
	v_and_b32_e32 v0, v2, v0
	v_and_b32_e32 v1, v1, v3
	v_mbcnt_lo_u32_b32 v2, v0, 0
	v_mbcnt_hi_u32_b32 v24, v1, v2
	v_cmp_eq_u32_e32 vcc, 0, v24
	v_cmp_ne_u64_e64 s[26:27], 0, v[0:1]
	s_and_b64 s[46:47], s[26:27], vcc
	; wave barrier
	s_and_saveexec_b64 s[26:27], s[46:47]
	s_cbranch_execz .LBB50_23
; %bb.22:                               ;   in Loop: Header=BB50_19 Depth=1
	v_bcnt_u32_b32 v0, v0, 0
	v_bcnt_u32_b32 v0, v1, v0
	s_waitcnt lgkmcnt(0)
	v_add_u32_e32 v0, v22, v0
	ds_write_b32 v23, v0
.LBB50_23:                              ;   in Loop: Header=BB50_19 Depth=1
	s_or_b64 exec, exec, s[26:27]
	v_lshrrev_b32_sdwa v0, s36, v43 dst_sel:DWORD dst_unused:UNUSED_PAD src0_sel:DWORD src1_sel:WORD_0
	v_and_b32_e32 v0, s44, v0
	v_lshlrev_b32_e32 v1, 2, v0
	v_add_lshl_u32 v1, v1, v29, 2
	; wave barrier
	v_add_u32_e32 v26, 16, v1
	ds_read_b32 v25, v1 offset:16
	v_and_b32_e32 v1, 1, v0
	v_add_co_u32_e32 v2, vcc, -1, v1
	v_addc_co_u32_e64 v3, s[26:27], 0, -1, vcc
	v_cmp_ne_u32_e32 vcc, 0, v1
	v_lshlrev_b32_e32 v19, 30, v0
	v_xor_b32_e32 v1, vcc_hi, v3
	v_not_b32_e32 v3, v19
	v_xor_b32_e32 v2, vcc_lo, v2
	v_cmp_gt_i64_e32 vcc, 0, v[18:19]
	v_ashrrev_i32_e32 v3, 31, v3
	v_and_b32_e32 v1, exec_hi, v1
	v_xor_b32_e32 v19, vcc_hi, v3
	v_and_b32_e32 v2, exec_lo, v2
	v_xor_b32_e32 v3, vcc_lo, v3
	v_and_b32_e32 v1, v1, v19
	v_lshlrev_b32_e32 v19, 29, v0
	v_and_b32_e32 v2, v2, v3
	v_not_b32_e32 v3, v19
	v_cmp_gt_i64_e32 vcc, 0, v[18:19]
	v_ashrrev_i32_e32 v3, 31, v3
	v_xor_b32_e32 v19, vcc_hi, v3
	v_xor_b32_e32 v3, vcc_lo, v3
	v_and_b32_e32 v1, v1, v19
	v_lshlrev_b32_e32 v19, 28, v0
	v_and_b32_e32 v2, v2, v3
	v_not_b32_e32 v3, v19
	v_cmp_gt_i64_e32 vcc, 0, v[18:19]
	v_ashrrev_i32_e32 v3, 31, v3
	v_xor_b32_e32 v19, vcc_hi, v3
	;; [unrolled: 8-line block ×5, first 2 shown]
	v_and_b32_e32 v1, v1, v19
	v_lshlrev_b32_e32 v19, 24, v0
	v_not_b32_e32 v0, v19
	v_xor_b32_e32 v3, vcc_lo, v3
	v_cmp_gt_i64_e32 vcc, 0, v[18:19]
	v_ashrrev_i32_e32 v0, 31, v0
	v_and_b32_e32 v2, v2, v3
	v_xor_b32_e32 v3, vcc_hi, v0
	v_xor_b32_e32 v0, vcc_lo, v0
	v_and_b32_e32 v0, v2, v0
	v_and_b32_e32 v1, v1, v3
	v_mbcnt_lo_u32_b32 v2, v0, 0
	v_mbcnt_hi_u32_b32 v27, v1, v2
	v_cmp_eq_u32_e32 vcc, 0, v27
	v_cmp_ne_u64_e64 s[26:27], 0, v[0:1]
	s_and_b64 s[46:47], s[26:27], vcc
	; wave barrier
	s_and_saveexec_b64 s[26:27], s[46:47]
	s_cbranch_execz .LBB50_25
; %bb.24:                               ;   in Loop: Header=BB50_19 Depth=1
	v_bcnt_u32_b32 v0, v0, 0
	v_bcnt_u32_b32 v0, v1, v0
	s_waitcnt lgkmcnt(0)
	v_add_u32_e32 v0, v25, v0
	ds_write_b32 v26, v0
.LBB50_25:                              ;   in Loop: Header=BB50_19 Depth=1
	s_or_b64 exec, exec, s[26:27]
	v_lshrrev_b32_e32 v46, 16, v43
	v_lshrrev_b32_e32 v0, s36, v46
	v_and_b32_e32 v0, s44, v0
	v_lshlrev_b32_e32 v1, 2, v0
	v_add_lshl_u32 v1, v1, v29, 2
	; wave barrier
	v_add_u32_e32 v30, 16, v1
	ds_read_b32 v28, v1 offset:16
	v_and_b32_e32 v1, 1, v0
	v_add_co_u32_e32 v2, vcc, -1, v1
	v_addc_co_u32_e64 v3, s[26:27], 0, -1, vcc
	v_cmp_ne_u32_e32 vcc, 0, v1
	v_lshlrev_b32_e32 v19, 30, v0
	v_xor_b32_e32 v1, vcc_hi, v3
	v_not_b32_e32 v3, v19
	v_xor_b32_e32 v2, vcc_lo, v2
	v_cmp_gt_i64_e32 vcc, 0, v[18:19]
	v_ashrrev_i32_e32 v3, 31, v3
	v_and_b32_e32 v1, exec_hi, v1
	v_xor_b32_e32 v19, vcc_hi, v3
	v_and_b32_e32 v2, exec_lo, v2
	v_xor_b32_e32 v3, vcc_lo, v3
	v_and_b32_e32 v1, v1, v19
	v_lshlrev_b32_e32 v19, 29, v0
	v_and_b32_e32 v2, v2, v3
	v_not_b32_e32 v3, v19
	v_cmp_gt_i64_e32 vcc, 0, v[18:19]
	v_ashrrev_i32_e32 v3, 31, v3
	v_xor_b32_e32 v19, vcc_hi, v3
	v_xor_b32_e32 v3, vcc_lo, v3
	v_and_b32_e32 v1, v1, v19
	v_lshlrev_b32_e32 v19, 28, v0
	v_and_b32_e32 v2, v2, v3
	v_not_b32_e32 v3, v19
	v_cmp_gt_i64_e32 vcc, 0, v[18:19]
	v_ashrrev_i32_e32 v3, 31, v3
	v_xor_b32_e32 v19, vcc_hi, v3
	;; [unrolled: 8-line block ×5, first 2 shown]
	v_and_b32_e32 v1, v1, v19
	v_lshlrev_b32_e32 v19, 24, v0
	v_not_b32_e32 v0, v19
	v_xor_b32_e32 v3, vcc_lo, v3
	v_cmp_gt_i64_e32 vcc, 0, v[18:19]
	v_ashrrev_i32_e32 v0, 31, v0
	v_and_b32_e32 v2, v2, v3
	v_xor_b32_e32 v3, vcc_hi, v0
	v_xor_b32_e32 v0, vcc_lo, v0
	v_and_b32_e32 v0, v2, v0
	v_and_b32_e32 v1, v1, v3
	v_mbcnt_lo_u32_b32 v2, v0, 0
	v_mbcnt_hi_u32_b32 v48, v1, v2
	v_cmp_eq_u32_e32 vcc, 0, v48
	v_cmp_ne_u64_e64 s[26:27], 0, v[0:1]
	s_and_b64 s[44:45], s[26:27], vcc
	; wave barrier
	s_and_saveexec_b64 s[26:27], s[44:45]
	s_cbranch_execz .LBB50_27
; %bb.26:                               ;   in Loop: Header=BB50_19 Depth=1
	v_bcnt_u32_b32 v0, v0, 0
	v_bcnt_u32_b32 v0, v1, v0
	s_waitcnt lgkmcnt(0)
	v_add_u32_e32 v0, v28, v0
	ds_write_b32 v30, v0
.LBB50_27:                              ;   in Loop: Header=BB50_19 Depth=1
	s_or_b64 exec, exec, s[26:27]
	; wave barrier
	s_waitcnt lgkmcnt(0)
	s_barrier
	ds_read2_b64 v[0:3], v9 offset0:2 offset1:3
	s_waitcnt lgkmcnt(0)
	v_add_u32_e32 v19, v1, v0
	v_add3_u32 v3, v19, v2, v3
	s_nop 1
	v_mov_b32_dpp v19, v3 row_shr:1 row_mask:0xf bank_mask:0xf
	v_cndmask_b32_e64 v19, v19, 0, s[0:1]
	v_add_u32_e32 v3, v19, v3
	s_nop 1
	v_mov_b32_dpp v19, v3 row_shr:2 row_mask:0xf bank_mask:0xf
	v_cndmask_b32_e64 v19, 0, v19, s[2:3]
	v_add_u32_e32 v3, v3, v19
	s_nop 1
	v_mov_b32_dpp v19, v3 row_shr:4 row_mask:0xf bank_mask:0xf
	v_cndmask_b32_e64 v19, 0, v19, s[4:5]
	v_add_u32_e32 v3, v3, v19
	s_nop 1
	v_mov_b32_dpp v19, v3 row_shr:8 row_mask:0xf bank_mask:0xf
	v_cndmask_b32_e64 v19, 0, v19, s[6:7]
	v_add_u32_e32 v3, v3, v19
	s_nop 1
	v_mov_b32_dpp v19, v3 row_bcast:15 row_mask:0xf bank_mask:0xf
	v_cndmask_b32_e64 v19, v19, 0, s[8:9]
	v_add_u32_e32 v3, v3, v19
	s_nop 1
	v_mov_b32_dpp v19, v3 row_bcast:31 row_mask:0xf bank_mask:0xf
	v_cndmask_b32_e64 v19, 0, v19, s[10:11]
	v_add_u32_e32 v3, v3, v19
	s_and_saveexec_b64 s[26:27], s[12:13]
	s_cbranch_execz .LBB50_29
; %bb.28:                               ;   in Loop: Header=BB50_19 Depth=1
	ds_write_b32 v32, v3
.LBB50_29:                              ;   in Loop: Header=BB50_19 Depth=1
	s_or_b64 exec, exec, s[26:27]
	s_waitcnt lgkmcnt(0)
	s_barrier
	s_and_saveexec_b64 s[26:27], s[14:15]
	s_cbranch_execz .LBB50_31
; %bb.30:                               ;   in Loop: Header=BB50_19 Depth=1
	ds_read_b32 v19, v38
	s_waitcnt lgkmcnt(0)
	s_nop 0
	v_mov_b32_dpp v47, v19 row_shr:1 row_mask:0xf bank_mask:0xf
	v_cndmask_b32_e64 v47, v47, 0, s[22:23]
	v_add_u32_e32 v19, v47, v19
	s_nop 1
	v_mov_b32_dpp v47, v19 row_shr:2 row_mask:0xf bank_mask:0xf
	v_cndmask_b32_e64 v47, 0, v47, s[24:25]
	v_add_u32_e32 v19, v19, v47
	ds_write_b32 v38, v19
.LBB50_31:                              ;   in Loop: Header=BB50_19 Depth=1
	s_or_b64 exec, exec, s[26:27]
	v_mov_b32_e32 v19, 0
	s_waitcnt lgkmcnt(0)
	s_barrier
	s_and_saveexec_b64 s[26:27], s[16:17]
	s_cbranch_execz .LBB50_33
; %bb.32:                               ;   in Loop: Header=BB50_19 Depth=1
	ds_read_b32 v19, v33
.LBB50_33:                              ;   in Loop: Header=BB50_19 Depth=1
	s_or_b64 exec, exec, s[26:27]
	s_waitcnt lgkmcnt(0)
	v_add_u32_e32 v3, v19, v3
	ds_bpermute_b32 v3, v31, v3
	s_add_i32 s36, s36, 8
	v_mov_b32_e32 v49, v44
	s_cmp_ge_u32 s36, s40
	s_waitcnt lgkmcnt(0)
	v_cndmask_b32_e64 v3, v3, v19, s[18:19]
	v_cndmask_b32_e64 v50, v3, 0, s[20:21]
	v_add_u32_e32 v51, v50, v0
	v_add_u32_e32 v0, v51, v1
	;; [unrolled: 1-line block ×3, first 2 shown]
	ds_write2_b64 v9, v[50:51], v[0:1] offset0:2 offset1:3
	s_waitcnt lgkmcnt(0)
	s_barrier
	ds_read_b32 v0, v20
	ds_read_b32 v1, v23
	;; [unrolled: 1-line block ×4, first 2 shown]
	s_waitcnt lgkmcnt(0)
	v_add_u32_e32 v47, v0, v21
	v_add3_u32 v19, v24, v22, v1
	v_add3_u32 v3, v27, v25, v2
	;; [unrolled: 1-line block ×3, first 2 shown]
	v_lshlrev_b32_e32 v30, 1, v47
	v_lshlrev_b32_e32 v28, 1, v19
	;; [unrolled: 1-line block ×4, first 2 shown]
	s_cbranch_scc0 .LBB50_18
; %bb.34:
                                        ; implicit-def: $vgpr48
                                        ; implicit-def: $vgpr44
                                        ; implicit-def: $sgpr36
                                        ; implicit-def: $vgpr20_vgpr21
                                        ; implicit-def: $vgpr22_vgpr23
                                        ; implicit-def: $vgpr24_vgpr25
                                        ; implicit-def: $vgpr26_vgpr27
.LBB50_35:
	v_lshlrev_b32_e32 v16, 1, v8
	v_mad_u64_u32 v[12:13], s[0:1], v47, 6, v[30:31]
	s_barrier
	ds_write_b16 v30, v49
	ds_write_b16 v28, v45
	;; [unrolled: 1-line block ×4, first 2 shown]
	s_waitcnt lgkmcnt(0)
	s_barrier
	ds_read_u16 v9, v16
	ds_read_u16 v17, v16 offset:512
	ds_read_u16 v18, v16 offset:1024
	;; [unrolled: 1-line block ×3, first 2 shown]
	s_waitcnt lgkmcnt(0)
	s_barrier
	ds_write_b64 v12, v[14:15]
	v_mad_u64_u32 v[12:13], s[0:1], v19, 6, v[28:29]
	v_mad_u64_u32 v[2:3], s[0:1], v3, 6, v[2:3]
	;; [unrolled: 1-line block ×3, first 2 shown]
	ds_write_b64 v12, v[10:11]
	ds_write_b64 v2, v[6:7]
	ds_write_b64 v0, v[4:5]
	v_mad_u32_u24 v0, v8, 6, v16
	s_waitcnt lgkmcnt(0)
	s_barrier
	ds_read2st64_b64 v[4:7], v0 offset1:4
	ds_read2st64_b64 v[0:3], v0 offset0:8 offset1:12
	s_add_u32 s0, s38, s34
	s_addc_u32 s1, s39, s35
	v_mov_b32_e32 v11, s1
	v_add_co_u32_e32 v10, vcc, s0, v16
	v_addc_co_u32_e32 v11, vcc, 0, v11, vcc
	v_xor_b32_e32 v15, 0x7fff, v9
	v_xor_b32_e32 v14, 0x7fff, v17
	;; [unrolled: 1-line block ×4, first 2 shown]
	s_andn2_b64 vcc, exec, s[30:31]
	v_lshlrev_b32_e32 v12, 3, v8
	s_cbranch_vccnz .LBB50_37
; %bb.36:
	s_lshl_b64 s[0:1], s[28:29], 3
	s_add_u32 s0, s42, s0
	s_addc_u32 s1, s43, s1
	v_mov_b32_e32 v16, s1
	v_add_co_u32_e32 v17, vcc, s0, v12
	v_addc_co_u32_e32 v18, vcc, 0, v16, vcc
	v_add_co_u32_e32 v16, vcc, 0x1000, v17
	global_store_short v[10:11], v15, off
	global_store_short v[10:11], v14, off offset:512
	global_store_short v[10:11], v13, off offset:1024
	;; [unrolled: 1-line block ×3, first 2 shown]
	s_waitcnt lgkmcnt(1)
	global_store_dwordx2 v12, v[4:5], s[0:1]
	global_store_dwordx2 v12, v[6:7], s[0:1] offset:2048
	v_addc_co_u32_e32 v17, vcc, 0, v18, vcc
	s_mov_b64 s[6:7], -1
	s_waitcnt lgkmcnt(0)
	global_store_dwordx2 v[16:17], v[0:1], off
	s_cbranch_execz .LBB50_38
	s_branch .LBB50_51
.LBB50_37:
	s_mov_b64 s[6:7], 0
.LBB50_38:
	v_cmp_gt_u32_e32 vcc, s33, v8
	s_and_saveexec_b64 s[0:1], vcc
	s_cbranch_execz .LBB50_40
; %bb.39:
	global_store_short v[10:11], v15, off
.LBB50_40:
	s_or_b64 exec, exec, s[0:1]
	v_add_u32_e32 v15, 0x100, v8
	v_cmp_gt_u32_e64 s[0:1], s33, v15
	s_and_saveexec_b64 s[2:3], s[0:1]
	s_cbranch_execz .LBB50_42
; %bb.41:
	global_store_short v[10:11], v14, off offset:512
.LBB50_42:
	s_or_b64 exec, exec, s[2:3]
	v_add_u32_e32 v14, 0x200, v8
	v_cmp_gt_u32_e64 s[2:3], s33, v14
	s_and_saveexec_b64 s[4:5], s[2:3]
	s_cbranch_execz .LBB50_44
; %bb.43:
	global_store_short v[10:11], v13, off offset:1024
.LBB50_44:
	;; [unrolled: 8-line block ×3, first 2 shown]
	s_or_b64 exec, exec, s[4:5]
	s_lshl_b64 s[4:5], s[28:29], 3
	s_add_u32 s4, s42, s4
	s_addc_u32 s5, s43, s5
	v_mov_b32_e32 v9, s5
	v_add_co_u32_e64 v8, s[4:5], s4, v12
	v_addc_co_u32_e64 v9, s[4:5], 0, v9, s[4:5]
	s_and_saveexec_b64 s[4:5], vcc
	s_cbranch_execnz .LBB50_57
; %bb.47:
	s_or_b64 exec, exec, s[4:5]
	s_and_saveexec_b64 s[4:5], s[0:1]
	s_cbranch_execnz .LBB50_58
.LBB50_48:
	s_or_b64 exec, exec, s[4:5]
	s_and_saveexec_b64 s[0:1], s[2:3]
	s_cbranch_execz .LBB50_50
.LBB50_49:
	s_waitcnt lgkmcnt(1)
	v_add_co_u32_e32 v4, vcc, 0x1000, v8
	v_addc_co_u32_e32 v5, vcc, 0, v9, vcc
	s_waitcnt lgkmcnt(0)
	global_store_dwordx2 v[4:5], v[0:1], off
.LBB50_50:
	s_or_b64 exec, exec, s[0:1]
.LBB50_51:
	s_and_saveexec_b64 s[0:1], s[6:7]
	s_cbranch_execnz .LBB50_53
; %bb.52:
	s_endpgm
.LBB50_53:
	s_lshl_b64 s[0:1], s[28:29], 3
	s_add_u32 s0, s42, s0
	s_addc_u32 s1, s43, s1
	s_waitcnt lgkmcnt(0)
	v_mov_b32_e32 v0, s1
	v_add_co_u32_e32 v1, vcc, s0, v12
	v_addc_co_u32_e32 v4, vcc, 0, v0, vcc
	v_add_co_u32_e32 v0, vcc, 0x1000, v1
	v_addc_co_u32_e32 v1, vcc, 0, v4, vcc
	global_store_dwordx2 v[0:1], v[2:3], off offset:2048
	s_endpgm
.LBB50_54:
	global_load_dwordx2 v[20:21], v[4:5], off
	s_or_b64 exec, exec, s[8:9]
                                        ; implicit-def: $vgpr22_vgpr23
	s_and_saveexec_b64 s[8:9], s[0:1]
	s_cbranch_execz .LBB50_13
.LBB50_55:
	global_load_dwordx2 v[22:23], v[4:5], off offset:512
	s_or_b64 exec, exec, s[8:9]
                                        ; implicit-def: $vgpr24_vgpr25
	s_and_saveexec_b64 s[0:1], s[2:3]
	s_cbranch_execz .LBB50_14
.LBB50_56:
	global_load_dwordx2 v[24:25], v[4:5], off offset:1024
	s_or_b64 exec, exec, s[0:1]
                                        ; implicit-def: $vgpr26_vgpr27
	s_and_saveexec_b64 s[0:1], s[6:7]
	s_cbranch_execnz .LBB50_15
	s_branch .LBB50_16
.LBB50_57:
	s_waitcnt lgkmcnt(1)
	global_store_dwordx2 v[8:9], v[4:5], off
	s_or_b64 exec, exec, s[4:5]
	s_and_saveexec_b64 s[4:5], s[0:1]
	s_cbranch_execz .LBB50_48
.LBB50_58:
	s_waitcnt lgkmcnt(1)
	global_store_dwordx2 v[8:9], v[6:7], off offset:2048
	s_or_b64 exec, exec, s[4:5]
	s_and_saveexec_b64 s[0:1], s[2:3]
	s_cbranch_execnz .LBB50_49
	s_branch .LBB50_50
	.section	.rodata,"a",@progbits
	.p2align	6, 0x0
	.amdhsa_kernel _ZN7rocprim17ROCPRIM_304000_NS6detail28radix_sort_block_sort_kernelINS1_36wrapped_radix_sort_block_sort_configINS0_13kernel_configILj256ELj4ELj4294967295EEEsN2at4cuda3cub6detail10OpaqueTypeILi8EEEEELb1EPKsPsPKSB_PSB_NS0_19identity_decomposerEEEvT1_T2_T3_T4_jT5_jj
		.amdhsa_group_segment_fixed_size 8192
		.amdhsa_private_segment_fixed_size 0
		.amdhsa_kernarg_size 304
		.amdhsa_user_sgpr_count 6
		.amdhsa_user_sgpr_private_segment_buffer 1
		.amdhsa_user_sgpr_dispatch_ptr 0
		.amdhsa_user_sgpr_queue_ptr 0
		.amdhsa_user_sgpr_kernarg_segment_ptr 1
		.amdhsa_user_sgpr_dispatch_id 0
		.amdhsa_user_sgpr_flat_scratch_init 0
		.amdhsa_user_sgpr_kernarg_preload_length 0
		.amdhsa_user_sgpr_kernarg_preload_offset 0
		.amdhsa_user_sgpr_private_segment_size 0
		.amdhsa_uses_dynamic_stack 0
		.amdhsa_system_sgpr_private_segment_wavefront_offset 0
		.amdhsa_system_sgpr_workgroup_id_x 1
		.amdhsa_system_sgpr_workgroup_id_y 0
		.amdhsa_system_sgpr_workgroup_id_z 0
		.amdhsa_system_sgpr_workgroup_info 0
		.amdhsa_system_vgpr_workitem_id 2
		.amdhsa_next_free_vgpr 52
		.amdhsa_next_free_sgpr 48
		.amdhsa_accum_offset 52
		.amdhsa_reserve_vcc 1
		.amdhsa_reserve_flat_scratch 0
		.amdhsa_float_round_mode_32 0
		.amdhsa_float_round_mode_16_64 0
		.amdhsa_float_denorm_mode_32 3
		.amdhsa_float_denorm_mode_16_64 3
		.amdhsa_dx10_clamp 1
		.amdhsa_ieee_mode 1
		.amdhsa_fp16_overflow 0
		.amdhsa_tg_split 0
		.amdhsa_exception_fp_ieee_invalid_op 0
		.amdhsa_exception_fp_denorm_src 0
		.amdhsa_exception_fp_ieee_div_zero 0
		.amdhsa_exception_fp_ieee_overflow 0
		.amdhsa_exception_fp_ieee_underflow 0
		.amdhsa_exception_fp_ieee_inexact 0
		.amdhsa_exception_int_div_zero 0
	.end_amdhsa_kernel
	.section	.text._ZN7rocprim17ROCPRIM_304000_NS6detail28radix_sort_block_sort_kernelINS1_36wrapped_radix_sort_block_sort_configINS0_13kernel_configILj256ELj4ELj4294967295EEEsN2at4cuda3cub6detail10OpaqueTypeILi8EEEEELb1EPKsPsPKSB_PSB_NS0_19identity_decomposerEEEvT1_T2_T3_T4_jT5_jj,"axG",@progbits,_ZN7rocprim17ROCPRIM_304000_NS6detail28radix_sort_block_sort_kernelINS1_36wrapped_radix_sort_block_sort_configINS0_13kernel_configILj256ELj4ELj4294967295EEEsN2at4cuda3cub6detail10OpaqueTypeILi8EEEEELb1EPKsPsPKSB_PSB_NS0_19identity_decomposerEEEvT1_T2_T3_T4_jT5_jj,comdat
.Lfunc_end50:
	.size	_ZN7rocprim17ROCPRIM_304000_NS6detail28radix_sort_block_sort_kernelINS1_36wrapped_radix_sort_block_sort_configINS0_13kernel_configILj256ELj4ELj4294967295EEEsN2at4cuda3cub6detail10OpaqueTypeILi8EEEEELb1EPKsPsPKSB_PSB_NS0_19identity_decomposerEEEvT1_T2_T3_T4_jT5_jj, .Lfunc_end50-_ZN7rocprim17ROCPRIM_304000_NS6detail28radix_sort_block_sort_kernelINS1_36wrapped_radix_sort_block_sort_configINS0_13kernel_configILj256ELj4ELj4294967295EEEsN2at4cuda3cub6detail10OpaqueTypeILi8EEEEELb1EPKsPsPKSB_PSB_NS0_19identity_decomposerEEEvT1_T2_T3_T4_jT5_jj
                                        ; -- End function
	.section	.AMDGPU.csdata,"",@progbits
; Kernel info:
; codeLenInByte = 4044
; NumSgprs: 52
; NumVgprs: 52
; NumAgprs: 0
; TotalNumVgprs: 52
; ScratchSize: 0
; MemoryBound: 0
; FloatMode: 240
; IeeeMode: 1
; LDSByteSize: 8192 bytes/workgroup (compile time only)
; SGPRBlocks: 6
; VGPRBlocks: 6
; NumSGPRsForWavesPerEU: 52
; NumVGPRsForWavesPerEU: 52
; AccumOffset: 52
; Occupancy: 8
; WaveLimiterHint : 1
; COMPUTE_PGM_RSRC2:SCRATCH_EN: 0
; COMPUTE_PGM_RSRC2:USER_SGPR: 6
; COMPUTE_PGM_RSRC2:TRAP_HANDLER: 0
; COMPUTE_PGM_RSRC2:TGID_X_EN: 1
; COMPUTE_PGM_RSRC2:TGID_Y_EN: 0
; COMPUTE_PGM_RSRC2:TGID_Z_EN: 0
; COMPUTE_PGM_RSRC2:TIDIG_COMP_CNT: 2
; COMPUTE_PGM_RSRC3_GFX90A:ACCUM_OFFSET: 12
; COMPUTE_PGM_RSRC3_GFX90A:TG_SPLIT: 0
	.section	.text._ZN7rocprim17ROCPRIM_304000_NS6detail39device_merge_sort_compile_time_verifierINS1_36wrapped_merge_sort_block_sort_configINS1_28merge_sort_block_sort_configILj256ELj4ELNS0_20block_sort_algorithmE0EEEsN2at4cuda3cub6detail10OpaqueTypeILi8EEEEENS1_37wrapped_merge_sort_block_merge_configINS0_14default_configEsSC_EEEEvv,"axG",@progbits,_ZN7rocprim17ROCPRIM_304000_NS6detail39device_merge_sort_compile_time_verifierINS1_36wrapped_merge_sort_block_sort_configINS1_28merge_sort_block_sort_configILj256ELj4ELNS0_20block_sort_algorithmE0EEEsN2at4cuda3cub6detail10OpaqueTypeILi8EEEEENS1_37wrapped_merge_sort_block_merge_configINS0_14default_configEsSC_EEEEvv,comdat
	.protected	_ZN7rocprim17ROCPRIM_304000_NS6detail39device_merge_sort_compile_time_verifierINS1_36wrapped_merge_sort_block_sort_configINS1_28merge_sort_block_sort_configILj256ELj4ELNS0_20block_sort_algorithmE0EEEsN2at4cuda3cub6detail10OpaqueTypeILi8EEEEENS1_37wrapped_merge_sort_block_merge_configINS0_14default_configEsSC_EEEEvv ; -- Begin function _ZN7rocprim17ROCPRIM_304000_NS6detail39device_merge_sort_compile_time_verifierINS1_36wrapped_merge_sort_block_sort_configINS1_28merge_sort_block_sort_configILj256ELj4ELNS0_20block_sort_algorithmE0EEEsN2at4cuda3cub6detail10OpaqueTypeILi8EEEEENS1_37wrapped_merge_sort_block_merge_configINS0_14default_configEsSC_EEEEvv
	.globl	_ZN7rocprim17ROCPRIM_304000_NS6detail39device_merge_sort_compile_time_verifierINS1_36wrapped_merge_sort_block_sort_configINS1_28merge_sort_block_sort_configILj256ELj4ELNS0_20block_sort_algorithmE0EEEsN2at4cuda3cub6detail10OpaqueTypeILi8EEEEENS1_37wrapped_merge_sort_block_merge_configINS0_14default_configEsSC_EEEEvv
	.p2align	8
	.type	_ZN7rocprim17ROCPRIM_304000_NS6detail39device_merge_sort_compile_time_verifierINS1_36wrapped_merge_sort_block_sort_configINS1_28merge_sort_block_sort_configILj256ELj4ELNS0_20block_sort_algorithmE0EEEsN2at4cuda3cub6detail10OpaqueTypeILi8EEEEENS1_37wrapped_merge_sort_block_merge_configINS0_14default_configEsSC_EEEEvv,@function
_ZN7rocprim17ROCPRIM_304000_NS6detail39device_merge_sort_compile_time_verifierINS1_36wrapped_merge_sort_block_sort_configINS1_28merge_sort_block_sort_configILj256ELj4ELNS0_20block_sort_algorithmE0EEEsN2at4cuda3cub6detail10OpaqueTypeILi8EEEEENS1_37wrapped_merge_sort_block_merge_configINS0_14default_configEsSC_EEEEvv: ; @_ZN7rocprim17ROCPRIM_304000_NS6detail39device_merge_sort_compile_time_verifierINS1_36wrapped_merge_sort_block_sort_configINS1_28merge_sort_block_sort_configILj256ELj4ELNS0_20block_sort_algorithmE0EEEsN2at4cuda3cub6detail10OpaqueTypeILi8EEEEENS1_37wrapped_merge_sort_block_merge_configINS0_14default_configEsSC_EEEEvv
; %bb.0:
	s_endpgm
	.section	.rodata,"a",@progbits
	.p2align	6, 0x0
	.amdhsa_kernel _ZN7rocprim17ROCPRIM_304000_NS6detail39device_merge_sort_compile_time_verifierINS1_36wrapped_merge_sort_block_sort_configINS1_28merge_sort_block_sort_configILj256ELj4ELNS0_20block_sort_algorithmE0EEEsN2at4cuda3cub6detail10OpaqueTypeILi8EEEEENS1_37wrapped_merge_sort_block_merge_configINS0_14default_configEsSC_EEEEvv
		.amdhsa_group_segment_fixed_size 0
		.amdhsa_private_segment_fixed_size 0
		.amdhsa_kernarg_size 0
		.amdhsa_user_sgpr_count 4
		.amdhsa_user_sgpr_private_segment_buffer 1
		.amdhsa_user_sgpr_dispatch_ptr 0
		.amdhsa_user_sgpr_queue_ptr 0
		.amdhsa_user_sgpr_kernarg_segment_ptr 0
		.amdhsa_user_sgpr_dispatch_id 0
		.amdhsa_user_sgpr_flat_scratch_init 0
		.amdhsa_user_sgpr_kernarg_preload_length 0
		.amdhsa_user_sgpr_kernarg_preload_offset 0
		.amdhsa_user_sgpr_private_segment_size 0
		.amdhsa_uses_dynamic_stack 0
		.amdhsa_system_sgpr_private_segment_wavefront_offset 0
		.amdhsa_system_sgpr_workgroup_id_x 1
		.amdhsa_system_sgpr_workgroup_id_y 0
		.amdhsa_system_sgpr_workgroup_id_z 0
		.amdhsa_system_sgpr_workgroup_info 0
		.amdhsa_system_vgpr_workitem_id 0
		.amdhsa_next_free_vgpr 1
		.amdhsa_next_free_sgpr 0
		.amdhsa_accum_offset 4
		.amdhsa_reserve_vcc 0
		.amdhsa_reserve_flat_scratch 0
		.amdhsa_float_round_mode_32 0
		.amdhsa_float_round_mode_16_64 0
		.amdhsa_float_denorm_mode_32 3
		.amdhsa_float_denorm_mode_16_64 3
		.amdhsa_dx10_clamp 1
		.amdhsa_ieee_mode 1
		.amdhsa_fp16_overflow 0
		.amdhsa_tg_split 0
		.amdhsa_exception_fp_ieee_invalid_op 0
		.amdhsa_exception_fp_denorm_src 0
		.amdhsa_exception_fp_ieee_div_zero 0
		.amdhsa_exception_fp_ieee_overflow 0
		.amdhsa_exception_fp_ieee_underflow 0
		.amdhsa_exception_fp_ieee_inexact 0
		.amdhsa_exception_int_div_zero 0
	.end_amdhsa_kernel
	.section	.text._ZN7rocprim17ROCPRIM_304000_NS6detail39device_merge_sort_compile_time_verifierINS1_36wrapped_merge_sort_block_sort_configINS1_28merge_sort_block_sort_configILj256ELj4ELNS0_20block_sort_algorithmE0EEEsN2at4cuda3cub6detail10OpaqueTypeILi8EEEEENS1_37wrapped_merge_sort_block_merge_configINS0_14default_configEsSC_EEEEvv,"axG",@progbits,_ZN7rocprim17ROCPRIM_304000_NS6detail39device_merge_sort_compile_time_verifierINS1_36wrapped_merge_sort_block_sort_configINS1_28merge_sort_block_sort_configILj256ELj4ELNS0_20block_sort_algorithmE0EEEsN2at4cuda3cub6detail10OpaqueTypeILi8EEEEENS1_37wrapped_merge_sort_block_merge_configINS0_14default_configEsSC_EEEEvv,comdat
.Lfunc_end51:
	.size	_ZN7rocprim17ROCPRIM_304000_NS6detail39device_merge_sort_compile_time_verifierINS1_36wrapped_merge_sort_block_sort_configINS1_28merge_sort_block_sort_configILj256ELj4ELNS0_20block_sort_algorithmE0EEEsN2at4cuda3cub6detail10OpaqueTypeILi8EEEEENS1_37wrapped_merge_sort_block_merge_configINS0_14default_configEsSC_EEEEvv, .Lfunc_end51-_ZN7rocprim17ROCPRIM_304000_NS6detail39device_merge_sort_compile_time_verifierINS1_36wrapped_merge_sort_block_sort_configINS1_28merge_sort_block_sort_configILj256ELj4ELNS0_20block_sort_algorithmE0EEEsN2at4cuda3cub6detail10OpaqueTypeILi8EEEEENS1_37wrapped_merge_sort_block_merge_configINS0_14default_configEsSC_EEEEvv
                                        ; -- End function
	.section	.AMDGPU.csdata,"",@progbits
; Kernel info:
; codeLenInByte = 4
; NumSgprs: 4
; NumVgprs: 0
; NumAgprs: 0
; TotalNumVgprs: 0
; ScratchSize: 0
; MemoryBound: 0
; FloatMode: 240
; IeeeMode: 1
; LDSByteSize: 0 bytes/workgroup (compile time only)
; SGPRBlocks: 0
; VGPRBlocks: 0
; NumSGPRsForWavesPerEU: 4
; NumVGPRsForWavesPerEU: 1
; AccumOffset: 4
; Occupancy: 8
; WaveLimiterHint : 0
; COMPUTE_PGM_RSRC2:SCRATCH_EN: 0
; COMPUTE_PGM_RSRC2:USER_SGPR: 4
; COMPUTE_PGM_RSRC2:TRAP_HANDLER: 0
; COMPUTE_PGM_RSRC2:TGID_X_EN: 1
; COMPUTE_PGM_RSRC2:TGID_Y_EN: 0
; COMPUTE_PGM_RSRC2:TGID_Z_EN: 0
; COMPUTE_PGM_RSRC2:TIDIG_COMP_CNT: 0
; COMPUTE_PGM_RSRC3_GFX90A:ACCUM_OFFSET: 0
; COMPUTE_PGM_RSRC3_GFX90A:TG_SPLIT: 0
	.section	.text._ZN7rocprim17ROCPRIM_304000_NS6detail45device_block_merge_mergepath_partition_kernelINS1_37wrapped_merge_sort_block_merge_configINS0_14default_configEsN2at4cuda3cub6detail10OpaqueTypeILi8EEEEEPsjNS1_19radix_merge_compareILb1ELb0EsNS0_19identity_decomposerEEEEEvT0_T1_jPSH_T2_SH_,"axG",@progbits,_ZN7rocprim17ROCPRIM_304000_NS6detail45device_block_merge_mergepath_partition_kernelINS1_37wrapped_merge_sort_block_merge_configINS0_14default_configEsN2at4cuda3cub6detail10OpaqueTypeILi8EEEEEPsjNS1_19radix_merge_compareILb1ELb0EsNS0_19identity_decomposerEEEEEvT0_T1_jPSH_T2_SH_,comdat
	.protected	_ZN7rocprim17ROCPRIM_304000_NS6detail45device_block_merge_mergepath_partition_kernelINS1_37wrapped_merge_sort_block_merge_configINS0_14default_configEsN2at4cuda3cub6detail10OpaqueTypeILi8EEEEEPsjNS1_19radix_merge_compareILb1ELb0EsNS0_19identity_decomposerEEEEEvT0_T1_jPSH_T2_SH_ ; -- Begin function _ZN7rocprim17ROCPRIM_304000_NS6detail45device_block_merge_mergepath_partition_kernelINS1_37wrapped_merge_sort_block_merge_configINS0_14default_configEsN2at4cuda3cub6detail10OpaqueTypeILi8EEEEEPsjNS1_19radix_merge_compareILb1ELb0EsNS0_19identity_decomposerEEEEEvT0_T1_jPSH_T2_SH_
	.globl	_ZN7rocprim17ROCPRIM_304000_NS6detail45device_block_merge_mergepath_partition_kernelINS1_37wrapped_merge_sort_block_merge_configINS0_14default_configEsN2at4cuda3cub6detail10OpaqueTypeILi8EEEEEPsjNS1_19radix_merge_compareILb1ELb0EsNS0_19identity_decomposerEEEEEvT0_T1_jPSH_T2_SH_
	.p2align	8
	.type	_ZN7rocprim17ROCPRIM_304000_NS6detail45device_block_merge_mergepath_partition_kernelINS1_37wrapped_merge_sort_block_merge_configINS0_14default_configEsN2at4cuda3cub6detail10OpaqueTypeILi8EEEEEPsjNS1_19radix_merge_compareILb1ELb0EsNS0_19identity_decomposerEEEEEvT0_T1_jPSH_T2_SH_,@function
_ZN7rocprim17ROCPRIM_304000_NS6detail45device_block_merge_mergepath_partition_kernelINS1_37wrapped_merge_sort_block_merge_configINS0_14default_configEsN2at4cuda3cub6detail10OpaqueTypeILi8EEEEEPsjNS1_19radix_merge_compareILb1ELb0EsNS0_19identity_decomposerEEEEEvT0_T1_jPSH_T2_SH_: ; @_ZN7rocprim17ROCPRIM_304000_NS6detail45device_block_merge_mergepath_partition_kernelINS1_37wrapped_merge_sort_block_merge_configINS0_14default_configEsN2at4cuda3cub6detail10OpaqueTypeILi8EEEEEPsjNS1_19radix_merge_compareILb1ELb0EsNS0_19identity_decomposerEEEEEvT0_T1_jPSH_T2_SH_
; %bb.0:
	s_load_dwordx2 s[0:1], s[4:5], 0x8
	v_lshl_or_b32 v0, s6, 7, v0
	s_waitcnt lgkmcnt(0)
	v_cmp_gt_u32_e32 vcc, s1, v0
	s_and_saveexec_b64 s[2:3], vcc
	s_cbranch_execz .LBB52_6
; %bb.1:
	s_load_dword s1, s[4:5], 0x1c
	s_waitcnt lgkmcnt(0)
	s_lshr_b32 s2, s1, 9
	s_and_b32 s2, s2, 0x7ffffe
	s_add_i32 s3, s2, -1
	s_sub_i32 s2, 0, s2
	v_and_b32_e32 v1, s2, v0
	v_and_b32_e32 v2, s3, v0
	v_lshlrev_b32_e32 v1, 10, v1
	v_lshlrev_b32_e32 v3, 10, v2
	v_min_u32_e32 v2, s0, v1
	v_add_u32_e32 v1, s1, v1
	v_min_u32_e32 v4, s0, v1
	v_add_u32_e32 v1, s1, v4
	v_min_u32_e32 v1, s0, v1
	v_sub_u32_e32 v5, v1, v2
	v_min_u32_e32 v6, v5, v3
	v_sub_u32_e32 v3, v4, v2
	v_sub_u32_e32 v1, v1, v4
	v_sub_u32_e64 v1, v6, v1 clamp
	v_min_u32_e32 v7, v6, v3
	v_cmp_lt_u32_e32 vcc, v1, v7
	s_and_saveexec_b64 s[0:1], vcc
	s_cbranch_execz .LBB52_5
; %bb.2:
	s_load_dwordx2 s[2:3], s[4:5], 0x0
	v_mov_b32_e32 v5, 0
	v_mov_b32_e32 v3, v5
	v_lshlrev_b64 v[8:9], 1, v[2:3]
	v_lshlrev_b64 v[10:11], 1, v[4:5]
	s_waitcnt lgkmcnt(0)
	v_mov_b32_e32 v12, s3
	v_add_co_u32_e32 v3, vcc, s2, v8
	v_addc_co_u32_e32 v8, vcc, v12, v9, vcc
	v_add_co_u32_e32 v9, vcc, s2, v10
	v_addc_co_u32_e32 v10, vcc, v12, v11, vcc
	s_mov_b64 s[2:3], 0
.LBB52_3:                               ; =>This Inner Loop Header: Depth=1
	v_add_u32_e32 v4, v7, v1
	v_and_b32_e32 v12, -2, v4
	v_lshrrev_b32_e32 v11, 1, v4
	v_add_co_u32_e32 v12, vcc, v3, v12
	v_xad_u32 v4, v11, -1, v6
	v_addc_co_u32_e32 v13, vcc, 0, v8, vcc
	global_load_ushort v14, v[12:13], off
	v_lshlrev_b64 v[12:13], 1, v[4:5]
	v_add_co_u32_e32 v12, vcc, v9, v12
	v_addc_co_u32_e32 v13, vcc, v10, v13, vcc
	global_load_ushort v4, v[12:13], off
	v_add_u32_e32 v12, 1, v11
	s_waitcnt vmcnt(0)
	v_cmp_gt_i16_e32 vcc, v4, v14
	v_cndmask_b32_e32 v7, v7, v11, vcc
	v_cndmask_b32_e32 v1, v12, v1, vcc
	v_cmp_ge_u32_e32 vcc, v1, v7
	s_or_b64 s[2:3], vcc, s[2:3]
	s_andn2_b64 exec, exec, s[2:3]
	s_cbranch_execnz .LBB52_3
; %bb.4:
	s_or_b64 exec, exec, s[2:3]
.LBB52_5:
	s_or_b64 exec, exec, s[0:1]
	s_load_dwordx2 s[0:1], s[4:5], 0x10
	v_add_u32_e32 v2, v1, v2
	v_mov_b32_e32 v1, 0
	v_lshlrev_b64 v[0:1], 2, v[0:1]
	s_waitcnt lgkmcnt(0)
	v_mov_b32_e32 v3, s1
	v_add_co_u32_e32 v0, vcc, s0, v0
	v_addc_co_u32_e32 v1, vcc, v3, v1, vcc
	global_store_dword v[0:1], v2, off
.LBB52_6:
	s_endpgm
	.section	.rodata,"a",@progbits
	.p2align	6, 0x0
	.amdhsa_kernel _ZN7rocprim17ROCPRIM_304000_NS6detail45device_block_merge_mergepath_partition_kernelINS1_37wrapped_merge_sort_block_merge_configINS0_14default_configEsN2at4cuda3cub6detail10OpaqueTypeILi8EEEEEPsjNS1_19radix_merge_compareILb1ELb0EsNS0_19identity_decomposerEEEEEvT0_T1_jPSH_T2_SH_
		.amdhsa_group_segment_fixed_size 0
		.amdhsa_private_segment_fixed_size 0
		.amdhsa_kernarg_size 32
		.amdhsa_user_sgpr_count 6
		.amdhsa_user_sgpr_private_segment_buffer 1
		.amdhsa_user_sgpr_dispatch_ptr 0
		.amdhsa_user_sgpr_queue_ptr 0
		.amdhsa_user_sgpr_kernarg_segment_ptr 1
		.amdhsa_user_sgpr_dispatch_id 0
		.amdhsa_user_sgpr_flat_scratch_init 0
		.amdhsa_user_sgpr_kernarg_preload_length 0
		.amdhsa_user_sgpr_kernarg_preload_offset 0
		.amdhsa_user_sgpr_private_segment_size 0
		.amdhsa_uses_dynamic_stack 0
		.amdhsa_system_sgpr_private_segment_wavefront_offset 0
		.amdhsa_system_sgpr_workgroup_id_x 1
		.amdhsa_system_sgpr_workgroup_id_y 0
		.amdhsa_system_sgpr_workgroup_id_z 0
		.amdhsa_system_sgpr_workgroup_info 0
		.amdhsa_system_vgpr_workitem_id 0
		.amdhsa_next_free_vgpr 15
		.amdhsa_next_free_sgpr 7
		.amdhsa_accum_offset 16
		.amdhsa_reserve_vcc 1
		.amdhsa_reserve_flat_scratch 0
		.amdhsa_float_round_mode_32 0
		.amdhsa_float_round_mode_16_64 0
		.amdhsa_float_denorm_mode_32 3
		.amdhsa_float_denorm_mode_16_64 3
		.amdhsa_dx10_clamp 1
		.amdhsa_ieee_mode 1
		.amdhsa_fp16_overflow 0
		.amdhsa_tg_split 0
		.amdhsa_exception_fp_ieee_invalid_op 0
		.amdhsa_exception_fp_denorm_src 0
		.amdhsa_exception_fp_ieee_div_zero 0
		.amdhsa_exception_fp_ieee_overflow 0
		.amdhsa_exception_fp_ieee_underflow 0
		.amdhsa_exception_fp_ieee_inexact 0
		.amdhsa_exception_int_div_zero 0
	.end_amdhsa_kernel
	.section	.text._ZN7rocprim17ROCPRIM_304000_NS6detail45device_block_merge_mergepath_partition_kernelINS1_37wrapped_merge_sort_block_merge_configINS0_14default_configEsN2at4cuda3cub6detail10OpaqueTypeILi8EEEEEPsjNS1_19radix_merge_compareILb1ELb0EsNS0_19identity_decomposerEEEEEvT0_T1_jPSH_T2_SH_,"axG",@progbits,_ZN7rocprim17ROCPRIM_304000_NS6detail45device_block_merge_mergepath_partition_kernelINS1_37wrapped_merge_sort_block_merge_configINS0_14default_configEsN2at4cuda3cub6detail10OpaqueTypeILi8EEEEEPsjNS1_19radix_merge_compareILb1ELb0EsNS0_19identity_decomposerEEEEEvT0_T1_jPSH_T2_SH_,comdat
.Lfunc_end52:
	.size	_ZN7rocprim17ROCPRIM_304000_NS6detail45device_block_merge_mergepath_partition_kernelINS1_37wrapped_merge_sort_block_merge_configINS0_14default_configEsN2at4cuda3cub6detail10OpaqueTypeILi8EEEEEPsjNS1_19radix_merge_compareILb1ELb0EsNS0_19identity_decomposerEEEEEvT0_T1_jPSH_T2_SH_, .Lfunc_end52-_ZN7rocprim17ROCPRIM_304000_NS6detail45device_block_merge_mergepath_partition_kernelINS1_37wrapped_merge_sort_block_merge_configINS0_14default_configEsN2at4cuda3cub6detail10OpaqueTypeILi8EEEEEPsjNS1_19radix_merge_compareILb1ELb0EsNS0_19identity_decomposerEEEEEvT0_T1_jPSH_T2_SH_
                                        ; -- End function
	.section	.AMDGPU.csdata,"",@progbits
; Kernel info:
; codeLenInByte = 356
; NumSgprs: 11
; NumVgprs: 15
; NumAgprs: 0
; TotalNumVgprs: 15
; ScratchSize: 0
; MemoryBound: 0
; FloatMode: 240
; IeeeMode: 1
; LDSByteSize: 0 bytes/workgroup (compile time only)
; SGPRBlocks: 1
; VGPRBlocks: 1
; NumSGPRsForWavesPerEU: 11
; NumVGPRsForWavesPerEU: 15
; AccumOffset: 16
; Occupancy: 8
; WaveLimiterHint : 0
; COMPUTE_PGM_RSRC2:SCRATCH_EN: 0
; COMPUTE_PGM_RSRC2:USER_SGPR: 6
; COMPUTE_PGM_RSRC2:TRAP_HANDLER: 0
; COMPUTE_PGM_RSRC2:TGID_X_EN: 1
; COMPUTE_PGM_RSRC2:TGID_Y_EN: 0
; COMPUTE_PGM_RSRC2:TGID_Z_EN: 0
; COMPUTE_PGM_RSRC2:TIDIG_COMP_CNT: 0
; COMPUTE_PGM_RSRC3_GFX90A:ACCUM_OFFSET: 3
; COMPUTE_PGM_RSRC3_GFX90A:TG_SPLIT: 0
	.section	.text._ZN7rocprim17ROCPRIM_304000_NS6detail35device_block_merge_mergepath_kernelINS1_37wrapped_merge_sort_block_merge_configINS0_14default_configEsN2at4cuda3cub6detail10OpaqueTypeILi8EEEEEPsSC_PSA_SD_jNS1_19radix_merge_compareILb1ELb0EsNS0_19identity_decomposerEEEEEvT0_T1_T2_T3_T4_SL_jT5_PKSL_NS1_7vsmem_tE,"axG",@progbits,_ZN7rocprim17ROCPRIM_304000_NS6detail35device_block_merge_mergepath_kernelINS1_37wrapped_merge_sort_block_merge_configINS0_14default_configEsN2at4cuda3cub6detail10OpaqueTypeILi8EEEEEPsSC_PSA_SD_jNS1_19radix_merge_compareILb1ELb0EsNS0_19identity_decomposerEEEEEvT0_T1_T2_T3_T4_SL_jT5_PKSL_NS1_7vsmem_tE,comdat
	.protected	_ZN7rocprim17ROCPRIM_304000_NS6detail35device_block_merge_mergepath_kernelINS1_37wrapped_merge_sort_block_merge_configINS0_14default_configEsN2at4cuda3cub6detail10OpaqueTypeILi8EEEEEPsSC_PSA_SD_jNS1_19radix_merge_compareILb1ELb0EsNS0_19identity_decomposerEEEEEvT0_T1_T2_T3_T4_SL_jT5_PKSL_NS1_7vsmem_tE ; -- Begin function _ZN7rocprim17ROCPRIM_304000_NS6detail35device_block_merge_mergepath_kernelINS1_37wrapped_merge_sort_block_merge_configINS0_14default_configEsN2at4cuda3cub6detail10OpaqueTypeILi8EEEEEPsSC_PSA_SD_jNS1_19radix_merge_compareILb1ELb0EsNS0_19identity_decomposerEEEEEvT0_T1_T2_T3_T4_SL_jT5_PKSL_NS1_7vsmem_tE
	.globl	_ZN7rocprim17ROCPRIM_304000_NS6detail35device_block_merge_mergepath_kernelINS1_37wrapped_merge_sort_block_merge_configINS0_14default_configEsN2at4cuda3cub6detail10OpaqueTypeILi8EEEEEPsSC_PSA_SD_jNS1_19radix_merge_compareILb1ELb0EsNS0_19identity_decomposerEEEEEvT0_T1_T2_T3_T4_SL_jT5_PKSL_NS1_7vsmem_tE
	.p2align	8
	.type	_ZN7rocprim17ROCPRIM_304000_NS6detail35device_block_merge_mergepath_kernelINS1_37wrapped_merge_sort_block_merge_configINS0_14default_configEsN2at4cuda3cub6detail10OpaqueTypeILi8EEEEEPsSC_PSA_SD_jNS1_19radix_merge_compareILb1ELb0EsNS0_19identity_decomposerEEEEEvT0_T1_T2_T3_T4_SL_jT5_PKSL_NS1_7vsmem_tE,@function
_ZN7rocprim17ROCPRIM_304000_NS6detail35device_block_merge_mergepath_kernelINS1_37wrapped_merge_sort_block_merge_configINS0_14default_configEsN2at4cuda3cub6detail10OpaqueTypeILi8EEEEEPsSC_PSA_SD_jNS1_19radix_merge_compareILb1ELb0EsNS0_19identity_decomposerEEEEEvT0_T1_T2_T3_T4_SL_jT5_PKSL_NS1_7vsmem_tE: ; @_ZN7rocprim17ROCPRIM_304000_NS6detail35device_block_merge_mergepath_kernelINS1_37wrapped_merge_sort_block_merge_configINS0_14default_configEsN2at4cuda3cub6detail10OpaqueTypeILi8EEEEEPsSC_PSA_SD_jNS1_19radix_merge_compareILb1ELb0EsNS0_19identity_decomposerEEEEEvT0_T1_T2_T3_T4_SL_jT5_PKSL_NS1_7vsmem_tE
; %bb.0:
	s_load_dwordx2 s[26:27], s[4:5], 0x40
	s_load_dwordx4 s[16:19], s[4:5], 0x20
	s_add_u32 s2, s4, 64
	s_addc_u32 s3, s5, 0
	s_waitcnt lgkmcnt(0)
	s_mul_i32 s0, s27, s8
	s_add_i32 s0, s0, s7
	s_mul_i32 s0, s0, s26
	s_add_i32 s0, s0, s6
	s_cmp_ge_u32 s0, s18
	s_cbranch_scc1 .LBB53_69
; %bb.1:
	s_load_dwordx8 s[8:15], s[4:5], 0x0
	s_load_dwordx2 s[18:19], s[4:5], 0x30
	s_lshr_b32 s29, s16, 10
	s_cmp_lg_u32 s0, s29
	s_mov_b32 s1, 0
	s_cselect_b64 s[20:21], -1, 0
	s_lshl_b64 s[4:5], s[0:1], 2
	s_waitcnt lgkmcnt(0)
	s_add_u32 s4, s18, s4
	s_addc_u32 s5, s19, s5
	s_load_dwordx2 s[22:23], s[4:5], 0x0
	s_lshr_b32 s4, s17, 9
	s_and_b32 s4, s4, 0x7ffffe
	s_sub_i32 s4, 0, s4
	s_and_b32 s5, s0, s4
	s_lshl_b32 s7, s5, 10
	s_lshl_b32 s18, s0, 10
	;; [unrolled: 1-line block ×3, first 2 shown]
	s_sub_i32 s19, s18, s7
	s_add_i32 s5, s5, s17
	s_add_i32 s19, s5, s19
	s_waitcnt lgkmcnt(0)
	s_sub_i32 s24, s19, s22
	s_sub_i32 s19, s19, s23
	;; [unrolled: 1-line block ×3, first 2 shown]
	s_min_u32 s24, s16, s24
	s_addk_i32 s19, 0x400
	s_or_b32 s4, s0, s4
	s_min_u32 s7, s16, s5
	s_add_i32 s5, s5, s17
	s_cmp_eq_u32 s4, -1
	s_cselect_b32 s4, s5, s19
	s_cselect_b32 s5, s7, s23
	s_min_u32 s4, s4, s16
	s_mov_b32 s23, s1
	s_sub_i32 s19, s5, s22
	s_sub_i32 s27, s4, s24
	s_lshl_b64 s[4:5], s[22:23], 1
	s_add_u32 s7, s8, s4
	s_mov_b32 s25, s1
	s_addc_u32 s28, s9, s5
	s_lshl_b64 s[4:5], s[24:25], 1
	s_add_u32 s4, s8, s4
	s_addc_u32 s5, s9, s5
	s_cmp_lt_u32 s6, s26
	v_mov_b32_e32 v3, 0
	s_cselect_b32 s1, 12, 18
	global_load_dword v1, v3, s[2:3] offset:14
	s_add_u32 s2, s2, s1
	s_addc_u32 s3, s3, 0
	global_load_ushort v2, v3, s[2:3]
	v_cmp_gt_u32_e32 vcc, s19, v0
	s_cmp_eq_u32 s0, s29
	s_waitcnt vmcnt(1)
	v_lshrrev_b32_e32 v4, 16, v1
	v_and_b32_e32 v1, 0xffff, v1
	v_mul_lo_u32 v1, v1, v4
	s_waitcnt vmcnt(0)
	v_mul_lo_u32 v8, v1, v2
	v_add_u32_e32 v6, v8, v0
	v_lshlrev_b32_e32 v1, 1, v0
	v_add_u32_e32 v4, v6, v8
	s_cbranch_scc1 .LBB53_3
; %bb.2:
	v_mov_b32_e32 v2, s28
	v_add_co_u32_e64 v5, s[0:1], s7, v1
	v_addc_co_u32_e64 v7, s[0:1], 0, v2, s[0:1]
	v_subrev_u32_e32 v2, s19, v0
	v_lshlrev_b64 v[10:11], 1, v[2:3]
	v_mov_b32_e32 v2, s5
	v_add_co_u32_e64 v9, s[0:1], s4, v10
	v_addc_co_u32_e64 v2, s[0:1], v2, v11, s[0:1]
	v_cndmask_b32_e32 v11, v2, v7, vcc
	v_cndmask_b32_e32 v10, v9, v5, vcc
	v_mov_b32_e32 v7, v3
	global_load_ushort v9, v[10:11], off
	v_lshlrev_b64 v[10:11], 1, v[6:7]
	v_mov_b32_e32 v2, s28
	v_add_co_u32_e32 v5, vcc, s7, v10
	v_addc_co_u32_e32 v7, vcc, v2, v11, vcc
	v_subrev_u32_e32 v2, s19, v6
	v_lshlrev_b64 v[10:11], 1, v[2:3]
	v_mov_b32_e32 v2, s5
	v_add_co_u32_e32 v10, vcc, s4, v10
	v_addc_co_u32_e32 v2, vcc, v2, v11, vcc
	v_cmp_gt_u32_e32 vcc, s19, v6
	v_cndmask_b32_e32 v11, v2, v7, vcc
	v_cndmask_b32_e32 v10, v10, v5, vcc
	v_mov_b32_e32 v5, v3
	global_load_ushort v7, v[10:11], off
	v_lshlrev_b64 v[10:11], 1, v[4:5]
	v_mov_b32_e32 v2, s28
	v_add_co_u32_e32 v5, vcc, s7, v10
	v_addc_co_u32_e32 v12, vcc, v2, v11, vcc
	v_subrev_u32_e32 v2, s19, v4
	v_lshlrev_b64 v[10:11], 1, v[2:3]
	v_mov_b32_e32 v2, s5
	v_add_co_u32_e32 v10, vcc, s4, v10
	v_addc_co_u32_e32 v2, vcc, v2, v11, vcc
	v_cmp_gt_u32_e32 vcc, s19, v4
	v_cndmask_b32_e32 v11, v2, v12, vcc
	v_cndmask_b32_e32 v10, v10, v5, vcc
	v_add_u32_e32 v2, v4, v8
	global_load_ushort v5, v[10:11], off
	v_lshlrev_b64 v[10:11], 1, v[2:3]
	v_mov_b32_e32 v12, s28
	v_add_co_u32_e32 v10, vcc, s7, v10
	v_addc_co_u32_e32 v11, vcc, v12, v11, vcc
	v_cmp_gt_u32_e32 vcc, s19, v2
	v_subrev_u32_e32 v2, s19, v2
	v_lshlrev_b64 v[2:3], 1, v[2:3]
	v_mov_b32_e32 v12, s5
	v_add_co_u32_e64 v2, s[0:1], s4, v2
	v_addc_co_u32_e64 v3, s[0:1], v12, v3, s[0:1]
	v_cndmask_b32_e32 v3, v3, v11, vcc
	v_cndmask_b32_e32 v2, v2, v10, vcc
	global_load_ushort v3, v[2:3], off
	s_mov_b32 s0, 0x5040100
	s_add_i32 s17, s27, s19
	s_waitcnt vmcnt(2)
	v_perm_b32 v2, v7, v9, s0
	s_waitcnt vmcnt(0)
	v_perm_b32 v3, v3, v5, s0
	s_cbranch_execz .LBB53_4
	s_branch .LBB53_11
.LBB53_3:
                                        ; implicit-def: $vgpr2_vgpr3
                                        ; implicit-def: $sgpr17
.LBB53_4:
	s_add_i32 s17, s27, s19
	v_cmp_gt_u32_e32 vcc, s17, v0
                                        ; implicit-def: $vgpr2_vgpr3
	s_and_saveexec_b64 s[0:1], vcc
	s_cbranch_execnz .LBB53_70
; %bb.5:
	s_or_b64 exec, exec, s[0:1]
	v_cmp_gt_u32_e32 vcc, s17, v6
	s_and_saveexec_b64 s[2:3], vcc
	s_cbranch_execnz .LBB53_71
.LBB53_6:
	s_or_b64 exec, exec, s[2:3]
	v_cmp_gt_u32_e32 vcc, s17, v4
	s_and_saveexec_b64 s[0:1], vcc
	s_cbranch_execz .LBB53_8
.LBB53_7:
	v_mov_b32_e32 v5, 0
	v_lshlrev_b64 v[6:7], 1, v[4:5]
	v_mov_b32_e32 v9, s28
	v_add_co_u32_e32 v10, vcc, s7, v6
	v_addc_co_u32_e32 v9, vcc, v9, v7, vcc
	v_subrev_u32_e32 v6, s19, v4
	v_mov_b32_e32 v7, v5
	v_lshlrev_b64 v[6:7], 1, v[6:7]
	v_mov_b32_e32 v5, s5
	v_add_co_u32_e32 v6, vcc, s4, v6
	v_addc_co_u32_e32 v5, vcc, v5, v7, vcc
	v_cmp_gt_u32_e32 vcc, s19, v4
	v_cndmask_b32_e32 v7, v5, v9, vcc
	v_cndmask_b32_e32 v6, v6, v10, vcc
	global_load_ushort v5, v[6:7], off
	s_mov_b32 s2, 0xffff
	s_waitcnt vmcnt(0)
	v_bfi_b32 v3, s2, v5, v3
.LBB53_8:
	s_or_b64 exec, exec, s[0:1]
	v_add_u32_e32 v4, v4, v8
	v_cmp_gt_u32_e32 vcc, s17, v4
	s_and_saveexec_b64 s[2:3], vcc
	s_cbranch_execz .LBB53_10
; %bb.9:
	v_mov_b32_e32 v5, 0
	v_lshlrev_b64 v[6:7], 1, v[4:5]
	v_mov_b32_e32 v8, s28
	v_add_co_u32_e32 v6, vcc, s7, v6
	v_addc_co_u32_e32 v7, vcc, v8, v7, vcc
	v_cmp_gt_u32_e32 vcc, s19, v4
	v_subrev_u32_e32 v4, s19, v4
	v_lshlrev_b64 v[4:5], 1, v[4:5]
	v_mov_b32_e32 v8, s5
	v_add_co_u32_e64 v4, s[0:1], s4, v4
	v_addc_co_u32_e64 v5, s[0:1], v8, v5, s[0:1]
	v_cndmask_b32_e32 v5, v5, v7, vcc
	v_cndmask_b32_e32 v4, v4, v6, vcc
	global_load_ushort v4, v[4:5], off
	s_mov_b32 s0, 0x5040100
	s_waitcnt vmcnt(0)
	v_perm_b32 v3, v4, v3, s0
.LBB53_10:
	s_or_b64 exec, exec, s[2:3]
.LBB53_11:
	v_lshlrev_b32_e32 v8, 2, v0
	v_min_u32_e32 v5, s17, v8
	v_sub_u32_e64 v4, v5, s27 clamp
	v_min_u32_e32 v6, s19, v5
	v_cmp_lt_u32_e32 vcc, v4, v6
	s_waitcnt vmcnt(0)
	ds_write_b16 v1, v2
	ds_write_b16_d16_hi v1, v2 offset:512
	ds_write_b16 v1, v3 offset:1024
	ds_write_b16_d16_hi v1, v3 offset:1536
	s_waitcnt lgkmcnt(0)
	s_barrier
	s_and_saveexec_b64 s[0:1], vcc
	s_cbranch_execz .LBB53_15
; %bb.12:
	v_lshlrev_b32_e32 v7, 1, v5
	v_lshl_add_u32 v7, s19, 1, v7
	s_mov_b64 s[2:3], 0
.LBB53_13:                              ; =>This Inner Loop Header: Depth=1
	v_add_u32_e32 v9, v6, v4
	v_lshrrev_b32_e32 v10, 1, v9
	v_not_b32_e32 v11, v10
	v_and_b32_e32 v9, -2, v9
	v_lshl_add_u32 v11, v11, 1, v7
	ds_read_u16 v9, v9
	ds_read_u16 v11, v11
	v_add_u32_e32 v12, 1, v10
	s_waitcnt lgkmcnt(0)
	v_cmp_gt_i16_e32 vcc, v11, v9
	v_cndmask_b32_e32 v6, v6, v10, vcc
	v_cndmask_b32_e32 v4, v12, v4, vcc
	v_cmp_ge_u32_e32 vcc, v4, v6
	s_or_b64 s[2:3], vcc, s[2:3]
	s_andn2_b64 exec, exec, s[2:3]
	s_cbranch_execnz .LBB53_13
; %bb.14:
	s_or_b64 exec, exec, s[2:3]
.LBB53_15:
	s_or_b64 exec, exec, s[0:1]
	v_sub_u32_e32 v5, v5, v4
	v_add_u32_e32 v5, s19, v5
	v_cmp_ge_u32_e32 vcc, s19, v4
	v_cmp_ge_u32_e64 s[0:1], s17, v5
	s_or_b64 s[0:1], vcc, s[0:1]
                                        ; implicit-def: $vgpr9
                                        ; implicit-def: $vgpr10
                                        ; implicit-def: $vgpr11
                                        ; implicit-def: $vgpr12
	s_and_saveexec_b64 s[8:9], s[0:1]
	s_cbranch_execz .LBB53_21
; %bb.16:
	v_cmp_gt_u32_e32 vcc, s19, v4
                                        ; implicit-def: $vgpr2
	s_and_saveexec_b64 s[0:1], vcc
	s_cbranch_execz .LBB53_18
; %bb.17:
	v_lshlrev_b32_e32 v2, 1, v4
	ds_read_u16 v2, v2
.LBB53_18:
	s_or_b64 exec, exec, s[0:1]
	v_cmp_le_u32_e64 s[0:1], s17, v5
	v_cmp_gt_u32_e64 s[2:3], s17, v5
                                        ; implicit-def: $vgpr3
	s_and_saveexec_b64 s[4:5], s[2:3]
	s_cbranch_execz .LBB53_20
; %bb.19:
	v_lshlrev_b32_e32 v3, 1, v5
	ds_read_u16 v3, v3
.LBB53_20:
	s_or_b64 exec, exec, s[4:5]
	s_waitcnt lgkmcnt(0)
	v_cmp_le_i16_e64 s[2:3], v3, v2
	s_and_b64 s[2:3], vcc, s[2:3]
	s_or_b64 vcc, s[0:1], s[2:3]
	v_mov_b32_e32 v6, s17
	v_mov_b32_e32 v7, s19
	v_cndmask_b32_e32 v12, v5, v4, vcc
	v_cndmask_b32_e32 v9, v6, v7, vcc
	v_add_u32_e32 v10, 1, v12
	v_add_u32_e32 v9, -1, v9
	v_min_u32_e32 v9, v10, v9
	v_lshlrev_b32_e32 v9, 1, v9
	ds_read_u16 v9, v9
	v_cndmask_b32_e32 v4, v4, v10, vcc
	v_cndmask_b32_e32 v5, v10, v5, vcc
	v_cmp_gt_u32_e64 s[2:3], s19, v4
	v_cmp_le_u32_e64 s[0:1], s17, v5
	s_waitcnt lgkmcnt(0)
	v_cndmask_b32_e32 v13, v9, v3, vcc
	v_cndmask_b32_e32 v9, v2, v9, vcc
	v_cmp_le_i16_e64 s[4:5], v13, v9
	s_and_b64 s[2:3], s[2:3], s[4:5]
	s_or_b64 s[0:1], s[0:1], s[2:3]
	v_cndmask_b32_e64 v11, v5, v4, s[0:1]
	v_cndmask_b32_e64 v10, v6, v7, s[0:1]
	v_add_u32_e32 v14, 1, v11
	v_add_u32_e32 v10, -1, v10
	v_min_u32_e32 v10, v14, v10
	v_lshlrev_b32_e32 v10, 1, v10
	ds_read_u16 v10, v10
	v_cndmask_b32_e64 v4, v4, v14, s[0:1]
	v_cndmask_b32_e64 v5, v14, v5, s[0:1]
	v_cmp_gt_u32_e64 s[4:5], s19, v4
	v_cmp_le_u32_e64 s[2:3], s17, v5
	s_waitcnt lgkmcnt(0)
	v_cndmask_b32_e64 v15, v10, v13, s[0:1]
	v_cndmask_b32_e64 v16, v9, v10, s[0:1]
	v_cmp_le_i16_e64 s[6:7], v15, v16
	s_and_b64 s[4:5], s[4:5], s[6:7]
	s_or_b64 s[2:3], s[2:3], s[4:5]
	v_cndmask_b32_e64 v10, v5, v4, s[2:3]
	v_cndmask_b32_e64 v6, v6, v7, s[2:3]
	v_add_u32_e32 v7, 1, v10
	v_add_u32_e32 v6, -1, v6
	v_min_u32_e32 v6, v7, v6
	v_lshlrev_b32_e32 v6, 1, v6
	ds_read_u16 v6, v6
	v_cndmask_b32_e64 v4, v4, v7, s[2:3]
	v_cndmask_b32_e32 v2, v3, v2, vcc
	v_cndmask_b32_e64 v13, v13, v9, s[0:1]
	v_cndmask_b32_e64 v3, v15, v16, s[2:3]
	s_waitcnt lgkmcnt(0)
	v_cndmask_b32_e64 v14, v6, v15, s[2:3]
	v_cndmask_b32_e64 v6, v16, v6, s[2:3]
	;; [unrolled: 1-line block ×3, first 2 shown]
	v_cmp_gt_u32_e64 s[0:1], s19, v4
	v_cmp_le_i16_e64 s[2:3], v14, v6
	v_cmp_le_u32_e32 vcc, s17, v5
	s_and_b64 s[0:1], s[0:1], s[2:3]
	s_or_b64 vcc, vcc, s[0:1]
	v_cndmask_b32_e32 v9, v5, v4, vcc
	v_cndmask_b32_e32 v4, v14, v6, vcc
	s_mov_b32 s0, 0x5040100
	v_perm_b32 v3, v4, v3, s0
	v_perm_b32 v2, v13, v2, s0
.LBB53_21:
	s_or_b64 exec, exec, s[8:9]
	s_lshl_b64 s[0:1], s[22:23], 3
	s_add_u32 s26, s12, s0
	s_addc_u32 s28, s13, s1
	s_lshl_b64 s[0:1], s[24:25], 3
	s_add_u32 s29, s12, s0
	v_cndmask_b32_e64 v4, 0, 1, s[20:21]
	s_addc_u32 s30, s13, s1
	v_cmp_gt_u32_e64 s[4:5], s19, v0
	v_cmp_ne_u32_e64 s[0:1], 1, v4
	s_andn2_b64 vcc, exec, s[20:21]
	v_cmp_le_u32_e64 s[2:3], s19, v0
	s_barrier
	s_cbranch_vccnz .LBB53_23
; %bb.22:
	v_subrev_u32_e32 v4, s19, v0
	v_mov_b32_e32 v5, 0
	v_lshlrev_b64 v[6:7], 3, v[4:5]
	v_mov_b32_e32 v4, s30
	v_add_co_u32_e32 v6, vcc, s29, v6
	v_addc_co_u32_e32 v4, vcc, v4, v7, vcc
	v_lshlrev_b32_e32 v18, 3, v0
	v_mov_b32_e32 v7, s28
	v_add_co_u32_e32 v19, vcc, s26, v18
	v_addc_co_u32_e32 v20, vcc, 0, v7, vcc
	v_cndmask_b32_e64 v7, v4, v20, s[4:5]
	v_cndmask_b32_e64 v6, v6, v19, s[4:5]
	v_or_b32_e32 v13, 0x100, v0
	s_movk_i32 s4, 0x800
	v_add_co_u32_e32 v16, vcc, s4, v19
	v_subrev_u32_e32 v4, s19, v13
	v_addc_co_u32_e32 v17, vcc, 0, v20, vcc
	v_lshlrev_b64 v[14:15], 3, v[4:5]
	v_mov_b32_e32 v4, s30
	v_add_co_u32_e32 v14, vcc, s29, v14
	v_addc_co_u32_e32 v4, vcc, v4, v15, vcc
	v_cmp_gt_u32_e32 vcc, s19, v13
	v_or_b32_e32 v13, 0x200, v0
	s_movk_i32 s4, 0x1000
	v_cndmask_b32_e32 v15, v4, v17, vcc
	v_cndmask_b32_e32 v14, v14, v16, vcc
	v_add_co_u32_e32 v21, vcc, s4, v19
	v_subrev_u32_e32 v4, s19, v13
	v_addc_co_u32_e32 v22, vcc, 0, v20, vcc
	v_lshlrev_b64 v[16:17], 3, v[4:5]
	v_mov_b32_e32 v4, s30
	v_add_co_u32_e32 v16, vcc, s29, v16
	v_addc_co_u32_e32 v4, vcc, v4, v17, vcc
	v_cmp_gt_u32_e32 vcc, s19, v13
	global_load_dwordx2 v[6:7], v[6:7], off
	v_cndmask_b32_e32 v17, v4, v22, vcc
	global_load_dwordx2 v[14:15], v[14:15], off
	v_cndmask_b32_e32 v16, v16, v21, vcc
	global_load_dwordx2 v[16:17], v[16:17], off
	v_or_b32_e32 v21, 0x300, v0
	s_movk_i32 s4, 0x1800
	v_add_co_u32_e32 v19, vcc, s4, v19
	v_subrev_u32_e32 v4, s19, v21
	v_addc_co_u32_e32 v20, vcc, 0, v20, vcc
	v_lshlrev_b64 v[4:5], 3, v[4:5]
	v_mov_b32_e32 v22, s30
	v_add_co_u32_e32 v4, vcc, s29, v4
	v_addc_co_u32_e32 v5, vcc, v22, v5, vcc
	v_cmp_gt_u32_e32 vcc, s19, v21
	v_or_b32_e32 v13, 0x1800, v18
	v_cndmask_b32_e32 v5, v5, v20, vcc
	v_cndmask_b32_e32 v4, v4, v19, vcc
	s_mov_b64 s[4:5], -1
	s_waitcnt vmcnt(1)
	ds_write2st64_b64 v18, v[6:7], v[14:15] offset1:4
	s_waitcnt vmcnt(0)
	ds_write_b64 v18, v[16:17] offset:4096
	s_cbranch_execz .LBB53_24
	s_branch .LBB53_43
.LBB53_23:
	s_mov_b64 s[4:5], 0
                                        ; implicit-def: $vgpr13
                                        ; implicit-def: $vgpr4_vgpr5
.LBB53_24:
	s_mov_b64 s[6:7], 0
                                        ; implicit-def: $vgpr4_vgpr5
	s_and_saveexec_b64 s[8:9], s[2:3]
	s_xor_b64 s[2:3], exec, s[8:9]
	s_cbranch_execnz .LBB53_72
; %bb.25:
	s_andn2_saveexec_b64 s[2:3], s[2:3]
	s_cbranch_execnz .LBB53_75
.LBB53_26:
	s_or_b64 exec, exec, s[2:3]
	v_mad_u32_u24 v13, v0, 6, v1
	s_and_saveexec_b64 s[2:3], s[6:7]
	s_cbranch_execz .LBB53_28
.LBB53_27:
	global_load_dwordx2 v[4:5], v[4:5], off
	s_waitcnt vmcnt(0)
	ds_write_b64 v13, v[4:5]
.LBB53_28:
	s_or_b64 exec, exec, s[2:3]
	v_or_b32_e32 v4, 0x100, v0
	v_cmp_le_u32_e32 vcc, s19, v4
	s_mov_b64 s[6:7], -1
	v_pk_mov_b32 v[6:7], s[22:23], s[22:23] op_sel:[0,1]
	s_and_saveexec_b64 s[2:3], vcc
; %bb.29:
	v_subrev_u32_e32 v4, s19, v4
	v_cmp_gt_u32_e32 vcc, s27, v4
	v_pk_mov_b32 v[6:7], s[24:25], s[24:25] op_sel:[0,1]
	s_orn2_b64 s[6:7], vcc, exec
; %bb.30:
	s_or_b64 exec, exec, s[2:3]
	s_and_saveexec_b64 s[2:3], s[6:7]
	s_cbranch_execz .LBB53_32
; %bb.31:
	v_lshlrev_b64 v[6:7], 3, v[6:7]
	v_mov_b32_e32 v5, s13
	v_add_co_u32_e32 v6, vcc, s12, v6
	v_addc_co_u32_e32 v7, vcc, v5, v7, vcc
	v_mov_b32_e32 v5, 0
	v_lshlrev_b64 v[4:5], 3, v[4:5]
	v_add_co_u32_e32 v4, vcc, v6, v4
	v_addc_co_u32_e32 v5, vcc, v7, v5, vcc
	global_load_dwordx2 v[4:5], v[4:5], off
	s_waitcnt vmcnt(0)
	ds_write_b64 v13, v[4:5] offset:2048
.LBB53_32:
	s_or_b64 exec, exec, s[2:3]
	v_or_b32_e32 v4, 0x200, v0
	v_cmp_le_u32_e32 vcc, s19, v4
	s_mov_b64 s[6:7], -1
	v_pk_mov_b32 v[6:7], s[22:23], s[22:23] op_sel:[0,1]
	s_and_saveexec_b64 s[2:3], vcc
; %bb.33:
	v_subrev_u32_e32 v4, s19, v4
	v_cmp_gt_u32_e32 vcc, s27, v4
	v_pk_mov_b32 v[6:7], s[24:25], s[24:25] op_sel:[0,1]
	s_orn2_b64 s[6:7], vcc, exec
; %bb.34:
	s_or_b64 exec, exec, s[2:3]
	s_and_saveexec_b64 s[2:3], s[6:7]
	s_cbranch_execz .LBB53_36
; %bb.35:
	v_lshlrev_b64 v[6:7], 3, v[6:7]
	v_mov_b32_e32 v5, s13
	v_add_co_u32_e32 v6, vcc, s12, v6
	v_addc_co_u32_e32 v7, vcc, v5, v7, vcc
	v_mov_b32_e32 v5, 0
	v_lshlrev_b64 v[4:5], 3, v[4:5]
	v_add_co_u32_e32 v4, vcc, v6, v4
	v_addc_co_u32_e32 v5, vcc, v7, v5, vcc
	global_load_dwordx2 v[4:5], v[4:5], off
	s_waitcnt vmcnt(0)
	ds_write_b64 v13, v[4:5] offset:4096
.LBB53_36:
	s_or_b64 exec, exec, s[2:3]
	v_or_b32_e32 v6, 0x300, v0
	v_cmp_le_u32_e32 vcc, s19, v6
                                        ; implicit-def: $vgpr13
                                        ; implicit-def: $vgpr4_vgpr5
	s_and_saveexec_b64 s[2:3], vcc
	s_xor_b64 s[2:3], exec, s[2:3]
	s_cbranch_execz .LBB53_40
; %bb.37:
	v_subrev_u32_e32 v6, s19, v6
	v_cmp_gt_u32_e32 vcc, s27, v6
	s_mov_b64 s[8:9], s[4:5]
                                        ; implicit-def: $vgpr13
                                        ; implicit-def: $vgpr4_vgpr5
	s_and_saveexec_b64 s[6:7], vcc
; %bb.38:
	v_mul_u32_u24_e32 v4, 6, v0
	s_movk_i32 s8, 0x1800
	v_mov_b32_e32 v7, 0
	v_add3_u32 v13, v1, v4, s8
	v_lshlrev_b64 v[4:5], 3, v[6:7]
	v_mov_b32_e32 v6, s30
	v_add_co_u32_e32 v4, vcc, s29, v4
	v_addc_co_u32_e32 v5, vcc, v6, v5, vcc
	s_or_b64 s[8:9], s[4:5], exec
; %bb.39:
	s_or_b64 exec, exec, s[6:7]
	s_andn2_b64 s[4:5], s[4:5], exec
	s_and_b64 s[6:7], s[8:9], exec
	s_or_b64 s[4:5], s[4:5], s[6:7]
                                        ; implicit-def: $vgpr6
.LBB53_40:
	s_andn2_saveexec_b64 s[2:3], s[2:3]
; %bb.41:
	v_lshlrev_b32_e32 v4, 3, v6
	v_mov_b32_e32 v5, s28
	v_add_co_u32_e32 v4, vcc, s26, v4
	v_mul_u32_u24_e32 v6, 6, v0
	s_movk_i32 s6, 0x1800
	v_addc_co_u32_e32 v5, vcc, 0, v5, vcc
	v_add3_u32 v13, v1, v6, s6
	s_or_b64 s[4:5], s[4:5], exec
; %bb.42:
	s_or_b64 exec, exec, s[2:3]
.LBB53_43:
	s_and_saveexec_b64 s[2:3], s[4:5]
	s_cbranch_execz .LBB53_45
; %bb.44:
	global_load_dwordx2 v[4:5], v[4:5], off
	s_waitcnt vmcnt(0)
	ds_write_b64 v13, v[4:5]
.LBB53_45:
	s_or_b64 exec, exec, s[2:3]
	s_and_b64 vcc, exec, s[0:1]
	v_add_u32_e32 v4, s18, v8
	s_waitcnt lgkmcnt(0)
	s_barrier
	s_cbranch_vccnz .LBB53_47
; %bb.46:
	v_lshlrev_b32_e32 v13, 3, v12
	v_lshlrev_b32_e32 v16, 3, v11
	;; [unrolled: 1-line block ×3, first 2 shown]
	ds_read_b64 v[14:15], v13
	ds_read_b64 v[16:17], v16
	;; [unrolled: 1-line block ×3, first 2 shown]
	v_mov_b32_e32 v5, 0
	v_lshlrev_b64 v[6:7], 3, v[4:5]
	v_mov_b32_e32 v20, s15
	v_add_co_u32_e32 v6, vcc, s14, v6
	v_addc_co_u32_e32 v7, vcc, v20, v7, vcc
	s_mov_b64 s[0:1], -1
	s_waitcnt lgkmcnt(1)
	global_store_dwordx4 v[6:7], v[14:17], off
	s_waitcnt lgkmcnt(0)
	global_store_dwordx2 v[6:7], v[18:19], off offset:16
	s_cbranch_execz .LBB53_48
	s_branch .LBB53_57
.LBB53_47:
	s_mov_b64 s[0:1], 0
.LBB53_48:
	v_cmp_gt_u32_e32 vcc, s17, v8
	s_and_saveexec_b64 s[2:3], vcc
	s_cbranch_execz .LBB53_50
; %bb.49:
	v_lshlrev_b32_e32 v12, 3, v12
	ds_read_b64 v[12:13], v12
	v_mov_b32_e32 v5, 0
	v_lshlrev_b64 v[6:7], 3, v[4:5]
	v_mov_b32_e32 v5, s15
	v_add_co_u32_e32 v6, vcc, s14, v6
	v_addc_co_u32_e32 v7, vcc, v5, v7, vcc
	s_waitcnt lgkmcnt(0)
	global_store_dwordx2 v[6:7], v[12:13], off
.LBB53_50:
	s_or_b64 exec, exec, s[2:3]
	v_or_b32_e32 v5, 1, v8
	v_cmp_gt_u32_e32 vcc, s17, v5
	s_and_saveexec_b64 s[2:3], vcc
	s_cbranch_execz .LBB53_52
; %bb.51:
	v_lshlrev_b32_e32 v11, 3, v11
	ds_read_b64 v[12:13], v11
	v_mov_b32_e32 v5, 0
	v_lshlrev_b64 v[6:7], 3, v[4:5]
	v_mov_b32_e32 v5, s15
	v_add_co_u32_e32 v6, vcc, s14, v6
	v_addc_co_u32_e32 v7, vcc, v5, v7, vcc
	s_waitcnt lgkmcnt(0)
	global_store_dwordx2 v[6:7], v[12:13], off offset:8
.LBB53_52:
	s_or_b64 exec, exec, s[2:3]
	v_or_b32_e32 v5, 2, v8
	v_cmp_gt_u32_e32 vcc, s17, v5
	s_and_saveexec_b64 s[2:3], vcc
	s_cbranch_execz .LBB53_54
; %bb.53:
	v_lshlrev_b32_e32 v10, 3, v10
	ds_read_b64 v[10:11], v10
	v_mov_b32_e32 v5, 0
	v_lshlrev_b64 v[6:7], 3, v[4:5]
	v_mov_b32_e32 v5, s15
	v_add_co_u32_e32 v6, vcc, s14, v6
	v_addc_co_u32_e32 v7, vcc, v5, v7, vcc
	s_waitcnt lgkmcnt(0)
	global_store_dwordx2 v[6:7], v[10:11], off offset:16
.LBB53_54:
	s_or_b64 exec, exec, s[2:3]
	v_or_b32_e32 v5, 3, v8
	v_cmp_gt_u32_e32 vcc, s17, v5
	s_and_saveexec_b64 s[2:3], vcc
; %bb.55:
	v_mov_b32_e32 v5, 0
	s_or_b64 s[0:1], s[0:1], exec
; %bb.56:
	s_or_b64 exec, exec, s[2:3]
.LBB53_57:
	s_and_saveexec_b64 s[2:3], s[0:1]
	s_cbranch_execz .LBB53_59
; %bb.58:
	v_lshlrev_b32_e32 v6, 3, v9
	ds_read_b64 v[6:7], v6
	v_lshlrev_b64 v[4:5], 3, v[4:5]
	v_mov_b32_e32 v10, s15
	v_add_co_u32_e32 v4, vcc, s14, v4
	v_addc_co_u32_e32 v5, vcc, v10, v5, vcc
	s_waitcnt lgkmcnt(0)
	global_store_dwordx2 v[4:5], v[6:7], off offset:24
.LBB53_59:
	s_or_b64 exec, exec, s[2:3]
	v_lshrrev_b32_e32 v4, 2, v0
	v_and_b32_e32 v4, 60, v4
	v_lshl_add_u32 v4, v8, 1, v4
	s_barrier
	s_barrier
	ds_write2_b32 v4, v2, v3 offset1:1
	v_lshrrev_b32_e32 v2, 4, v0
	v_and_b32_e32 v2, 12, v2
	v_or_b32_e32 v6, 0x100, v0
	v_add_u32_e32 v7, v1, v2
	v_lshrrev_b32_e32 v2, 4, v6
	v_and_b32_e32 v2, 28, v2
	v_or_b32_e32 v5, 0x200, v0
	s_mov_b32 s19, 0
	v_add_u32_e32 v8, v1, v2
	v_lshrrev_b32_e32 v2, 4, v5
	s_lshl_b64 s[0:1], s[18:19], 1
	v_and_b32_e32 v2, 44, v2
	v_or_b32_e32 v4, 0x300, v0
	s_add_u32 s0, s10, s0
	v_add_u32_e32 v9, v1, v2
	v_lshrrev_b32_e32 v2, 4, v4
	s_addc_u32 s1, s11, s1
	v_and_b32_e32 v2, 60, v2
	v_add_u32_e32 v10, v1, v2
	v_mov_b32_e32 v3, s1
	v_add_co_u32_e32 v2, vcc, s0, v1
	v_addc_co_u32_e32 v3, vcc, 0, v3, vcc
	s_and_b64 vcc, exec, s[20:21]
	s_waitcnt lgkmcnt(0)
	s_cbranch_vccz .LBB53_61
; %bb.60:
	s_barrier
	ds_read_u16 v11, v7
	ds_read_u16 v12, v8 offset:512
	ds_read_u16 v13, v9 offset:1024
	;; [unrolled: 1-line block ×3, first 2 shown]
	s_waitcnt lgkmcnt(3)
	global_store_short v[2:3], v11, off
	s_waitcnt lgkmcnt(2)
	global_store_short v[2:3], v12, off offset:512
	s_waitcnt lgkmcnt(1)
	global_store_short v[2:3], v13, off offset:1024
	s_mov_b64 s[0:1], -1
	s_cbranch_execz .LBB53_62
	s_branch .LBB53_67
.LBB53_61:
	s_mov_b64 s[0:1], 0
                                        ; implicit-def: $vgpr1
.LBB53_62:
	s_barrier
	s_waitcnt lgkmcnt(0)
	ds_read_u16 v11, v8 offset:512
	ds_read_u16 v8, v9 offset:1024
	;; [unrolled: 1-line block ×3, first 2 shown]
	s_sub_i32 s2, s16, s18
	v_cmp_gt_u32_e32 vcc, s2, v0
	s_and_saveexec_b64 s[0:1], vcc
	s_cbranch_execnz .LBB53_76
; %bb.63:
	s_or_b64 exec, exec, s[0:1]
	v_cmp_gt_u32_e32 vcc, s2, v6
	s_and_saveexec_b64 s[0:1], vcc
	s_cbranch_execnz .LBB53_77
.LBB53_64:
	s_or_b64 exec, exec, s[0:1]
	v_cmp_gt_u32_e32 vcc, s2, v5
	s_and_saveexec_b64 s[0:1], vcc
	s_cbranch_execz .LBB53_66
.LBB53_65:
	s_waitcnt lgkmcnt(1)
	global_store_short v[2:3], v8, off offset:1024
.LBB53_66:
	s_or_b64 exec, exec, s[0:1]
	v_cmp_gt_u32_e64 s[0:1], s2, v4
.LBB53_67:
	s_and_saveexec_b64 s[2:3], s[0:1]
	s_cbranch_execz .LBB53_69
; %bb.68:
	s_waitcnt lgkmcnt(0)
	global_store_short v[2:3], v1, off offset:1536
.LBB53_69:
	s_endpgm
.LBB53_70:
	v_mov_b32_e32 v2, s28
	v_add_co_u32_e32 v5, vcc, s7, v1
	v_mov_b32_e32 v3, 0
	v_addc_co_u32_e32 v7, vcc, 0, v2, vcc
	v_subrev_u32_e32 v2, s19, v0
	v_lshlrev_b64 v[2:3], 1, v[2:3]
	v_mov_b32_e32 v9, s5
	v_add_co_u32_e32 v2, vcc, s4, v2
	v_addc_co_u32_e32 v3, vcc, v9, v3, vcc
	v_cmp_gt_u32_e32 vcc, s19, v0
	v_cndmask_b32_e32 v3, v3, v7, vcc
	v_cndmask_b32_e32 v2, v2, v5, vcc
	global_load_ushort v2, v[2:3], off
	s_or_b64 exec, exec, s[0:1]
	v_cmp_gt_u32_e32 vcc, s17, v6
	s_and_saveexec_b64 s[2:3], vcc
	s_cbranch_execz .LBB53_6
.LBB53_71:
	v_mov_b32_e32 v7, 0
	v_lshlrev_b64 v[10:11], 1, v[6:7]
	v_mov_b32_e32 v5, s28
	v_add_co_u32_e32 v9, vcc, s7, v10
	v_addc_co_u32_e32 v5, vcc, v5, v11, vcc
	v_cmp_gt_u32_e32 vcc, s19, v6
	v_subrev_u32_e32 v6, s19, v6
	v_lshlrev_b64 v[6:7], 1, v[6:7]
	v_mov_b32_e32 v10, s5
	v_add_co_u32_e64 v6, s[0:1], s4, v6
	v_addc_co_u32_e64 v7, s[0:1], v10, v7, s[0:1]
	v_cndmask_b32_e32 v7, v7, v5, vcc
	v_cndmask_b32_e32 v6, v6, v9, vcc
	global_load_ushort v5, v[6:7], off
	s_mov_b32 s0, 0x5040100
	s_waitcnt vmcnt(0)
	v_perm_b32 v2, v5, v2, s0
	s_or_b64 exec, exec, s[2:3]
	v_cmp_gt_u32_e32 vcc, s17, v4
	s_and_saveexec_b64 s[0:1], vcc
	s_cbranch_execnz .LBB53_7
	s_branch .LBB53_8
.LBB53_72:
	v_subrev_u32_e32 v6, s19, v0
	v_cmp_gt_u32_e32 vcc, s27, v6
                                        ; implicit-def: $vgpr4_vgpr5
	s_and_saveexec_b64 s[8:9], vcc
	s_xor_b64 s[8:9], exec, s[8:9]
; %bb.73:
	v_mov_b32_e32 v7, 0
	v_lshlrev_b64 v[4:5], 3, v[6:7]
	v_mov_b32_e32 v6, s30
	v_add_co_u32_e32 v4, vcc, s29, v4
	s_mov_b64 s[6:7], exec
	v_addc_co_u32_e32 v5, vcc, v6, v5, vcc
; %bb.74:
	s_or_b64 exec, exec, s[8:9]
	s_and_b64 s[6:7], s[6:7], exec
	s_andn2_saveexec_b64 s[2:3], s[2:3]
	s_cbranch_execz .LBB53_26
.LBB53_75:
	v_lshlrev_b32_e32 v4, 3, v0
	v_mov_b32_e32 v5, s28
	v_add_co_u32_e32 v4, vcc, s26, v4
	v_addc_co_u32_e32 v5, vcc, 0, v5, vcc
	s_or_b64 s[6:7], s[6:7], exec
	s_or_b64 exec, exec, s[2:3]
	v_mad_u32_u24 v13, v0, 6, v1
	s_and_saveexec_b64 s[2:3], s[6:7]
	s_cbranch_execnz .LBB53_27
	s_branch .LBB53_28
.LBB53_76:
	ds_read_u16 v0, v7
	s_waitcnt lgkmcnt(0)
	global_store_short v[2:3], v0, off
	s_or_b64 exec, exec, s[0:1]
	v_cmp_gt_u32_e32 vcc, s2, v6
	s_and_saveexec_b64 s[0:1], vcc
	s_cbranch_execz .LBB53_64
.LBB53_77:
	s_waitcnt lgkmcnt(2)
	global_store_short v[2:3], v11, off offset:512
	s_or_b64 exec, exec, s[0:1]
	v_cmp_gt_u32_e32 vcc, s2, v5
	s_and_saveexec_b64 s[0:1], vcc
	s_cbranch_execnz .LBB53_65
	s_branch .LBB53_66
	.section	.rodata,"a",@progbits
	.p2align	6, 0x0
	.amdhsa_kernel _ZN7rocprim17ROCPRIM_304000_NS6detail35device_block_merge_mergepath_kernelINS1_37wrapped_merge_sort_block_merge_configINS0_14default_configEsN2at4cuda3cub6detail10OpaqueTypeILi8EEEEEPsSC_PSA_SD_jNS1_19radix_merge_compareILb1ELb0EsNS0_19identity_decomposerEEEEEvT0_T1_T2_T3_T4_SL_jT5_PKSL_NS1_7vsmem_tE
		.amdhsa_group_segment_fixed_size 8208
		.amdhsa_private_segment_fixed_size 0
		.amdhsa_kernarg_size 320
		.amdhsa_user_sgpr_count 6
		.amdhsa_user_sgpr_private_segment_buffer 1
		.amdhsa_user_sgpr_dispatch_ptr 0
		.amdhsa_user_sgpr_queue_ptr 0
		.amdhsa_user_sgpr_kernarg_segment_ptr 1
		.amdhsa_user_sgpr_dispatch_id 0
		.amdhsa_user_sgpr_flat_scratch_init 0
		.amdhsa_user_sgpr_kernarg_preload_length 0
		.amdhsa_user_sgpr_kernarg_preload_offset 0
		.amdhsa_user_sgpr_private_segment_size 0
		.amdhsa_uses_dynamic_stack 0
		.amdhsa_system_sgpr_private_segment_wavefront_offset 0
		.amdhsa_system_sgpr_workgroup_id_x 1
		.amdhsa_system_sgpr_workgroup_id_y 1
		.amdhsa_system_sgpr_workgroup_id_z 1
		.amdhsa_system_sgpr_workgroup_info 0
		.amdhsa_system_vgpr_workitem_id 0
		.amdhsa_next_free_vgpr 23
		.amdhsa_next_free_sgpr 31
		.amdhsa_accum_offset 24
		.amdhsa_reserve_vcc 1
		.amdhsa_reserve_flat_scratch 0
		.amdhsa_float_round_mode_32 0
		.amdhsa_float_round_mode_16_64 0
		.amdhsa_float_denorm_mode_32 3
		.amdhsa_float_denorm_mode_16_64 3
		.amdhsa_dx10_clamp 1
		.amdhsa_ieee_mode 1
		.amdhsa_fp16_overflow 0
		.amdhsa_tg_split 0
		.amdhsa_exception_fp_ieee_invalid_op 0
		.amdhsa_exception_fp_denorm_src 0
		.amdhsa_exception_fp_ieee_div_zero 0
		.amdhsa_exception_fp_ieee_overflow 0
		.amdhsa_exception_fp_ieee_underflow 0
		.amdhsa_exception_fp_ieee_inexact 0
		.amdhsa_exception_int_div_zero 0
	.end_amdhsa_kernel
	.section	.text._ZN7rocprim17ROCPRIM_304000_NS6detail35device_block_merge_mergepath_kernelINS1_37wrapped_merge_sort_block_merge_configINS0_14default_configEsN2at4cuda3cub6detail10OpaqueTypeILi8EEEEEPsSC_PSA_SD_jNS1_19radix_merge_compareILb1ELb0EsNS0_19identity_decomposerEEEEEvT0_T1_T2_T3_T4_SL_jT5_PKSL_NS1_7vsmem_tE,"axG",@progbits,_ZN7rocprim17ROCPRIM_304000_NS6detail35device_block_merge_mergepath_kernelINS1_37wrapped_merge_sort_block_merge_configINS0_14default_configEsN2at4cuda3cub6detail10OpaqueTypeILi8EEEEEPsSC_PSA_SD_jNS1_19radix_merge_compareILb1ELb0EsNS0_19identity_decomposerEEEEEvT0_T1_T2_T3_T4_SL_jT5_PKSL_NS1_7vsmem_tE,comdat
.Lfunc_end53:
	.size	_ZN7rocprim17ROCPRIM_304000_NS6detail35device_block_merge_mergepath_kernelINS1_37wrapped_merge_sort_block_merge_configINS0_14default_configEsN2at4cuda3cub6detail10OpaqueTypeILi8EEEEEPsSC_PSA_SD_jNS1_19radix_merge_compareILb1ELb0EsNS0_19identity_decomposerEEEEEvT0_T1_T2_T3_T4_SL_jT5_PKSL_NS1_7vsmem_tE, .Lfunc_end53-_ZN7rocprim17ROCPRIM_304000_NS6detail35device_block_merge_mergepath_kernelINS1_37wrapped_merge_sort_block_merge_configINS0_14default_configEsN2at4cuda3cub6detail10OpaqueTypeILi8EEEEEPsSC_PSA_SD_jNS1_19radix_merge_compareILb1ELb0EsNS0_19identity_decomposerEEEEEvT0_T1_T2_T3_T4_SL_jT5_PKSL_NS1_7vsmem_tE
                                        ; -- End function
	.section	.AMDGPU.csdata,"",@progbits
; Kernel info:
; codeLenInByte = 3564
; NumSgprs: 35
; NumVgprs: 23
; NumAgprs: 0
; TotalNumVgprs: 23
; ScratchSize: 0
; MemoryBound: 1
; FloatMode: 240
; IeeeMode: 1
; LDSByteSize: 8208 bytes/workgroup (compile time only)
; SGPRBlocks: 4
; VGPRBlocks: 2
; NumSGPRsForWavesPerEU: 35
; NumVGPRsForWavesPerEU: 23
; AccumOffset: 24
; Occupancy: 7
; WaveLimiterHint : 1
; COMPUTE_PGM_RSRC2:SCRATCH_EN: 0
; COMPUTE_PGM_RSRC2:USER_SGPR: 6
; COMPUTE_PGM_RSRC2:TRAP_HANDLER: 0
; COMPUTE_PGM_RSRC2:TGID_X_EN: 1
; COMPUTE_PGM_RSRC2:TGID_Y_EN: 1
; COMPUTE_PGM_RSRC2:TGID_Z_EN: 1
; COMPUTE_PGM_RSRC2:TIDIG_COMP_CNT: 0
; COMPUTE_PGM_RSRC3_GFX90A:ACCUM_OFFSET: 5
; COMPUTE_PGM_RSRC3_GFX90A:TG_SPLIT: 0
	.section	.text._ZN7rocprim17ROCPRIM_304000_NS6detail33device_block_merge_oddeven_kernelINS1_37wrapped_merge_sort_block_merge_configINS0_14default_configEsN2at4cuda3cub6detail10OpaqueTypeILi8EEEEEPsSC_PSA_SD_jNS1_19radix_merge_compareILb1ELb0EsNS0_19identity_decomposerEEEEEvT0_T1_T2_T3_T4_SL_T5_,"axG",@progbits,_ZN7rocprim17ROCPRIM_304000_NS6detail33device_block_merge_oddeven_kernelINS1_37wrapped_merge_sort_block_merge_configINS0_14default_configEsN2at4cuda3cub6detail10OpaqueTypeILi8EEEEEPsSC_PSA_SD_jNS1_19radix_merge_compareILb1ELb0EsNS0_19identity_decomposerEEEEEvT0_T1_T2_T3_T4_SL_T5_,comdat
	.protected	_ZN7rocprim17ROCPRIM_304000_NS6detail33device_block_merge_oddeven_kernelINS1_37wrapped_merge_sort_block_merge_configINS0_14default_configEsN2at4cuda3cub6detail10OpaqueTypeILi8EEEEEPsSC_PSA_SD_jNS1_19radix_merge_compareILb1ELb0EsNS0_19identity_decomposerEEEEEvT0_T1_T2_T3_T4_SL_T5_ ; -- Begin function _ZN7rocprim17ROCPRIM_304000_NS6detail33device_block_merge_oddeven_kernelINS1_37wrapped_merge_sort_block_merge_configINS0_14default_configEsN2at4cuda3cub6detail10OpaqueTypeILi8EEEEEPsSC_PSA_SD_jNS1_19radix_merge_compareILb1ELb0EsNS0_19identity_decomposerEEEEEvT0_T1_T2_T3_T4_SL_T5_
	.globl	_ZN7rocprim17ROCPRIM_304000_NS6detail33device_block_merge_oddeven_kernelINS1_37wrapped_merge_sort_block_merge_configINS0_14default_configEsN2at4cuda3cub6detail10OpaqueTypeILi8EEEEEPsSC_PSA_SD_jNS1_19radix_merge_compareILb1ELb0EsNS0_19identity_decomposerEEEEEvT0_T1_T2_T3_T4_SL_T5_
	.p2align	8
	.type	_ZN7rocprim17ROCPRIM_304000_NS6detail33device_block_merge_oddeven_kernelINS1_37wrapped_merge_sort_block_merge_configINS0_14default_configEsN2at4cuda3cub6detail10OpaqueTypeILi8EEEEEPsSC_PSA_SD_jNS1_19radix_merge_compareILb1ELb0EsNS0_19identity_decomposerEEEEEvT0_T1_T2_T3_T4_SL_T5_,@function
_ZN7rocprim17ROCPRIM_304000_NS6detail33device_block_merge_oddeven_kernelINS1_37wrapped_merge_sort_block_merge_configINS0_14default_configEsN2at4cuda3cub6detail10OpaqueTypeILi8EEEEEPsSC_PSA_SD_jNS1_19radix_merge_compareILb1ELb0EsNS0_19identity_decomposerEEEEEvT0_T1_T2_T3_T4_SL_T5_: ; @_ZN7rocprim17ROCPRIM_304000_NS6detail33device_block_merge_oddeven_kernelINS1_37wrapped_merge_sort_block_merge_configINS0_14default_configEsN2at4cuda3cub6detail10OpaqueTypeILi8EEEEEPsSC_PSA_SD_jNS1_19radix_merge_compareILb1ELb0EsNS0_19identity_decomposerEEEEEvT0_T1_T2_T3_T4_SL_T5_
; %bb.0:
	s_load_dwordx2 s[16:17], s[4:5], 0x20
	s_waitcnt lgkmcnt(0)
	s_lshr_b32 s2, s16, 8
	s_cmp_lg_u32 s6, s2
	s_cselect_b64 s[0:1], -1, 0
	s_cmp_eq_u32 s6, s2
	s_cselect_b64 s[18:19], -1, 0
	s_lshl_b32 s20, s6, 8
	s_sub_i32 s2, s16, s20
	v_cmp_gt_u32_e64 s[2:3], s2, v0
	s_or_b64 s[0:1], s[0:1], s[2:3]
	s_and_saveexec_b64 s[8:9], s[0:1]
	s_cbranch_execz .LBB54_26
; %bb.1:
	s_load_dwordx8 s[8:15], s[4:5], 0x0
	s_mov_b32 s21, 0
	s_lshl_b64 s[0:1], s[20:21], 1
	v_lshlrev_b32_e32 v4, 3, v0
	v_lshlrev_b32_e32 v1, 1, v0
	s_waitcnt lgkmcnt(0)
	s_add_u32 s0, s8, s0
	s_addc_u32 s1, s9, s1
	s_lshl_b64 s[4:5], s[20:21], 3
	s_add_u32 s4, s12, s4
	s_addc_u32 s5, s13, s5
	global_load_dwordx2 v[2:3], v4, s[4:5]
	global_load_ushort v6, v1, s[0:1]
	s_lshr_b32 s0, s17, 8
	s_sub_i32 s1, 0, s0
	s_and_b32 s1, s6, s1
	s_and_b32 s0, s1, s0
	s_lshl_b32 s22, s1, 8
	s_sub_i32 s6, 0, s17
	s_cmp_eq_u32 s0, 0
	s_cselect_b64 s[0:1], -1, 0
	s_and_b64 s[4:5], s[0:1], exec
	s_cselect_b32 s21, s17, s6
	s_add_i32 s21, s21, s22
	s_cmp_lt_u32 s21, s16
	v_add_u32_e32 v4, s20, v0
	s_cbranch_scc1 .LBB54_6
; %bb.2:
	s_and_b64 vcc, exec, s[18:19]
	s_cbranch_vccz .LBB54_7
; %bb.3:
	v_cmp_gt_u32_e32 vcc, s16, v4
	s_mov_b64 s[6:7], 0
	s_mov_b64 s[4:5], 0
                                        ; implicit-def: $vgpr0_vgpr1
	s_and_saveexec_b64 s[12:13], vcc
	s_cbranch_execz .LBB54_5
; %bb.4:
	v_mov_b32_e32 v5, 0
	v_lshlrev_b64 v[0:1], 3, v[4:5]
	v_mov_b32_e32 v7, s15
	v_add_co_u32_e32 v0, vcc, s14, v0
	v_addc_co_u32_e32 v1, vcc, v7, v1, vcc
	v_lshlrev_b64 v[8:9], 1, v[4:5]
	v_mov_b32_e32 v5, s11
	v_add_co_u32_e32 v8, vcc, s10, v8
	s_mov_b64 s[4:5], exec
	v_addc_co_u32_e32 v9, vcc, v5, v9, vcc
	s_waitcnt vmcnt(0)
	global_store_short v[8:9], v6, off
.LBB54_5:
	s_or_b64 exec, exec, s[12:13]
	s_and_b64 vcc, exec, s[6:7]
	s_cbranch_vccnz .LBB54_8
	s_branch .LBB54_9
.LBB54_6:
	s_mov_b64 s[4:5], 0
                                        ; implicit-def: $vgpr0_vgpr1
	s_cbranch_execnz .LBB54_10
	s_branch .LBB54_24
.LBB54_7:
	s_mov_b64 s[4:5], 0
                                        ; implicit-def: $vgpr0_vgpr1
	s_cbranch_execz .LBB54_9
.LBB54_8:
	v_mov_b32_e32 v5, 0
	v_lshlrev_b64 v[0:1], 1, v[4:5]
	v_mov_b32_e32 v7, s11
	v_add_co_u32_e32 v0, vcc, s10, v0
	v_addc_co_u32_e32 v1, vcc, v7, v1, vcc
	s_waitcnt vmcnt(0)
	global_store_short v[0:1], v6, off
	v_lshlrev_b64 v[0:1], 3, v[4:5]
	v_mov_b32_e32 v5, s15
	v_add_co_u32_e32 v0, vcc, s14, v0
	v_addc_co_u32_e32 v1, vcc, v5, v1, vcc
	s_or_b64 s[4:5], s[4:5], exec
.LBB54_9:
	s_branch .LBB54_24
.LBB54_10:
	s_min_u32 s12, s21, s16
	s_add_i32 s6, s12, s17
	s_min_u32 s13, s6, s16
	s_min_u32 s6, s22, s12
	s_add_i32 s22, s22, s12
	v_subrev_u32_e32 v0, s22, v4
	v_add_u32_e32 v4, s6, v0
	s_and_b64 vcc, exec, s[18:19]
	s_cbranch_vccz .LBB54_18
; %bb.11:
                                        ; implicit-def: $vgpr0_vgpr1
	s_and_saveexec_b64 s[6:7], s[2:3]
	s_cbranch_execz .LBB54_17
; %bb.12:
	s_cmp_ge_u32 s21, s13
	v_mov_b32_e32 v0, s12
	s_cbranch_scc1 .LBB54_16
; %bb.13:
	s_mov_b64 s[2:3], 0
	v_mov_b32_e32 v1, s13
	v_mov_b32_e32 v0, s12
.LBB54_14:                              ; =>This Inner Loop Header: Depth=1
	v_add_u32_e32 v5, v0, v1
	v_and_b32_e32 v7, -2, v5
	global_load_ushort v7, v7, s[8:9]
	v_lshrrev_b32_e32 v5, 1, v5
	v_add_u32_e32 v8, 1, v5
	s_waitcnt vmcnt(0)
	v_cmp_gt_i16_e32 vcc, v7, v6
	v_cndmask_b32_e64 v9, 0, 1, vcc
	v_cmp_le_i16_e32 vcc, v6, v7
	v_cndmask_b32_e64 v7, 0, 1, vcc
	v_cndmask_b32_e64 v7, v7, v9, s[0:1]
	v_and_b32_e32 v7, 1, v7
	v_cmp_eq_u32_e32 vcc, 1, v7
	v_cndmask_b32_e32 v1, v5, v1, vcc
	v_cndmask_b32_e32 v0, v0, v8, vcc
	v_cmp_ge_u32_e32 vcc, v0, v1
	s_or_b64 s[2:3], vcc, s[2:3]
	s_andn2_b64 exec, exec, s[2:3]
	s_cbranch_execnz .LBB54_14
; %bb.15:
	s_or_b64 exec, exec, s[2:3]
.LBB54_16:
	v_add_u32_e32 v0, v0, v4
	v_mov_b32_e32 v1, 0
	v_lshlrev_b64 v[8:9], 1, v[0:1]
	v_mov_b32_e32 v5, s11
	v_add_co_u32_e32 v8, vcc, s10, v8
	v_addc_co_u32_e32 v9, vcc, v5, v9, vcc
	v_lshlrev_b64 v[0:1], 3, v[0:1]
	v_mov_b32_e32 v5, s15
	v_add_co_u32_e32 v0, vcc, s14, v0
	s_waitcnt vmcnt(0)
	global_store_short v[8:9], v6, off
	v_addc_co_u32_e32 v1, vcc, v5, v1, vcc
	s_or_b64 s[4:5], s[4:5], exec
.LBB54_17:
	s_or_b64 exec, exec, s[6:7]
	s_branch .LBB54_24
.LBB54_18:
                                        ; implicit-def: $vgpr0_vgpr1
	s_cbranch_execz .LBB54_24
; %bb.19:
	s_cmp_ge_u32 s21, s13
	v_mov_b32_e32 v0, s12
	s_cbranch_scc1 .LBB54_23
; %bb.20:
	s_mov_b64 s[2:3], 0
	v_mov_b32_e32 v1, s13
	v_mov_b32_e32 v0, s12
.LBB54_21:                              ; =>This Inner Loop Header: Depth=1
	v_add_u32_e32 v5, v0, v1
	v_and_b32_e32 v7, -2, v5
	global_load_ushort v7, v7, s[8:9]
	v_lshrrev_b32_e32 v5, 1, v5
	v_add_u32_e32 v8, 1, v5
	s_waitcnt vmcnt(0)
	v_cmp_gt_i16_e32 vcc, v7, v6
	v_cndmask_b32_e64 v9, 0, 1, vcc
	v_cmp_le_i16_e32 vcc, v6, v7
	v_cndmask_b32_e64 v7, 0, 1, vcc
	v_cndmask_b32_e64 v7, v7, v9, s[0:1]
	v_and_b32_e32 v7, 1, v7
	v_cmp_eq_u32_e32 vcc, 1, v7
	v_cndmask_b32_e32 v1, v5, v1, vcc
	v_cndmask_b32_e32 v0, v0, v8, vcc
	v_cmp_ge_u32_e32 vcc, v0, v1
	s_or_b64 s[2:3], vcc, s[2:3]
	s_andn2_b64 exec, exec, s[2:3]
	s_cbranch_execnz .LBB54_21
; %bb.22:
	s_or_b64 exec, exec, s[2:3]
.LBB54_23:
	v_add_u32_e32 v0, v0, v4
	v_mov_b32_e32 v1, 0
	v_lshlrev_b64 v[4:5], 1, v[0:1]
	v_mov_b32_e32 v7, s11
	v_add_co_u32_e32 v4, vcc, s10, v4
	v_addc_co_u32_e32 v5, vcc, v7, v5, vcc
	v_lshlrev_b64 v[0:1], 3, v[0:1]
	s_waitcnt vmcnt(0)
	global_store_short v[4:5], v6, off
	v_mov_b32_e32 v4, s15
	v_add_co_u32_e32 v0, vcc, s14, v0
	v_addc_co_u32_e32 v1, vcc, v4, v1, vcc
	s_mov_b64 s[4:5], -1
.LBB54_24:
	s_and_b64 exec, exec, s[4:5]
	s_cbranch_execz .LBB54_26
; %bb.25:
	s_waitcnt vmcnt(1)
	global_store_dwordx2 v[0:1], v[2:3], off
.LBB54_26:
	s_endpgm
	.section	.rodata,"a",@progbits
	.p2align	6, 0x0
	.amdhsa_kernel _ZN7rocprim17ROCPRIM_304000_NS6detail33device_block_merge_oddeven_kernelINS1_37wrapped_merge_sort_block_merge_configINS0_14default_configEsN2at4cuda3cub6detail10OpaqueTypeILi8EEEEEPsSC_PSA_SD_jNS1_19radix_merge_compareILb1ELb0EsNS0_19identity_decomposerEEEEEvT0_T1_T2_T3_T4_SL_T5_
		.amdhsa_group_segment_fixed_size 0
		.amdhsa_private_segment_fixed_size 0
		.amdhsa_kernarg_size 44
		.amdhsa_user_sgpr_count 6
		.amdhsa_user_sgpr_private_segment_buffer 1
		.amdhsa_user_sgpr_dispatch_ptr 0
		.amdhsa_user_sgpr_queue_ptr 0
		.amdhsa_user_sgpr_kernarg_segment_ptr 1
		.amdhsa_user_sgpr_dispatch_id 0
		.amdhsa_user_sgpr_flat_scratch_init 0
		.amdhsa_user_sgpr_kernarg_preload_length 0
		.amdhsa_user_sgpr_kernarg_preload_offset 0
		.amdhsa_user_sgpr_private_segment_size 0
		.amdhsa_uses_dynamic_stack 0
		.amdhsa_system_sgpr_private_segment_wavefront_offset 0
		.amdhsa_system_sgpr_workgroup_id_x 1
		.amdhsa_system_sgpr_workgroup_id_y 0
		.amdhsa_system_sgpr_workgroup_id_z 0
		.amdhsa_system_sgpr_workgroup_info 0
		.amdhsa_system_vgpr_workitem_id 0
		.amdhsa_next_free_vgpr 10
		.amdhsa_next_free_sgpr 23
		.amdhsa_accum_offset 12
		.amdhsa_reserve_vcc 1
		.amdhsa_reserve_flat_scratch 0
		.amdhsa_float_round_mode_32 0
		.amdhsa_float_round_mode_16_64 0
		.amdhsa_float_denorm_mode_32 3
		.amdhsa_float_denorm_mode_16_64 3
		.amdhsa_dx10_clamp 1
		.amdhsa_ieee_mode 1
		.amdhsa_fp16_overflow 0
		.amdhsa_tg_split 0
		.amdhsa_exception_fp_ieee_invalid_op 0
		.amdhsa_exception_fp_denorm_src 0
		.amdhsa_exception_fp_ieee_div_zero 0
		.amdhsa_exception_fp_ieee_overflow 0
		.amdhsa_exception_fp_ieee_underflow 0
		.amdhsa_exception_fp_ieee_inexact 0
		.amdhsa_exception_int_div_zero 0
	.end_amdhsa_kernel
	.section	.text._ZN7rocprim17ROCPRIM_304000_NS6detail33device_block_merge_oddeven_kernelINS1_37wrapped_merge_sort_block_merge_configINS0_14default_configEsN2at4cuda3cub6detail10OpaqueTypeILi8EEEEEPsSC_PSA_SD_jNS1_19radix_merge_compareILb1ELb0EsNS0_19identity_decomposerEEEEEvT0_T1_T2_T3_T4_SL_T5_,"axG",@progbits,_ZN7rocprim17ROCPRIM_304000_NS6detail33device_block_merge_oddeven_kernelINS1_37wrapped_merge_sort_block_merge_configINS0_14default_configEsN2at4cuda3cub6detail10OpaqueTypeILi8EEEEEPsSC_PSA_SD_jNS1_19radix_merge_compareILb1ELb0EsNS0_19identity_decomposerEEEEEvT0_T1_T2_T3_T4_SL_T5_,comdat
.Lfunc_end54:
	.size	_ZN7rocprim17ROCPRIM_304000_NS6detail33device_block_merge_oddeven_kernelINS1_37wrapped_merge_sort_block_merge_configINS0_14default_configEsN2at4cuda3cub6detail10OpaqueTypeILi8EEEEEPsSC_PSA_SD_jNS1_19radix_merge_compareILb1ELb0EsNS0_19identity_decomposerEEEEEvT0_T1_T2_T3_T4_SL_T5_, .Lfunc_end54-_ZN7rocprim17ROCPRIM_304000_NS6detail33device_block_merge_oddeven_kernelINS1_37wrapped_merge_sort_block_merge_configINS0_14default_configEsN2at4cuda3cub6detail10OpaqueTypeILi8EEEEEPsSC_PSA_SD_jNS1_19radix_merge_compareILb1ELb0EsNS0_19identity_decomposerEEEEEvT0_T1_T2_T3_T4_SL_T5_
                                        ; -- End function
	.section	.AMDGPU.csdata,"",@progbits
; Kernel info:
; codeLenInByte = 816
; NumSgprs: 27
; NumVgprs: 10
; NumAgprs: 0
; TotalNumVgprs: 10
; ScratchSize: 0
; MemoryBound: 0
; FloatMode: 240
; IeeeMode: 1
; LDSByteSize: 0 bytes/workgroup (compile time only)
; SGPRBlocks: 3
; VGPRBlocks: 1
; NumSGPRsForWavesPerEU: 27
; NumVGPRsForWavesPerEU: 10
; AccumOffset: 12
; Occupancy: 8
; WaveLimiterHint : 0
; COMPUTE_PGM_RSRC2:SCRATCH_EN: 0
; COMPUTE_PGM_RSRC2:USER_SGPR: 6
; COMPUTE_PGM_RSRC2:TRAP_HANDLER: 0
; COMPUTE_PGM_RSRC2:TGID_X_EN: 1
; COMPUTE_PGM_RSRC2:TGID_Y_EN: 0
; COMPUTE_PGM_RSRC2:TGID_Z_EN: 0
; COMPUTE_PGM_RSRC2:TIDIG_COMP_CNT: 0
; COMPUTE_PGM_RSRC3_GFX90A:ACCUM_OFFSET: 2
; COMPUTE_PGM_RSRC3_GFX90A:TG_SPLIT: 0
	.section	.text._ZN7rocprim17ROCPRIM_304000_NS6detail16transform_kernelINS1_24wrapped_transform_configINS0_14default_configEsEEsPsS6_NS0_8identityIsEEEEvT1_mT2_T3_,"axG",@progbits,_ZN7rocprim17ROCPRIM_304000_NS6detail16transform_kernelINS1_24wrapped_transform_configINS0_14default_configEsEEsPsS6_NS0_8identityIsEEEEvT1_mT2_T3_,comdat
	.protected	_ZN7rocprim17ROCPRIM_304000_NS6detail16transform_kernelINS1_24wrapped_transform_configINS0_14default_configEsEEsPsS6_NS0_8identityIsEEEEvT1_mT2_T3_ ; -- Begin function _ZN7rocprim17ROCPRIM_304000_NS6detail16transform_kernelINS1_24wrapped_transform_configINS0_14default_configEsEEsPsS6_NS0_8identityIsEEEEvT1_mT2_T3_
	.globl	_ZN7rocprim17ROCPRIM_304000_NS6detail16transform_kernelINS1_24wrapped_transform_configINS0_14default_configEsEEsPsS6_NS0_8identityIsEEEEvT1_mT2_T3_
	.p2align	8
	.type	_ZN7rocprim17ROCPRIM_304000_NS6detail16transform_kernelINS1_24wrapped_transform_configINS0_14default_configEsEEsPsS6_NS0_8identityIsEEEEvT1_mT2_T3_,@function
_ZN7rocprim17ROCPRIM_304000_NS6detail16transform_kernelINS1_24wrapped_transform_configINS0_14default_configEsEEsPsS6_NS0_8identityIsEEEEvT1_mT2_T3_: ; @_ZN7rocprim17ROCPRIM_304000_NS6detail16transform_kernelINS1_24wrapped_transform_configINS0_14default_configEsEEsPsS6_NS0_8identityIsEEEEvT1_mT2_T3_
; %bb.0:
	s_load_dword s7, s[4:5], 0x20
	s_load_dwordx4 s[0:3], s[4:5], 0x0
	s_load_dwordx2 s[16:17], s[4:5], 0x10
	s_lshl_b32 s4, s6, 9
	s_mov_b32 s5, 0
	s_waitcnt lgkmcnt(0)
	s_add_i32 s7, s7, -1
	s_lshl_b64 s[18:19], s[4:5], 1
	s_add_u32 s0, s0, s18
	s_addc_u32 s1, s1, s19
	v_lshlrev_b32_e32 v8, 1, v0
	v_mov_b32_e32 v1, s1
	v_add_co_u32_e32 v6, vcc, s0, v8
	s_cmp_lg_u32 s6, s7
	v_addc_co_u32_e32 v7, vcc, 0, v1, vcc
	s_cbranch_scc0 .LBB55_2
; %bb.1:
	global_load_ushort v2, v[6:7], off
	global_load_ushort v3, v[6:7], off offset:128
	global_load_ushort v4, v[6:7], off offset:256
	;; [unrolled: 1-line block ×7, first 2 shown]
	s_add_u32 s6, s16, s18
	s_addc_u32 s7, s17, s19
	s_mov_b64 s[20:21], -1
	s_waitcnt vmcnt(7)
	global_store_short v8, v2, s[6:7]
	s_waitcnt vmcnt(7)
	global_store_short v8, v3, s[6:7] offset:128
	s_waitcnt vmcnt(7)
	global_store_short v8, v4, s[6:7] offset:256
	;; [unrolled: 2-line block ×6, first 2 shown]
	s_cbranch_execz .LBB55_3
	s_branch .LBB55_32
.LBB55_2:
	s_mov_b64 s[20:21], 0
                                        ; implicit-def: $vgpr1
.LBB55_3:
	s_sub_i32 s14, s2, s4
	v_cmp_gt_u32_e32 vcc, s14, v0
                                        ; implicit-def: $vgpr2_vgpr3_vgpr4_vgpr5
	s_and_saveexec_b64 s[0:1], vcc
	s_cbranch_execz .LBB55_5
; %bb.4:
	global_load_ushort v2, v[6:7], off
.LBB55_5:
	s_or_b64 exec, exec, s[0:1]
	s_waitcnt vmcnt(7)
	v_or_b32_e32 v1, 64, v0
	v_cmp_gt_u32_e64 s[0:1], s14, v1
	s_and_saveexec_b64 s[2:3], s[0:1]
	s_cbranch_execz .LBB55_7
; %bb.6:
	global_load_ushort v1, v[6:7], off offset:128
	s_mov_b32 s4, 0x5040100
	s_waitcnt vmcnt(0)
	v_perm_b32 v2, v1, v2, s4
.LBB55_7:
	s_or_b64 exec, exec, s[2:3]
	v_or_b32_e32 v1, 0x80, v0
	v_cmp_gt_u32_e64 s[2:3], s14, v1
	s_and_saveexec_b64 s[4:5], s[2:3]
	s_cbranch_execz .LBB55_9
; %bb.8:
	global_load_ushort v1, v[6:7], off offset:256
	s_mov_b32 s6, 0xffff
	s_waitcnt vmcnt(0)
	v_bfi_b32 v3, s6, v1, v3
.LBB55_9:
	s_or_b64 exec, exec, s[4:5]
	v_or_b32_e32 v1, 0xc0, v0
	v_cmp_gt_u32_e64 s[4:5], s14, v1
	s_and_saveexec_b64 s[6:7], s[4:5]
	s_cbranch_execz .LBB55_11
; %bb.10:
	global_load_ushort v1, v[6:7], off offset:384
	s_mov_b32 s8, 0x5040100
	s_waitcnt vmcnt(0)
	v_perm_b32 v3, v1, v3, s8
.LBB55_11:
	s_or_b64 exec, exec, s[6:7]
	v_or_b32_e32 v1, 0x100, v0
	v_cmp_gt_u32_e64 s[6:7], s14, v1
	s_and_saveexec_b64 s[8:9], s[6:7]
	s_cbranch_execz .LBB55_13
; %bb.12:
	global_load_ushort v1, v[6:7], off offset:512
	s_mov_b32 s10, 0xffff
	s_waitcnt vmcnt(0)
	v_bfi_b32 v4, s10, v1, v4
.LBB55_13:
	s_or_b64 exec, exec, s[8:9]
	;; [unrolled: 22-line block ×3, first 2 shown]
	v_or_b32_e32 v0, 0x1c0, v0
	v_cmp_gt_u32_e64 s[12:13], s14, v0
	s_and_saveexec_b64 s[14:15], s[12:13]
	s_cbranch_execz .LBB55_19
; %bb.18:
	global_load_ushort v0, v[6:7], off offset:896
	s_mov_b32 s22, 0x5040100
	s_waitcnt vmcnt(0)
	v_perm_b32 v5, v0, v5, s22
.LBB55_19:
	s_or_b64 exec, exec, s[14:15]
	s_add_u32 s14, s16, s18
	s_addc_u32 s15, s17, s19
	v_mov_b32_e32 v1, s15
	v_add_co_u32_e64 v0, s[14:15], s14, v8
	v_addc_co_u32_e64 v1, s[14:15], 0, v1, s[14:15]
	s_and_saveexec_b64 s[14:15], vcc
	s_cbranch_execnz .LBB55_35
; %bb.20:
	s_or_b64 exec, exec, s[14:15]
	s_and_saveexec_b64 s[14:15], s[0:1]
	s_cbranch_execnz .LBB55_36
.LBB55_21:
	s_or_b64 exec, exec, s[14:15]
	s_mov_b32 s14, 0xffff
	s_and_saveexec_b64 s[0:1], s[2:3]
	s_cbranch_execz .LBB55_23
.LBB55_22:
	global_store_short v[0:1], v3, off offset:256
.LBB55_23:
	s_or_b64 exec, exec, s[0:1]
	s_waitcnt vmcnt(0)
	v_bfi_b32 v2, s14, v3, v3
	v_cndmask_b32_e64 v2, v2, v3, s[4:5]
	s_and_saveexec_b64 s[0:1], s[4:5]
	s_cbranch_execz .LBB55_25
; %bb.24:
	global_store_short_d16_hi v[0:1], v2, off offset:384
.LBB55_25:
	s_or_b64 exec, exec, s[0:1]
	s_mov_b32 s2, 0xffff
	v_cndmask_b32_e64 v2, v4, v4, s[6:7]
	s_and_saveexec_b64 s[0:1], s[6:7]
	s_cbranch_execz .LBB55_27
; %bb.26:
	global_store_short v[0:1], v2, off offset:512
.LBB55_27:
	s_or_b64 exec, exec, s[0:1]
	v_bfi_b32 v2, s2, v2, v4
	v_cndmask_b32_e64 v2, v2, v4, s[8:9]
	s_and_saveexec_b64 s[0:1], s[8:9]
	s_cbranch_execnz .LBB55_37
; %bb.28:
	s_or_b64 exec, exec, s[0:1]
	s_and_saveexec_b64 s[0:1], s[10:11]
	s_cbranch_execnz .LBB55_38
.LBB55_29:
	s_or_b64 exec, exec, s[0:1]
                                        ; implicit-def: $vgpr1
	s_and_saveexec_b64 s[0:1], s[12:13]
.LBB55_30:
	v_cndmask_b32_e64 v0, v5, v5, s[12:13]
	v_lshrrev_b32_e32 v1, 16, v0
	s_or_b64 s[20:21], s[20:21], exec
.LBB55_31:
	s_or_b64 exec, exec, s[0:1]
.LBB55_32:
	s_and_saveexec_b64 s[0:1], s[20:21]
	s_cbranch_execnz .LBB55_34
; %bb.33:
	s_endpgm
.LBB55_34:
	s_add_u32 s0, s16, s18
	s_addc_u32 s1, s17, s19
	s_waitcnt vmcnt(7)
	global_store_short v8, v1, s[0:1] offset:896
	s_endpgm
.LBB55_35:
	s_waitcnt vmcnt(0)
	global_store_short v[0:1], v2, off
	s_or_b64 exec, exec, s[14:15]
	s_and_saveexec_b64 s[14:15], s[0:1]
	s_cbranch_execz .LBB55_21
.LBB55_36:
	s_waitcnt vmcnt(0)
	global_store_short_d16_hi v[0:1], v2, off offset:128
	s_or_b64 exec, exec, s[14:15]
	s_mov_b32 s14, 0xffff
	s_and_saveexec_b64 s[0:1], s[2:3]
	s_cbranch_execnz .LBB55_22
	s_branch .LBB55_23
.LBB55_37:
	global_store_short_d16_hi v[0:1], v2, off offset:640
	s_or_b64 exec, exec, s[0:1]
	s_and_saveexec_b64 s[0:1], s[10:11]
	s_cbranch_execz .LBB55_29
.LBB55_38:
	v_cndmask_b32_e64 v2, v5, v5, s[10:11]
	global_store_short v[0:1], v2, off offset:768
	s_or_b64 exec, exec, s[0:1]
                                        ; implicit-def: $vgpr1
	s_and_saveexec_b64 s[0:1], s[12:13]
	s_cbranch_execnz .LBB55_30
	s_branch .LBB55_31
	.section	.rodata,"a",@progbits
	.p2align	6, 0x0
	.amdhsa_kernel _ZN7rocprim17ROCPRIM_304000_NS6detail16transform_kernelINS1_24wrapped_transform_configINS0_14default_configEsEEsPsS6_NS0_8identityIsEEEEvT1_mT2_T3_
		.amdhsa_group_segment_fixed_size 0
		.amdhsa_private_segment_fixed_size 0
		.amdhsa_kernarg_size 288
		.amdhsa_user_sgpr_count 6
		.amdhsa_user_sgpr_private_segment_buffer 1
		.amdhsa_user_sgpr_dispatch_ptr 0
		.amdhsa_user_sgpr_queue_ptr 0
		.amdhsa_user_sgpr_kernarg_segment_ptr 1
		.amdhsa_user_sgpr_dispatch_id 0
		.amdhsa_user_sgpr_flat_scratch_init 0
		.amdhsa_user_sgpr_kernarg_preload_length 0
		.amdhsa_user_sgpr_kernarg_preload_offset 0
		.amdhsa_user_sgpr_private_segment_size 0
		.amdhsa_uses_dynamic_stack 0
		.amdhsa_system_sgpr_private_segment_wavefront_offset 0
		.amdhsa_system_sgpr_workgroup_id_x 1
		.amdhsa_system_sgpr_workgroup_id_y 0
		.amdhsa_system_sgpr_workgroup_id_z 0
		.amdhsa_system_sgpr_workgroup_info 0
		.amdhsa_system_vgpr_workitem_id 0
		.amdhsa_next_free_vgpr 12
		.amdhsa_next_free_sgpr 23
		.amdhsa_accum_offset 12
		.amdhsa_reserve_vcc 1
		.amdhsa_reserve_flat_scratch 0
		.amdhsa_float_round_mode_32 0
		.amdhsa_float_round_mode_16_64 0
		.amdhsa_float_denorm_mode_32 3
		.amdhsa_float_denorm_mode_16_64 3
		.amdhsa_dx10_clamp 1
		.amdhsa_ieee_mode 1
		.amdhsa_fp16_overflow 0
		.amdhsa_tg_split 0
		.amdhsa_exception_fp_ieee_invalid_op 0
		.amdhsa_exception_fp_denorm_src 0
		.amdhsa_exception_fp_ieee_div_zero 0
		.amdhsa_exception_fp_ieee_overflow 0
		.amdhsa_exception_fp_ieee_underflow 0
		.amdhsa_exception_fp_ieee_inexact 0
		.amdhsa_exception_int_div_zero 0
	.end_amdhsa_kernel
	.section	.text._ZN7rocprim17ROCPRIM_304000_NS6detail16transform_kernelINS1_24wrapped_transform_configINS0_14default_configEsEEsPsS6_NS0_8identityIsEEEEvT1_mT2_T3_,"axG",@progbits,_ZN7rocprim17ROCPRIM_304000_NS6detail16transform_kernelINS1_24wrapped_transform_configINS0_14default_configEsEEsPsS6_NS0_8identityIsEEEEvT1_mT2_T3_,comdat
.Lfunc_end55:
	.size	_ZN7rocprim17ROCPRIM_304000_NS6detail16transform_kernelINS1_24wrapped_transform_configINS0_14default_configEsEEsPsS6_NS0_8identityIsEEEEvT1_mT2_T3_, .Lfunc_end55-_ZN7rocprim17ROCPRIM_304000_NS6detail16transform_kernelINS1_24wrapped_transform_configINS0_14default_configEsEEsPsS6_NS0_8identityIsEEEEvT1_mT2_T3_
                                        ; -- End function
	.section	.AMDGPU.csdata,"",@progbits
; Kernel info:
; codeLenInByte = 1036
; NumSgprs: 27
; NumVgprs: 12
; NumAgprs: 0
; TotalNumVgprs: 12
; ScratchSize: 0
; MemoryBound: 0
; FloatMode: 240
; IeeeMode: 1
; LDSByteSize: 0 bytes/workgroup (compile time only)
; SGPRBlocks: 3
; VGPRBlocks: 1
; NumSGPRsForWavesPerEU: 27
; NumVGPRsForWavesPerEU: 12
; AccumOffset: 12
; Occupancy: 8
; WaveLimiterHint : 1
; COMPUTE_PGM_RSRC2:SCRATCH_EN: 0
; COMPUTE_PGM_RSRC2:USER_SGPR: 6
; COMPUTE_PGM_RSRC2:TRAP_HANDLER: 0
; COMPUTE_PGM_RSRC2:TGID_X_EN: 1
; COMPUTE_PGM_RSRC2:TGID_Y_EN: 0
; COMPUTE_PGM_RSRC2:TGID_Z_EN: 0
; COMPUTE_PGM_RSRC2:TIDIG_COMP_CNT: 0
; COMPUTE_PGM_RSRC3_GFX90A:ACCUM_OFFSET: 2
; COMPUTE_PGM_RSRC3_GFX90A:TG_SPLIT: 0
	.section	.text._ZN7rocprim17ROCPRIM_304000_NS6detail45device_block_merge_mergepath_partition_kernelINS1_37wrapped_merge_sort_block_merge_configINS0_14default_configEsN2at4cuda3cub6detail10OpaqueTypeILi8EEEEEPsjNS1_19radix_merge_compareILb1ELb1EsNS0_19identity_decomposerEEEEEvT0_T1_jPSH_T2_SH_,"axG",@progbits,_ZN7rocprim17ROCPRIM_304000_NS6detail45device_block_merge_mergepath_partition_kernelINS1_37wrapped_merge_sort_block_merge_configINS0_14default_configEsN2at4cuda3cub6detail10OpaqueTypeILi8EEEEEPsjNS1_19radix_merge_compareILb1ELb1EsNS0_19identity_decomposerEEEEEvT0_T1_jPSH_T2_SH_,comdat
	.protected	_ZN7rocprim17ROCPRIM_304000_NS6detail45device_block_merge_mergepath_partition_kernelINS1_37wrapped_merge_sort_block_merge_configINS0_14default_configEsN2at4cuda3cub6detail10OpaqueTypeILi8EEEEEPsjNS1_19radix_merge_compareILb1ELb1EsNS0_19identity_decomposerEEEEEvT0_T1_jPSH_T2_SH_ ; -- Begin function _ZN7rocprim17ROCPRIM_304000_NS6detail45device_block_merge_mergepath_partition_kernelINS1_37wrapped_merge_sort_block_merge_configINS0_14default_configEsN2at4cuda3cub6detail10OpaqueTypeILi8EEEEEPsjNS1_19radix_merge_compareILb1ELb1EsNS0_19identity_decomposerEEEEEvT0_T1_jPSH_T2_SH_
	.globl	_ZN7rocprim17ROCPRIM_304000_NS6detail45device_block_merge_mergepath_partition_kernelINS1_37wrapped_merge_sort_block_merge_configINS0_14default_configEsN2at4cuda3cub6detail10OpaqueTypeILi8EEEEEPsjNS1_19radix_merge_compareILb1ELb1EsNS0_19identity_decomposerEEEEEvT0_T1_jPSH_T2_SH_
	.p2align	8
	.type	_ZN7rocprim17ROCPRIM_304000_NS6detail45device_block_merge_mergepath_partition_kernelINS1_37wrapped_merge_sort_block_merge_configINS0_14default_configEsN2at4cuda3cub6detail10OpaqueTypeILi8EEEEEPsjNS1_19radix_merge_compareILb1ELb1EsNS0_19identity_decomposerEEEEEvT0_T1_jPSH_T2_SH_,@function
_ZN7rocprim17ROCPRIM_304000_NS6detail45device_block_merge_mergepath_partition_kernelINS1_37wrapped_merge_sort_block_merge_configINS0_14default_configEsN2at4cuda3cub6detail10OpaqueTypeILi8EEEEEPsjNS1_19radix_merge_compareILb1ELb1EsNS0_19identity_decomposerEEEEEvT0_T1_jPSH_T2_SH_: ; @_ZN7rocprim17ROCPRIM_304000_NS6detail45device_block_merge_mergepath_partition_kernelINS1_37wrapped_merge_sort_block_merge_configINS0_14default_configEsN2at4cuda3cub6detail10OpaqueTypeILi8EEEEEPsjNS1_19radix_merge_compareILb1ELb1EsNS0_19identity_decomposerEEEEEvT0_T1_jPSH_T2_SH_
; %bb.0:
	s_load_dwordx2 s[2:3], s[4:5], 0x8
	v_lshl_or_b32 v0, s6, 7, v0
	s_waitcnt lgkmcnt(0)
	v_cmp_gt_u32_e32 vcc, s3, v0
	s_and_saveexec_b64 s[0:1], vcc
	s_cbranch_execz .LBB56_6
; %bb.1:
	s_load_dwordx2 s[0:1], s[4:5], 0x18
	s_waitcnt lgkmcnt(0)
	s_lshr_b32 s3, s1, 9
	s_and_b32 s3, s3, 0x7ffffe
	s_add_i32 s6, s3, -1
	s_sub_i32 s3, 0, s3
	v_and_b32_e32 v1, s3, v0
	v_and_b32_e32 v2, s6, v0
	v_lshlrev_b32_e32 v1, 10, v1
	v_lshlrev_b32_e32 v3, 10, v2
	v_min_u32_e32 v2, s2, v1
	v_add_u32_e32 v1, s1, v1
	v_min_u32_e32 v4, s2, v1
	v_add_u32_e32 v1, s1, v4
	v_min_u32_e32 v1, s2, v1
	v_sub_u32_e32 v5, v1, v2
	v_min_u32_e32 v6, v5, v3
	v_sub_u32_e32 v3, v4, v2
	v_sub_u32_e32 v1, v1, v4
	v_sub_u32_e64 v1, v6, v1 clamp
	v_min_u32_e32 v7, v6, v3
	v_cmp_lt_u32_e32 vcc, v1, v7
	s_and_saveexec_b64 s[2:3], vcc
	s_cbranch_execz .LBB56_5
; %bb.2:
	s_load_dwordx2 s[6:7], s[4:5], 0x0
	v_mov_b32_e32 v5, 0
	v_mov_b32_e32 v3, v5
	v_lshlrev_b64 v[8:9], 1, v[2:3]
	v_lshlrev_b64 v[10:11], 1, v[4:5]
	s_waitcnt lgkmcnt(0)
	v_mov_b32_e32 v12, s7
	v_add_co_u32_e32 v3, vcc, s6, v8
	v_addc_co_u32_e32 v8, vcc, v12, v9, vcc
	v_add_co_u32_e32 v9, vcc, s6, v10
	v_addc_co_u32_e32 v10, vcc, v12, v11, vcc
	s_mov_b64 s[6:7], 0
.LBB56_3:                               ; =>This Inner Loop Header: Depth=1
	v_add_u32_e32 v4, v7, v1
	v_and_b32_e32 v12, -2, v4
	v_lshrrev_b32_e32 v11, 1, v4
	v_add_co_u32_e32 v12, vcc, v3, v12
	v_xad_u32 v4, v11, -1, v6
	v_addc_co_u32_e32 v13, vcc, 0, v8, vcc
	global_load_ushort v14, v[12:13], off
	v_lshlrev_b64 v[12:13], 1, v[4:5]
	v_add_co_u32_e32 v12, vcc, v9, v12
	v_addc_co_u32_e32 v13, vcc, v10, v13, vcc
	global_load_ushort v4, v[12:13], off
	v_add_u32_e32 v12, 1, v11
	s_waitcnt vmcnt(1)
	v_and_b32_e32 v13, s0, v14
	s_waitcnt vmcnt(0)
	v_and_b32_e32 v4, s0, v4
	v_cmp_gt_i16_e32 vcc, v4, v13
	v_cndmask_b32_e32 v7, v7, v11, vcc
	v_cndmask_b32_e32 v1, v12, v1, vcc
	v_cmp_ge_u32_e32 vcc, v1, v7
	s_or_b64 s[6:7], vcc, s[6:7]
	s_andn2_b64 exec, exec, s[6:7]
	s_cbranch_execnz .LBB56_3
; %bb.4:
	s_or_b64 exec, exec, s[6:7]
.LBB56_5:
	s_or_b64 exec, exec, s[2:3]
	s_load_dwordx2 s[0:1], s[4:5], 0x10
	v_add_u32_e32 v2, v1, v2
	v_mov_b32_e32 v1, 0
	v_lshlrev_b64 v[0:1], 2, v[0:1]
	s_waitcnt lgkmcnt(0)
	v_mov_b32_e32 v3, s1
	v_add_co_u32_e32 v0, vcc, s0, v0
	v_addc_co_u32_e32 v1, vcc, v3, v1, vcc
	global_store_dword v[0:1], v2, off
.LBB56_6:
	s_endpgm
	.section	.rodata,"a",@progbits
	.p2align	6, 0x0
	.amdhsa_kernel _ZN7rocprim17ROCPRIM_304000_NS6detail45device_block_merge_mergepath_partition_kernelINS1_37wrapped_merge_sort_block_merge_configINS0_14default_configEsN2at4cuda3cub6detail10OpaqueTypeILi8EEEEEPsjNS1_19radix_merge_compareILb1ELb1EsNS0_19identity_decomposerEEEEEvT0_T1_jPSH_T2_SH_
		.amdhsa_group_segment_fixed_size 0
		.amdhsa_private_segment_fixed_size 0
		.amdhsa_kernarg_size 32
		.amdhsa_user_sgpr_count 6
		.amdhsa_user_sgpr_private_segment_buffer 1
		.amdhsa_user_sgpr_dispatch_ptr 0
		.amdhsa_user_sgpr_queue_ptr 0
		.amdhsa_user_sgpr_kernarg_segment_ptr 1
		.amdhsa_user_sgpr_dispatch_id 0
		.amdhsa_user_sgpr_flat_scratch_init 0
		.amdhsa_user_sgpr_kernarg_preload_length 0
		.amdhsa_user_sgpr_kernarg_preload_offset 0
		.amdhsa_user_sgpr_private_segment_size 0
		.amdhsa_uses_dynamic_stack 0
		.amdhsa_system_sgpr_private_segment_wavefront_offset 0
		.amdhsa_system_sgpr_workgroup_id_x 1
		.amdhsa_system_sgpr_workgroup_id_y 0
		.amdhsa_system_sgpr_workgroup_id_z 0
		.amdhsa_system_sgpr_workgroup_info 0
		.amdhsa_system_vgpr_workitem_id 0
		.amdhsa_next_free_vgpr 15
		.amdhsa_next_free_sgpr 8
		.amdhsa_accum_offset 16
		.amdhsa_reserve_vcc 1
		.amdhsa_reserve_flat_scratch 0
		.amdhsa_float_round_mode_32 0
		.amdhsa_float_round_mode_16_64 0
		.amdhsa_float_denorm_mode_32 3
		.amdhsa_float_denorm_mode_16_64 3
		.amdhsa_dx10_clamp 1
		.amdhsa_ieee_mode 1
		.amdhsa_fp16_overflow 0
		.amdhsa_tg_split 0
		.amdhsa_exception_fp_ieee_invalid_op 0
		.amdhsa_exception_fp_denorm_src 0
		.amdhsa_exception_fp_ieee_div_zero 0
		.amdhsa_exception_fp_ieee_overflow 0
		.amdhsa_exception_fp_ieee_underflow 0
		.amdhsa_exception_fp_ieee_inexact 0
		.amdhsa_exception_int_div_zero 0
	.end_amdhsa_kernel
	.section	.text._ZN7rocprim17ROCPRIM_304000_NS6detail45device_block_merge_mergepath_partition_kernelINS1_37wrapped_merge_sort_block_merge_configINS0_14default_configEsN2at4cuda3cub6detail10OpaqueTypeILi8EEEEEPsjNS1_19radix_merge_compareILb1ELb1EsNS0_19identity_decomposerEEEEEvT0_T1_jPSH_T2_SH_,"axG",@progbits,_ZN7rocprim17ROCPRIM_304000_NS6detail45device_block_merge_mergepath_partition_kernelINS1_37wrapped_merge_sort_block_merge_configINS0_14default_configEsN2at4cuda3cub6detail10OpaqueTypeILi8EEEEEPsjNS1_19radix_merge_compareILb1ELb1EsNS0_19identity_decomposerEEEEEvT0_T1_jPSH_T2_SH_,comdat
.Lfunc_end56:
	.size	_ZN7rocprim17ROCPRIM_304000_NS6detail45device_block_merge_mergepath_partition_kernelINS1_37wrapped_merge_sort_block_merge_configINS0_14default_configEsN2at4cuda3cub6detail10OpaqueTypeILi8EEEEEPsjNS1_19radix_merge_compareILb1ELb1EsNS0_19identity_decomposerEEEEEvT0_T1_jPSH_T2_SH_, .Lfunc_end56-_ZN7rocprim17ROCPRIM_304000_NS6detail45device_block_merge_mergepath_partition_kernelINS1_37wrapped_merge_sort_block_merge_configINS0_14default_configEsN2at4cuda3cub6detail10OpaqueTypeILi8EEEEEPsjNS1_19radix_merge_compareILb1ELb1EsNS0_19identity_decomposerEEEEEvT0_T1_jPSH_T2_SH_
                                        ; -- End function
	.section	.AMDGPU.csdata,"",@progbits
; Kernel info:
; codeLenInByte = 368
; NumSgprs: 12
; NumVgprs: 15
; NumAgprs: 0
; TotalNumVgprs: 15
; ScratchSize: 0
; MemoryBound: 0
; FloatMode: 240
; IeeeMode: 1
; LDSByteSize: 0 bytes/workgroup (compile time only)
; SGPRBlocks: 1
; VGPRBlocks: 1
; NumSGPRsForWavesPerEU: 12
; NumVGPRsForWavesPerEU: 15
; AccumOffset: 16
; Occupancy: 8
; WaveLimiterHint : 0
; COMPUTE_PGM_RSRC2:SCRATCH_EN: 0
; COMPUTE_PGM_RSRC2:USER_SGPR: 6
; COMPUTE_PGM_RSRC2:TRAP_HANDLER: 0
; COMPUTE_PGM_RSRC2:TGID_X_EN: 1
; COMPUTE_PGM_RSRC2:TGID_Y_EN: 0
; COMPUTE_PGM_RSRC2:TGID_Z_EN: 0
; COMPUTE_PGM_RSRC2:TIDIG_COMP_CNT: 0
; COMPUTE_PGM_RSRC3_GFX90A:ACCUM_OFFSET: 3
; COMPUTE_PGM_RSRC3_GFX90A:TG_SPLIT: 0
	.section	.text._ZN7rocprim17ROCPRIM_304000_NS6detail35device_block_merge_mergepath_kernelINS1_37wrapped_merge_sort_block_merge_configINS0_14default_configEsN2at4cuda3cub6detail10OpaqueTypeILi8EEEEEPsSC_PSA_SD_jNS1_19radix_merge_compareILb1ELb1EsNS0_19identity_decomposerEEEEEvT0_T1_T2_T3_T4_SL_jT5_PKSL_NS1_7vsmem_tE,"axG",@progbits,_ZN7rocprim17ROCPRIM_304000_NS6detail35device_block_merge_mergepath_kernelINS1_37wrapped_merge_sort_block_merge_configINS0_14default_configEsN2at4cuda3cub6detail10OpaqueTypeILi8EEEEEPsSC_PSA_SD_jNS1_19radix_merge_compareILb1ELb1EsNS0_19identity_decomposerEEEEEvT0_T1_T2_T3_T4_SL_jT5_PKSL_NS1_7vsmem_tE,comdat
	.protected	_ZN7rocprim17ROCPRIM_304000_NS6detail35device_block_merge_mergepath_kernelINS1_37wrapped_merge_sort_block_merge_configINS0_14default_configEsN2at4cuda3cub6detail10OpaqueTypeILi8EEEEEPsSC_PSA_SD_jNS1_19radix_merge_compareILb1ELb1EsNS0_19identity_decomposerEEEEEvT0_T1_T2_T3_T4_SL_jT5_PKSL_NS1_7vsmem_tE ; -- Begin function _ZN7rocprim17ROCPRIM_304000_NS6detail35device_block_merge_mergepath_kernelINS1_37wrapped_merge_sort_block_merge_configINS0_14default_configEsN2at4cuda3cub6detail10OpaqueTypeILi8EEEEEPsSC_PSA_SD_jNS1_19radix_merge_compareILb1ELb1EsNS0_19identity_decomposerEEEEEvT0_T1_T2_T3_T4_SL_jT5_PKSL_NS1_7vsmem_tE
	.globl	_ZN7rocprim17ROCPRIM_304000_NS6detail35device_block_merge_mergepath_kernelINS1_37wrapped_merge_sort_block_merge_configINS0_14default_configEsN2at4cuda3cub6detail10OpaqueTypeILi8EEEEEPsSC_PSA_SD_jNS1_19radix_merge_compareILb1ELb1EsNS0_19identity_decomposerEEEEEvT0_T1_T2_T3_T4_SL_jT5_PKSL_NS1_7vsmem_tE
	.p2align	8
	.type	_ZN7rocprim17ROCPRIM_304000_NS6detail35device_block_merge_mergepath_kernelINS1_37wrapped_merge_sort_block_merge_configINS0_14default_configEsN2at4cuda3cub6detail10OpaqueTypeILi8EEEEEPsSC_PSA_SD_jNS1_19radix_merge_compareILb1ELb1EsNS0_19identity_decomposerEEEEEvT0_T1_T2_T3_T4_SL_jT5_PKSL_NS1_7vsmem_tE,@function
_ZN7rocprim17ROCPRIM_304000_NS6detail35device_block_merge_mergepath_kernelINS1_37wrapped_merge_sort_block_merge_configINS0_14default_configEsN2at4cuda3cub6detail10OpaqueTypeILi8EEEEEPsSC_PSA_SD_jNS1_19radix_merge_compareILb1ELb1EsNS0_19identity_decomposerEEEEEvT0_T1_T2_T3_T4_SL_jT5_PKSL_NS1_7vsmem_tE: ; @_ZN7rocprim17ROCPRIM_304000_NS6detail35device_block_merge_mergepath_kernelINS1_37wrapped_merge_sort_block_merge_configINS0_14default_configEsN2at4cuda3cub6detail10OpaqueTypeILi8EEEEEPsSC_PSA_SD_jNS1_19radix_merge_compareILb1ELb1EsNS0_19identity_decomposerEEEEEvT0_T1_T2_T3_T4_SL_jT5_PKSL_NS1_7vsmem_tE
; %bb.0:
	s_load_dwordx2 s[26:27], s[4:5], 0x40
	s_load_dwordx4 s[16:19], s[4:5], 0x20
	s_add_u32 s2, s4, 64
	s_addc_u32 s3, s5, 0
	s_waitcnt lgkmcnt(0)
	s_mul_i32 s0, s27, s8
	s_add_i32 s0, s0, s7
	s_mul_i32 s0, s0, s26
	s_add_i32 s0, s0, s6
	s_cmp_ge_u32 s0, s18
	s_cbranch_scc1 .LBB57_69
; %bb.1:
	s_load_dwordx8 s[8:15], s[4:5], 0x0
	s_load_dwordx2 s[22:23], s[4:5], 0x30
	s_lshr_b32 s30, s16, 10
	s_cmp_lg_u32 s0, s30
	s_mov_b32 s1, 0
	s_cselect_b64 s[20:21], -1, 0
	s_lshl_b64 s[4:5], s[0:1], 2
	s_waitcnt lgkmcnt(0)
	s_add_u32 s4, s22, s4
	s_addc_u32 s5, s23, s5
	s_load_dwordx2 s[22:23], s[4:5], 0x0
	s_lshr_b32 s4, s17, 9
	s_and_b32 s4, s4, 0x7ffffe
	s_sub_i32 s4, 0, s4
	s_and_b32 s5, s0, s4
	s_lshl_b32 s7, s5, 10
	s_lshl_b32 s18, s0, 10
	;; [unrolled: 1-line block ×3, first 2 shown]
	s_sub_i32 s24, s18, s7
	s_add_i32 s5, s5, s17
	s_add_i32 s25, s5, s24
	s_waitcnt lgkmcnt(0)
	s_sub_i32 s24, s25, s22
	s_sub_i32 s25, s25, s23
	;; [unrolled: 1-line block ×3, first 2 shown]
	s_min_u32 s24, s16, s24
	s_addk_i32 s25, 0x400
	s_or_b32 s4, s0, s4
	s_min_u32 s7, s16, s5
	s_add_i32 s5, s5, s17
	s_cmp_eq_u32 s4, -1
	s_cselect_b32 s4, s5, s25
	s_cselect_b32 s5, s7, s23
	s_min_u32 s4, s4, s16
	s_mov_b32 s23, s1
	s_sub_i32 s27, s5, s22
	s_sub_i32 s28, s4, s24
	s_lshl_b64 s[4:5], s[22:23], 1
	s_add_u32 s7, s8, s4
	s_mov_b32 s25, s1
	s_addc_u32 s29, s9, s5
	s_lshl_b64 s[4:5], s[24:25], 1
	s_add_u32 s4, s8, s4
	s_addc_u32 s5, s9, s5
	s_cmp_lt_u32 s6, s26
	v_mov_b32_e32 v3, 0
	s_cselect_b32 s1, 12, 18
	global_load_dword v1, v3, s[2:3] offset:14
	s_add_u32 s2, s2, s1
	s_addc_u32 s3, s3, 0
	global_load_ushort v2, v3, s[2:3]
	v_cmp_gt_u32_e32 vcc, s27, v0
	s_cmp_eq_u32 s0, s30
	s_waitcnt vmcnt(1)
	v_lshrrev_b32_e32 v4, 16, v1
	v_and_b32_e32 v1, 0xffff, v1
	v_mul_lo_u32 v1, v1, v4
	s_waitcnt vmcnt(0)
	v_mul_lo_u32 v8, v1, v2
	v_add_u32_e32 v6, v8, v0
	v_lshlrev_b32_e32 v1, 1, v0
	v_add_u32_e32 v4, v6, v8
	s_cbranch_scc1 .LBB57_3
; %bb.2:
	v_mov_b32_e32 v2, s29
	v_add_co_u32_e64 v5, s[0:1], s7, v1
	v_addc_co_u32_e64 v7, s[0:1], 0, v2, s[0:1]
	v_subrev_u32_e32 v2, s27, v0
	v_lshlrev_b64 v[10:11], 1, v[2:3]
	v_mov_b32_e32 v2, s5
	v_add_co_u32_e64 v9, s[0:1], s4, v10
	v_addc_co_u32_e64 v2, s[0:1], v2, v11, s[0:1]
	v_cndmask_b32_e32 v11, v2, v7, vcc
	v_cndmask_b32_e32 v10, v9, v5, vcc
	v_mov_b32_e32 v7, v3
	global_load_ushort v9, v[10:11], off
	v_lshlrev_b64 v[10:11], 1, v[6:7]
	v_mov_b32_e32 v2, s29
	v_add_co_u32_e32 v5, vcc, s7, v10
	v_addc_co_u32_e32 v7, vcc, v2, v11, vcc
	v_subrev_u32_e32 v2, s27, v6
	v_lshlrev_b64 v[10:11], 1, v[2:3]
	v_mov_b32_e32 v2, s5
	v_add_co_u32_e32 v10, vcc, s4, v10
	v_addc_co_u32_e32 v2, vcc, v2, v11, vcc
	v_cmp_gt_u32_e32 vcc, s27, v6
	v_cndmask_b32_e32 v11, v2, v7, vcc
	v_cndmask_b32_e32 v10, v10, v5, vcc
	v_mov_b32_e32 v5, v3
	global_load_ushort v7, v[10:11], off
	v_lshlrev_b64 v[10:11], 1, v[4:5]
	v_mov_b32_e32 v2, s29
	v_add_co_u32_e32 v5, vcc, s7, v10
	v_addc_co_u32_e32 v12, vcc, v2, v11, vcc
	v_subrev_u32_e32 v2, s27, v4
	v_lshlrev_b64 v[10:11], 1, v[2:3]
	v_mov_b32_e32 v2, s5
	v_add_co_u32_e32 v10, vcc, s4, v10
	v_addc_co_u32_e32 v2, vcc, v2, v11, vcc
	v_cmp_gt_u32_e32 vcc, s27, v4
	v_cndmask_b32_e32 v11, v2, v12, vcc
	v_cndmask_b32_e32 v10, v10, v5, vcc
	v_add_u32_e32 v2, v4, v8
	global_load_ushort v5, v[10:11], off
	v_lshlrev_b64 v[10:11], 1, v[2:3]
	v_mov_b32_e32 v12, s29
	v_add_co_u32_e32 v10, vcc, s7, v10
	v_addc_co_u32_e32 v11, vcc, v12, v11, vcc
	v_cmp_gt_u32_e32 vcc, s27, v2
	v_subrev_u32_e32 v2, s27, v2
	v_lshlrev_b64 v[2:3], 1, v[2:3]
	v_mov_b32_e32 v12, s5
	v_add_co_u32_e64 v2, s[0:1], s4, v2
	v_addc_co_u32_e64 v3, s[0:1], v12, v3, s[0:1]
	v_cndmask_b32_e32 v3, v3, v11, vcc
	v_cndmask_b32_e32 v2, v2, v10, vcc
	global_load_ushort v3, v[2:3], off
	s_mov_b32 s0, 0x5040100
	s_add_i32 s17, s28, s27
	s_waitcnt vmcnt(2)
	v_perm_b32 v2, v7, v9, s0
	s_waitcnt vmcnt(0)
	v_perm_b32 v3, v3, v5, s0
	s_cbranch_execz .LBB57_4
	s_branch .LBB57_11
.LBB57_3:
                                        ; implicit-def: $vgpr2_vgpr3
                                        ; implicit-def: $sgpr17
.LBB57_4:
	s_add_i32 s17, s28, s27
	v_cmp_gt_u32_e32 vcc, s17, v0
                                        ; implicit-def: $vgpr2_vgpr3
	s_and_saveexec_b64 s[0:1], vcc
	s_cbranch_execnz .LBB57_70
; %bb.5:
	s_or_b64 exec, exec, s[0:1]
	v_cmp_gt_u32_e32 vcc, s17, v6
	s_and_saveexec_b64 s[2:3], vcc
	s_cbranch_execnz .LBB57_71
.LBB57_6:
	s_or_b64 exec, exec, s[2:3]
	v_cmp_gt_u32_e32 vcc, s17, v4
	s_and_saveexec_b64 s[0:1], vcc
	s_cbranch_execz .LBB57_8
.LBB57_7:
	v_mov_b32_e32 v5, 0
	v_lshlrev_b64 v[6:7], 1, v[4:5]
	v_mov_b32_e32 v9, s29
	v_add_co_u32_e32 v10, vcc, s7, v6
	v_addc_co_u32_e32 v9, vcc, v9, v7, vcc
	v_subrev_u32_e32 v6, s27, v4
	v_mov_b32_e32 v7, v5
	v_lshlrev_b64 v[6:7], 1, v[6:7]
	v_mov_b32_e32 v5, s5
	v_add_co_u32_e32 v6, vcc, s4, v6
	v_addc_co_u32_e32 v5, vcc, v5, v7, vcc
	v_cmp_gt_u32_e32 vcc, s27, v4
	v_cndmask_b32_e32 v7, v5, v9, vcc
	v_cndmask_b32_e32 v6, v6, v10, vcc
	global_load_ushort v5, v[6:7], off
	s_mov_b32 s2, 0xffff
	s_waitcnt vmcnt(0)
	v_bfi_b32 v3, s2, v5, v3
.LBB57_8:
	s_or_b64 exec, exec, s[0:1]
	v_add_u32_e32 v4, v4, v8
	v_cmp_gt_u32_e32 vcc, s17, v4
	s_and_saveexec_b64 s[2:3], vcc
	s_cbranch_execz .LBB57_10
; %bb.9:
	v_mov_b32_e32 v5, 0
	v_lshlrev_b64 v[6:7], 1, v[4:5]
	v_mov_b32_e32 v8, s29
	v_add_co_u32_e32 v6, vcc, s7, v6
	v_addc_co_u32_e32 v7, vcc, v8, v7, vcc
	v_cmp_gt_u32_e32 vcc, s27, v4
	v_subrev_u32_e32 v4, s27, v4
	v_lshlrev_b64 v[4:5], 1, v[4:5]
	v_mov_b32_e32 v8, s5
	v_add_co_u32_e64 v4, s[0:1], s4, v4
	v_addc_co_u32_e64 v5, s[0:1], v8, v5, s[0:1]
	v_cndmask_b32_e32 v5, v5, v7, vcc
	v_cndmask_b32_e32 v4, v4, v6, vcc
	global_load_ushort v4, v[4:5], off
	s_mov_b32 s0, 0x5040100
	s_waitcnt vmcnt(0)
	v_perm_b32 v3, v4, v3, s0
.LBB57_10:
	s_or_b64 exec, exec, s[2:3]
.LBB57_11:
	v_lshlrev_b32_e32 v8, 2, v0
	v_min_u32_e32 v5, s17, v8
	v_sub_u32_e64 v4, v5, s28 clamp
	v_min_u32_e32 v6, s27, v5
	v_cmp_lt_u32_e32 vcc, v4, v6
	s_waitcnt vmcnt(0)
	ds_write_b16 v1, v2
	ds_write_b16_d16_hi v1, v2 offset:512
	ds_write_b16 v1, v3 offset:1024
	ds_write_b16_d16_hi v1, v3 offset:1536
	s_waitcnt lgkmcnt(0)
	s_barrier
	s_and_saveexec_b64 s[0:1], vcc
	s_cbranch_execz .LBB57_15
; %bb.12:
	v_lshlrev_b32_e32 v7, 1, v5
	v_lshl_add_u32 v7, s27, 1, v7
	s_mov_b64 s[2:3], 0
.LBB57_13:                              ; =>This Inner Loop Header: Depth=1
	v_add_u32_e32 v9, v6, v4
	v_lshrrev_b32_e32 v10, 1, v9
	v_not_b32_e32 v11, v10
	v_and_b32_e32 v9, -2, v9
	v_lshl_add_u32 v11, v11, 1, v7
	ds_read_u16 v9, v9
	ds_read_u16 v11, v11
	v_add_u32_e32 v12, 1, v10
	s_waitcnt lgkmcnt(1)
	v_and_b32_e32 v9, s19, v9
	s_waitcnt lgkmcnt(0)
	v_and_b32_e32 v11, s19, v11
	v_cmp_gt_i16_e32 vcc, v11, v9
	v_cndmask_b32_e32 v6, v6, v10, vcc
	v_cndmask_b32_e32 v4, v12, v4, vcc
	v_cmp_ge_u32_e32 vcc, v4, v6
	s_or_b64 s[2:3], vcc, s[2:3]
	s_andn2_b64 exec, exec, s[2:3]
	s_cbranch_execnz .LBB57_13
; %bb.14:
	s_or_b64 exec, exec, s[2:3]
.LBB57_15:
	s_or_b64 exec, exec, s[0:1]
	v_sub_u32_e32 v5, v5, v4
	v_add_u32_e32 v5, s27, v5
	v_cmp_ge_u32_e32 vcc, s27, v4
	v_cmp_ge_u32_e64 s[0:1], s17, v5
	s_or_b64 s[0:1], vcc, s[0:1]
                                        ; implicit-def: $vgpr9
                                        ; implicit-def: $vgpr10
                                        ; implicit-def: $vgpr11
                                        ; implicit-def: $vgpr12
	s_and_saveexec_b64 s[8:9], s[0:1]
	s_cbranch_execz .LBB57_21
; %bb.16:
	v_cmp_gt_u32_e32 vcc, s27, v4
                                        ; implicit-def: $vgpr2
	s_and_saveexec_b64 s[0:1], vcc
	s_cbranch_execz .LBB57_18
; %bb.17:
	v_lshlrev_b32_e32 v2, 1, v4
	ds_read_u16 v2, v2
.LBB57_18:
	s_or_b64 exec, exec, s[0:1]
	v_cmp_le_u32_e64 s[0:1], s17, v5
	v_cmp_gt_u32_e64 s[2:3], s17, v5
                                        ; implicit-def: $vgpr3
	s_and_saveexec_b64 s[4:5], s[2:3]
	s_cbranch_execz .LBB57_20
; %bb.19:
	v_lshlrev_b32_e32 v3, 1, v5
	ds_read_u16 v3, v3
.LBB57_20:
	s_or_b64 exec, exec, s[4:5]
	s_waitcnt lgkmcnt(0)
	v_and_b32_e32 v6, s19, v3
	v_and_b32_e32 v7, s19, v2
	v_cmp_le_i16_e64 s[2:3], v6, v7
	s_and_b64 s[2:3], vcc, s[2:3]
	s_or_b64 vcc, s[0:1], s[2:3]
	v_mov_b32_e32 v6, s17
	v_mov_b32_e32 v7, s27
	v_cndmask_b32_e32 v12, v5, v4, vcc
	v_cndmask_b32_e32 v9, v6, v7, vcc
	v_add_u32_e32 v10, 1, v12
	v_add_u32_e32 v9, -1, v9
	v_min_u32_e32 v9, v10, v9
	v_lshlrev_b32_e32 v9, 1, v9
	ds_read_u16 v9, v9
	v_cndmask_b32_e32 v5, v10, v5, vcc
	v_cndmask_b32_e32 v4, v4, v10, vcc
	v_cmp_gt_u32_e64 s[2:3], s27, v4
	v_cmp_le_u32_e64 s[0:1], s17, v5
	s_waitcnt lgkmcnt(0)
	v_cndmask_b32_e32 v13, v9, v3, vcc
	v_cndmask_b32_e32 v9, v2, v9, vcc
	v_and_b32_e32 v10, s19, v13
	v_and_b32_e32 v11, s19, v9
	v_cmp_le_i16_e64 s[4:5], v10, v11
	s_and_b64 s[2:3], s[2:3], s[4:5]
	s_or_b64 s[0:1], s[0:1], s[2:3]
	v_cndmask_b32_e64 v11, v5, v4, s[0:1]
	v_cndmask_b32_e64 v10, v6, v7, s[0:1]
	v_add_u32_e32 v14, 1, v11
	v_add_u32_e32 v10, -1, v10
	v_min_u32_e32 v10, v14, v10
	v_lshlrev_b32_e32 v10, 1, v10
	ds_read_u16 v10, v10
	v_cndmask_b32_e64 v5, v14, v5, s[0:1]
	v_cndmask_b32_e64 v4, v4, v14, s[0:1]
	v_cmp_gt_u32_e64 s[4:5], s27, v4
	v_cmp_le_u32_e64 s[2:3], s17, v5
	s_waitcnt lgkmcnt(0)
	v_cndmask_b32_e64 v15, v10, v13, s[0:1]
	v_cndmask_b32_e64 v16, v9, v10, s[0:1]
	v_and_b32_e32 v10, s19, v15
	v_and_b32_e32 v14, s19, v16
	v_cmp_le_i16_e64 s[6:7], v10, v14
	s_and_b64 s[4:5], s[4:5], s[6:7]
	s_or_b64 s[2:3], s[2:3], s[4:5]
	v_cndmask_b32_e64 v10, v5, v4, s[2:3]
	v_cndmask_b32_e64 v6, v6, v7, s[2:3]
	v_add_u32_e32 v7, 1, v10
	v_add_u32_e32 v6, -1, v6
	v_min_u32_e32 v6, v7, v6
	v_lshlrev_b32_e32 v6, 1, v6
	ds_read_u16 v6, v6
	v_cndmask_b32_e64 v13, v13, v9, s[0:1]
	v_cndmask_b32_e64 v5, v7, v5, s[2:3]
	;; [unrolled: 1-line block ×3, first 2 shown]
	v_cndmask_b32_e32 v2, v3, v2, vcc
	s_waitcnt lgkmcnt(0)
	v_cndmask_b32_e64 v14, v6, v15, s[2:3]
	v_cndmask_b32_e64 v6, v16, v6, s[2:3]
	v_and_b32_e32 v7, s19, v14
	v_and_b32_e32 v9, s19, v6
	v_cndmask_b32_e64 v3, v15, v16, s[2:3]
	v_cmp_gt_u32_e64 s[0:1], s27, v4
	v_cmp_le_i16_e64 s[2:3], v7, v9
	v_cmp_le_u32_e32 vcc, s17, v5
	s_and_b64 s[0:1], s[0:1], s[2:3]
	s_or_b64 vcc, vcc, s[0:1]
	v_cndmask_b32_e32 v9, v5, v4, vcc
	v_cndmask_b32_e32 v4, v14, v6, vcc
	s_mov_b32 s0, 0x5040100
	v_perm_b32 v3, v4, v3, s0
	v_perm_b32 v2, v13, v2, s0
.LBB57_21:
	s_or_b64 exec, exec, s[8:9]
	s_lshl_b64 s[0:1], s[22:23], 3
	s_add_u32 s19, s12, s0
	s_addc_u32 s26, s13, s1
	s_lshl_b64 s[0:1], s[24:25], 3
	s_add_u32 s29, s12, s0
	v_cndmask_b32_e64 v4, 0, 1, s[20:21]
	s_addc_u32 s30, s13, s1
	v_cmp_gt_u32_e64 s[4:5], s27, v0
	v_cmp_ne_u32_e64 s[0:1], 1, v4
	s_andn2_b64 vcc, exec, s[20:21]
	v_cmp_le_u32_e64 s[2:3], s27, v0
	s_barrier
	s_cbranch_vccnz .LBB57_23
; %bb.22:
	v_subrev_u32_e32 v4, s27, v0
	v_mov_b32_e32 v5, 0
	v_lshlrev_b64 v[6:7], 3, v[4:5]
	v_mov_b32_e32 v4, s30
	v_add_co_u32_e32 v6, vcc, s29, v6
	v_addc_co_u32_e32 v4, vcc, v4, v7, vcc
	v_lshlrev_b32_e32 v18, 3, v0
	v_mov_b32_e32 v7, s26
	v_add_co_u32_e32 v19, vcc, s19, v18
	v_addc_co_u32_e32 v20, vcc, 0, v7, vcc
	v_cndmask_b32_e64 v7, v4, v20, s[4:5]
	v_cndmask_b32_e64 v6, v6, v19, s[4:5]
	v_or_b32_e32 v13, 0x100, v0
	s_movk_i32 s4, 0x800
	v_add_co_u32_e32 v16, vcc, s4, v19
	v_subrev_u32_e32 v4, s27, v13
	v_addc_co_u32_e32 v17, vcc, 0, v20, vcc
	v_lshlrev_b64 v[14:15], 3, v[4:5]
	v_mov_b32_e32 v4, s30
	v_add_co_u32_e32 v14, vcc, s29, v14
	v_addc_co_u32_e32 v4, vcc, v4, v15, vcc
	v_cmp_gt_u32_e32 vcc, s27, v13
	v_or_b32_e32 v13, 0x200, v0
	s_movk_i32 s4, 0x1000
	v_cndmask_b32_e32 v15, v4, v17, vcc
	v_cndmask_b32_e32 v14, v14, v16, vcc
	v_add_co_u32_e32 v21, vcc, s4, v19
	v_subrev_u32_e32 v4, s27, v13
	v_addc_co_u32_e32 v22, vcc, 0, v20, vcc
	v_lshlrev_b64 v[16:17], 3, v[4:5]
	v_mov_b32_e32 v4, s30
	v_add_co_u32_e32 v16, vcc, s29, v16
	v_addc_co_u32_e32 v4, vcc, v4, v17, vcc
	v_cmp_gt_u32_e32 vcc, s27, v13
	global_load_dwordx2 v[6:7], v[6:7], off
	v_cndmask_b32_e32 v17, v4, v22, vcc
	global_load_dwordx2 v[14:15], v[14:15], off
	v_cndmask_b32_e32 v16, v16, v21, vcc
	global_load_dwordx2 v[16:17], v[16:17], off
	v_or_b32_e32 v21, 0x300, v0
	s_movk_i32 s4, 0x1800
	v_add_co_u32_e32 v19, vcc, s4, v19
	v_subrev_u32_e32 v4, s27, v21
	v_addc_co_u32_e32 v20, vcc, 0, v20, vcc
	v_lshlrev_b64 v[4:5], 3, v[4:5]
	v_mov_b32_e32 v22, s30
	v_add_co_u32_e32 v4, vcc, s29, v4
	v_addc_co_u32_e32 v5, vcc, v22, v5, vcc
	v_cmp_gt_u32_e32 vcc, s27, v21
	v_or_b32_e32 v13, 0x1800, v18
	v_cndmask_b32_e32 v5, v5, v20, vcc
	v_cndmask_b32_e32 v4, v4, v19, vcc
	s_mov_b64 s[4:5], -1
	s_waitcnt vmcnt(1)
	ds_write2st64_b64 v18, v[6:7], v[14:15] offset1:4
	s_waitcnt vmcnt(0)
	ds_write_b64 v18, v[16:17] offset:4096
	s_cbranch_execz .LBB57_24
	s_branch .LBB57_43
.LBB57_23:
	s_mov_b64 s[4:5], 0
                                        ; implicit-def: $vgpr13
                                        ; implicit-def: $vgpr4_vgpr5
.LBB57_24:
	s_mov_b64 s[6:7], 0
                                        ; implicit-def: $vgpr4_vgpr5
	s_and_saveexec_b64 s[8:9], s[2:3]
	s_xor_b64 s[2:3], exec, s[8:9]
	s_cbranch_execnz .LBB57_72
; %bb.25:
	s_andn2_saveexec_b64 s[2:3], s[2:3]
	s_cbranch_execnz .LBB57_75
.LBB57_26:
	s_or_b64 exec, exec, s[2:3]
	v_mad_u32_u24 v13, v0, 6, v1
	s_and_saveexec_b64 s[2:3], s[6:7]
	s_cbranch_execz .LBB57_28
.LBB57_27:
	global_load_dwordx2 v[4:5], v[4:5], off
	s_waitcnt vmcnt(0)
	ds_write_b64 v13, v[4:5]
.LBB57_28:
	s_or_b64 exec, exec, s[2:3]
	v_or_b32_e32 v4, 0x100, v0
	v_cmp_le_u32_e32 vcc, s27, v4
	s_mov_b64 s[6:7], -1
	v_pk_mov_b32 v[6:7], s[22:23], s[22:23] op_sel:[0,1]
	s_and_saveexec_b64 s[2:3], vcc
; %bb.29:
	v_subrev_u32_e32 v4, s27, v4
	v_cmp_gt_u32_e32 vcc, s28, v4
	v_pk_mov_b32 v[6:7], s[24:25], s[24:25] op_sel:[0,1]
	s_orn2_b64 s[6:7], vcc, exec
; %bb.30:
	s_or_b64 exec, exec, s[2:3]
	s_and_saveexec_b64 s[2:3], s[6:7]
	s_cbranch_execz .LBB57_32
; %bb.31:
	v_lshlrev_b64 v[6:7], 3, v[6:7]
	v_mov_b32_e32 v5, s13
	v_add_co_u32_e32 v6, vcc, s12, v6
	v_addc_co_u32_e32 v7, vcc, v5, v7, vcc
	v_mov_b32_e32 v5, 0
	v_lshlrev_b64 v[4:5], 3, v[4:5]
	v_add_co_u32_e32 v4, vcc, v6, v4
	v_addc_co_u32_e32 v5, vcc, v7, v5, vcc
	global_load_dwordx2 v[4:5], v[4:5], off
	s_waitcnt vmcnt(0)
	ds_write_b64 v13, v[4:5] offset:2048
.LBB57_32:
	s_or_b64 exec, exec, s[2:3]
	v_or_b32_e32 v4, 0x200, v0
	v_cmp_le_u32_e32 vcc, s27, v4
	s_mov_b64 s[6:7], -1
	v_pk_mov_b32 v[6:7], s[22:23], s[22:23] op_sel:[0,1]
	s_and_saveexec_b64 s[2:3], vcc
; %bb.33:
	v_subrev_u32_e32 v4, s27, v4
	v_cmp_gt_u32_e32 vcc, s28, v4
	v_pk_mov_b32 v[6:7], s[24:25], s[24:25] op_sel:[0,1]
	s_orn2_b64 s[6:7], vcc, exec
; %bb.34:
	s_or_b64 exec, exec, s[2:3]
	s_and_saveexec_b64 s[2:3], s[6:7]
	s_cbranch_execz .LBB57_36
; %bb.35:
	v_lshlrev_b64 v[6:7], 3, v[6:7]
	v_mov_b32_e32 v5, s13
	v_add_co_u32_e32 v6, vcc, s12, v6
	v_addc_co_u32_e32 v7, vcc, v5, v7, vcc
	v_mov_b32_e32 v5, 0
	v_lshlrev_b64 v[4:5], 3, v[4:5]
	v_add_co_u32_e32 v4, vcc, v6, v4
	v_addc_co_u32_e32 v5, vcc, v7, v5, vcc
	global_load_dwordx2 v[4:5], v[4:5], off
	s_waitcnt vmcnt(0)
	ds_write_b64 v13, v[4:5] offset:4096
.LBB57_36:
	s_or_b64 exec, exec, s[2:3]
	v_or_b32_e32 v6, 0x300, v0
	v_cmp_le_u32_e32 vcc, s27, v6
                                        ; implicit-def: $vgpr13
                                        ; implicit-def: $vgpr4_vgpr5
	s_and_saveexec_b64 s[2:3], vcc
	s_xor_b64 s[2:3], exec, s[2:3]
	s_cbranch_execz .LBB57_40
; %bb.37:
	v_subrev_u32_e32 v6, s27, v6
	v_cmp_gt_u32_e32 vcc, s28, v6
	s_mov_b64 s[8:9], s[4:5]
                                        ; implicit-def: $vgpr13
                                        ; implicit-def: $vgpr4_vgpr5
	s_and_saveexec_b64 s[6:7], vcc
; %bb.38:
	v_mul_u32_u24_e32 v4, 6, v0
	s_movk_i32 s8, 0x1800
	v_mov_b32_e32 v7, 0
	v_add3_u32 v13, v1, v4, s8
	v_lshlrev_b64 v[4:5], 3, v[6:7]
	v_mov_b32_e32 v6, s30
	v_add_co_u32_e32 v4, vcc, s29, v4
	v_addc_co_u32_e32 v5, vcc, v6, v5, vcc
	s_or_b64 s[8:9], s[4:5], exec
; %bb.39:
	s_or_b64 exec, exec, s[6:7]
	s_andn2_b64 s[4:5], s[4:5], exec
	s_and_b64 s[6:7], s[8:9], exec
	s_or_b64 s[4:5], s[4:5], s[6:7]
                                        ; implicit-def: $vgpr6
.LBB57_40:
	s_andn2_saveexec_b64 s[2:3], s[2:3]
; %bb.41:
	v_lshlrev_b32_e32 v4, 3, v6
	v_mov_b32_e32 v5, s26
	v_add_co_u32_e32 v4, vcc, s19, v4
	v_mul_u32_u24_e32 v6, 6, v0
	s_movk_i32 s6, 0x1800
	v_addc_co_u32_e32 v5, vcc, 0, v5, vcc
	v_add3_u32 v13, v1, v6, s6
	s_or_b64 s[4:5], s[4:5], exec
; %bb.42:
	s_or_b64 exec, exec, s[2:3]
.LBB57_43:
	s_and_saveexec_b64 s[2:3], s[4:5]
	s_cbranch_execz .LBB57_45
; %bb.44:
	global_load_dwordx2 v[4:5], v[4:5], off
	s_waitcnt vmcnt(0)
	ds_write_b64 v13, v[4:5]
.LBB57_45:
	s_or_b64 exec, exec, s[2:3]
	s_and_b64 vcc, exec, s[0:1]
	v_add_u32_e32 v4, s18, v8
	s_waitcnt lgkmcnt(0)
	s_barrier
	s_cbranch_vccnz .LBB57_47
; %bb.46:
	v_lshlrev_b32_e32 v13, 3, v12
	v_lshlrev_b32_e32 v16, 3, v11
	;; [unrolled: 1-line block ×3, first 2 shown]
	ds_read_b64 v[14:15], v13
	ds_read_b64 v[16:17], v16
	;; [unrolled: 1-line block ×3, first 2 shown]
	v_mov_b32_e32 v5, 0
	v_lshlrev_b64 v[6:7], 3, v[4:5]
	v_mov_b32_e32 v20, s15
	v_add_co_u32_e32 v6, vcc, s14, v6
	v_addc_co_u32_e32 v7, vcc, v20, v7, vcc
	s_mov_b64 s[0:1], -1
	s_waitcnt lgkmcnt(1)
	global_store_dwordx4 v[6:7], v[14:17], off
	s_waitcnt lgkmcnt(0)
	global_store_dwordx2 v[6:7], v[18:19], off offset:16
	s_cbranch_execz .LBB57_48
	s_branch .LBB57_57
.LBB57_47:
	s_mov_b64 s[0:1], 0
.LBB57_48:
	v_cmp_gt_u32_e32 vcc, s17, v8
	s_and_saveexec_b64 s[2:3], vcc
	s_cbranch_execz .LBB57_50
; %bb.49:
	v_lshlrev_b32_e32 v12, 3, v12
	ds_read_b64 v[12:13], v12
	v_mov_b32_e32 v5, 0
	v_lshlrev_b64 v[6:7], 3, v[4:5]
	v_mov_b32_e32 v5, s15
	v_add_co_u32_e32 v6, vcc, s14, v6
	v_addc_co_u32_e32 v7, vcc, v5, v7, vcc
	s_waitcnt lgkmcnt(0)
	global_store_dwordx2 v[6:7], v[12:13], off
.LBB57_50:
	s_or_b64 exec, exec, s[2:3]
	v_or_b32_e32 v5, 1, v8
	v_cmp_gt_u32_e32 vcc, s17, v5
	s_and_saveexec_b64 s[2:3], vcc
	s_cbranch_execz .LBB57_52
; %bb.51:
	v_lshlrev_b32_e32 v11, 3, v11
	ds_read_b64 v[12:13], v11
	v_mov_b32_e32 v5, 0
	v_lshlrev_b64 v[6:7], 3, v[4:5]
	v_mov_b32_e32 v5, s15
	v_add_co_u32_e32 v6, vcc, s14, v6
	v_addc_co_u32_e32 v7, vcc, v5, v7, vcc
	s_waitcnt lgkmcnt(0)
	global_store_dwordx2 v[6:7], v[12:13], off offset:8
.LBB57_52:
	s_or_b64 exec, exec, s[2:3]
	v_or_b32_e32 v5, 2, v8
	v_cmp_gt_u32_e32 vcc, s17, v5
	s_and_saveexec_b64 s[2:3], vcc
	s_cbranch_execz .LBB57_54
; %bb.53:
	v_lshlrev_b32_e32 v10, 3, v10
	ds_read_b64 v[10:11], v10
	v_mov_b32_e32 v5, 0
	v_lshlrev_b64 v[6:7], 3, v[4:5]
	v_mov_b32_e32 v5, s15
	v_add_co_u32_e32 v6, vcc, s14, v6
	v_addc_co_u32_e32 v7, vcc, v5, v7, vcc
	s_waitcnt lgkmcnt(0)
	global_store_dwordx2 v[6:7], v[10:11], off offset:16
.LBB57_54:
	s_or_b64 exec, exec, s[2:3]
	v_or_b32_e32 v5, 3, v8
	v_cmp_gt_u32_e32 vcc, s17, v5
	s_and_saveexec_b64 s[2:3], vcc
; %bb.55:
	v_mov_b32_e32 v5, 0
	s_or_b64 s[0:1], s[0:1], exec
; %bb.56:
	s_or_b64 exec, exec, s[2:3]
.LBB57_57:
	s_and_saveexec_b64 s[2:3], s[0:1]
	s_cbranch_execz .LBB57_59
; %bb.58:
	v_lshlrev_b32_e32 v6, 3, v9
	ds_read_b64 v[6:7], v6
	v_lshlrev_b64 v[4:5], 3, v[4:5]
	v_mov_b32_e32 v10, s15
	v_add_co_u32_e32 v4, vcc, s14, v4
	v_addc_co_u32_e32 v5, vcc, v10, v5, vcc
	s_waitcnt lgkmcnt(0)
	global_store_dwordx2 v[4:5], v[6:7], off offset:24
.LBB57_59:
	s_or_b64 exec, exec, s[2:3]
	v_lshrrev_b32_e32 v4, 2, v0
	v_and_b32_e32 v4, 60, v4
	v_lshl_add_u32 v4, v8, 1, v4
	s_barrier
	s_barrier
	ds_write2_b32 v4, v2, v3 offset1:1
	v_lshrrev_b32_e32 v2, 4, v0
	v_and_b32_e32 v2, 12, v2
	v_or_b32_e32 v6, 0x100, v0
	v_add_u32_e32 v7, v1, v2
	v_lshrrev_b32_e32 v2, 4, v6
	v_and_b32_e32 v2, 28, v2
	v_or_b32_e32 v5, 0x200, v0
	s_mov_b32 s19, 0
	v_add_u32_e32 v8, v1, v2
	v_lshrrev_b32_e32 v2, 4, v5
	s_lshl_b64 s[0:1], s[18:19], 1
	v_and_b32_e32 v2, 44, v2
	v_or_b32_e32 v4, 0x300, v0
	s_add_u32 s0, s10, s0
	v_add_u32_e32 v9, v1, v2
	v_lshrrev_b32_e32 v2, 4, v4
	s_addc_u32 s1, s11, s1
	v_and_b32_e32 v2, 60, v2
	v_add_u32_e32 v10, v1, v2
	v_mov_b32_e32 v3, s1
	v_add_co_u32_e32 v2, vcc, s0, v1
	v_addc_co_u32_e32 v3, vcc, 0, v3, vcc
	s_and_b64 vcc, exec, s[20:21]
	s_waitcnt lgkmcnt(0)
	s_cbranch_vccz .LBB57_61
; %bb.60:
	s_barrier
	ds_read_u16 v11, v7
	ds_read_u16 v12, v8 offset:512
	ds_read_u16 v13, v9 offset:1024
	;; [unrolled: 1-line block ×3, first 2 shown]
	s_waitcnt lgkmcnt(3)
	global_store_short v[2:3], v11, off
	s_waitcnt lgkmcnt(2)
	global_store_short v[2:3], v12, off offset:512
	s_waitcnt lgkmcnt(1)
	global_store_short v[2:3], v13, off offset:1024
	s_mov_b64 s[0:1], -1
	s_cbranch_execz .LBB57_62
	s_branch .LBB57_67
.LBB57_61:
	s_mov_b64 s[0:1], 0
                                        ; implicit-def: $vgpr1
.LBB57_62:
	s_barrier
	s_waitcnt lgkmcnt(0)
	ds_read_u16 v11, v8 offset:512
	ds_read_u16 v8, v9 offset:1024
	;; [unrolled: 1-line block ×3, first 2 shown]
	s_sub_i32 s2, s16, s18
	v_cmp_gt_u32_e32 vcc, s2, v0
	s_and_saveexec_b64 s[0:1], vcc
	s_cbranch_execnz .LBB57_76
; %bb.63:
	s_or_b64 exec, exec, s[0:1]
	v_cmp_gt_u32_e32 vcc, s2, v6
	s_and_saveexec_b64 s[0:1], vcc
	s_cbranch_execnz .LBB57_77
.LBB57_64:
	s_or_b64 exec, exec, s[0:1]
	v_cmp_gt_u32_e32 vcc, s2, v5
	s_and_saveexec_b64 s[0:1], vcc
	s_cbranch_execz .LBB57_66
.LBB57_65:
	s_waitcnt lgkmcnt(1)
	global_store_short v[2:3], v8, off offset:1024
.LBB57_66:
	s_or_b64 exec, exec, s[0:1]
	v_cmp_gt_u32_e64 s[0:1], s2, v4
.LBB57_67:
	s_and_saveexec_b64 s[2:3], s[0:1]
	s_cbranch_execz .LBB57_69
; %bb.68:
	s_waitcnt lgkmcnt(0)
	global_store_short v[2:3], v1, off offset:1536
.LBB57_69:
	s_endpgm
.LBB57_70:
	v_mov_b32_e32 v2, s29
	v_add_co_u32_e32 v5, vcc, s7, v1
	v_mov_b32_e32 v3, 0
	v_addc_co_u32_e32 v7, vcc, 0, v2, vcc
	v_subrev_u32_e32 v2, s27, v0
	v_lshlrev_b64 v[2:3], 1, v[2:3]
	v_mov_b32_e32 v9, s5
	v_add_co_u32_e32 v2, vcc, s4, v2
	v_addc_co_u32_e32 v3, vcc, v9, v3, vcc
	v_cmp_gt_u32_e32 vcc, s27, v0
	v_cndmask_b32_e32 v3, v3, v7, vcc
	v_cndmask_b32_e32 v2, v2, v5, vcc
	global_load_ushort v2, v[2:3], off
	s_or_b64 exec, exec, s[0:1]
	v_cmp_gt_u32_e32 vcc, s17, v6
	s_and_saveexec_b64 s[2:3], vcc
	s_cbranch_execz .LBB57_6
.LBB57_71:
	v_mov_b32_e32 v7, 0
	v_lshlrev_b64 v[10:11], 1, v[6:7]
	v_mov_b32_e32 v5, s29
	v_add_co_u32_e32 v9, vcc, s7, v10
	v_addc_co_u32_e32 v5, vcc, v5, v11, vcc
	v_cmp_gt_u32_e32 vcc, s27, v6
	v_subrev_u32_e32 v6, s27, v6
	v_lshlrev_b64 v[6:7], 1, v[6:7]
	v_mov_b32_e32 v10, s5
	v_add_co_u32_e64 v6, s[0:1], s4, v6
	v_addc_co_u32_e64 v7, s[0:1], v10, v7, s[0:1]
	v_cndmask_b32_e32 v7, v7, v5, vcc
	v_cndmask_b32_e32 v6, v6, v9, vcc
	global_load_ushort v5, v[6:7], off
	s_mov_b32 s0, 0x5040100
	s_waitcnt vmcnt(0)
	v_perm_b32 v2, v5, v2, s0
	s_or_b64 exec, exec, s[2:3]
	v_cmp_gt_u32_e32 vcc, s17, v4
	s_and_saveexec_b64 s[0:1], vcc
	s_cbranch_execnz .LBB57_7
	s_branch .LBB57_8
.LBB57_72:
	v_subrev_u32_e32 v6, s27, v0
	v_cmp_gt_u32_e32 vcc, s28, v6
                                        ; implicit-def: $vgpr4_vgpr5
	s_and_saveexec_b64 s[8:9], vcc
	s_xor_b64 s[8:9], exec, s[8:9]
; %bb.73:
	v_mov_b32_e32 v7, 0
	v_lshlrev_b64 v[4:5], 3, v[6:7]
	v_mov_b32_e32 v6, s30
	v_add_co_u32_e32 v4, vcc, s29, v4
	s_mov_b64 s[6:7], exec
	v_addc_co_u32_e32 v5, vcc, v6, v5, vcc
; %bb.74:
	s_or_b64 exec, exec, s[8:9]
	s_and_b64 s[6:7], s[6:7], exec
	s_andn2_saveexec_b64 s[2:3], s[2:3]
	s_cbranch_execz .LBB57_26
.LBB57_75:
	v_lshlrev_b32_e32 v4, 3, v0
	v_mov_b32_e32 v5, s26
	v_add_co_u32_e32 v4, vcc, s19, v4
	v_addc_co_u32_e32 v5, vcc, 0, v5, vcc
	s_or_b64 s[6:7], s[6:7], exec
	s_or_b64 exec, exec, s[2:3]
	v_mad_u32_u24 v13, v0, 6, v1
	s_and_saveexec_b64 s[2:3], s[6:7]
	s_cbranch_execnz .LBB57_27
	s_branch .LBB57_28
.LBB57_76:
	ds_read_u16 v0, v7
	s_waitcnt lgkmcnt(0)
	global_store_short v[2:3], v0, off
	s_or_b64 exec, exec, s[0:1]
	v_cmp_gt_u32_e32 vcc, s2, v6
	s_and_saveexec_b64 s[0:1], vcc
	s_cbranch_execz .LBB57_64
.LBB57_77:
	s_waitcnt lgkmcnt(2)
	global_store_short v[2:3], v11, off offset:512
	s_or_b64 exec, exec, s[0:1]
	v_cmp_gt_u32_e32 vcc, s2, v5
	s_and_saveexec_b64 s[0:1], vcc
	s_cbranch_execnz .LBB57_65
	s_branch .LBB57_66
	.section	.rodata,"a",@progbits
	.p2align	6, 0x0
	.amdhsa_kernel _ZN7rocprim17ROCPRIM_304000_NS6detail35device_block_merge_mergepath_kernelINS1_37wrapped_merge_sort_block_merge_configINS0_14default_configEsN2at4cuda3cub6detail10OpaqueTypeILi8EEEEEPsSC_PSA_SD_jNS1_19radix_merge_compareILb1ELb1EsNS0_19identity_decomposerEEEEEvT0_T1_T2_T3_T4_SL_jT5_PKSL_NS1_7vsmem_tE
		.amdhsa_group_segment_fixed_size 8208
		.amdhsa_private_segment_fixed_size 0
		.amdhsa_kernarg_size 320
		.amdhsa_user_sgpr_count 6
		.amdhsa_user_sgpr_private_segment_buffer 1
		.amdhsa_user_sgpr_dispatch_ptr 0
		.amdhsa_user_sgpr_queue_ptr 0
		.amdhsa_user_sgpr_kernarg_segment_ptr 1
		.amdhsa_user_sgpr_dispatch_id 0
		.amdhsa_user_sgpr_flat_scratch_init 0
		.amdhsa_user_sgpr_kernarg_preload_length 0
		.amdhsa_user_sgpr_kernarg_preload_offset 0
		.amdhsa_user_sgpr_private_segment_size 0
		.amdhsa_uses_dynamic_stack 0
		.amdhsa_system_sgpr_private_segment_wavefront_offset 0
		.amdhsa_system_sgpr_workgroup_id_x 1
		.amdhsa_system_sgpr_workgroup_id_y 1
		.amdhsa_system_sgpr_workgroup_id_z 1
		.amdhsa_system_sgpr_workgroup_info 0
		.amdhsa_system_vgpr_workitem_id 0
		.amdhsa_next_free_vgpr 23
		.amdhsa_next_free_sgpr 31
		.amdhsa_accum_offset 24
		.amdhsa_reserve_vcc 1
		.amdhsa_reserve_flat_scratch 0
		.amdhsa_float_round_mode_32 0
		.amdhsa_float_round_mode_16_64 0
		.amdhsa_float_denorm_mode_32 3
		.amdhsa_float_denorm_mode_16_64 3
		.amdhsa_dx10_clamp 1
		.amdhsa_ieee_mode 1
		.amdhsa_fp16_overflow 0
		.amdhsa_tg_split 0
		.amdhsa_exception_fp_ieee_invalid_op 0
		.amdhsa_exception_fp_denorm_src 0
		.amdhsa_exception_fp_ieee_div_zero 0
		.amdhsa_exception_fp_ieee_overflow 0
		.amdhsa_exception_fp_ieee_underflow 0
		.amdhsa_exception_fp_ieee_inexact 0
		.amdhsa_exception_int_div_zero 0
	.end_amdhsa_kernel
	.section	.text._ZN7rocprim17ROCPRIM_304000_NS6detail35device_block_merge_mergepath_kernelINS1_37wrapped_merge_sort_block_merge_configINS0_14default_configEsN2at4cuda3cub6detail10OpaqueTypeILi8EEEEEPsSC_PSA_SD_jNS1_19radix_merge_compareILb1ELb1EsNS0_19identity_decomposerEEEEEvT0_T1_T2_T3_T4_SL_jT5_PKSL_NS1_7vsmem_tE,"axG",@progbits,_ZN7rocprim17ROCPRIM_304000_NS6detail35device_block_merge_mergepath_kernelINS1_37wrapped_merge_sort_block_merge_configINS0_14default_configEsN2at4cuda3cub6detail10OpaqueTypeILi8EEEEEPsSC_PSA_SD_jNS1_19radix_merge_compareILb1ELb1EsNS0_19identity_decomposerEEEEEvT0_T1_T2_T3_T4_SL_jT5_PKSL_NS1_7vsmem_tE,comdat
.Lfunc_end57:
	.size	_ZN7rocprim17ROCPRIM_304000_NS6detail35device_block_merge_mergepath_kernelINS1_37wrapped_merge_sort_block_merge_configINS0_14default_configEsN2at4cuda3cub6detail10OpaqueTypeILi8EEEEEPsSC_PSA_SD_jNS1_19radix_merge_compareILb1ELb1EsNS0_19identity_decomposerEEEEEvT0_T1_T2_T3_T4_SL_jT5_PKSL_NS1_7vsmem_tE, .Lfunc_end57-_ZN7rocprim17ROCPRIM_304000_NS6detail35device_block_merge_mergepath_kernelINS1_37wrapped_merge_sort_block_merge_configINS0_14default_configEsN2at4cuda3cub6detail10OpaqueTypeILi8EEEEEPsSC_PSA_SD_jNS1_19radix_merge_compareILb1ELb1EsNS0_19identity_decomposerEEEEEvT0_T1_T2_T3_T4_SL_jT5_PKSL_NS1_7vsmem_tE
                                        ; -- End function
	.section	.AMDGPU.csdata,"",@progbits
; Kernel info:
; codeLenInByte = 3608
; NumSgprs: 35
; NumVgprs: 23
; NumAgprs: 0
; TotalNumVgprs: 23
; ScratchSize: 0
; MemoryBound: 1
; FloatMode: 240
; IeeeMode: 1
; LDSByteSize: 8208 bytes/workgroup (compile time only)
; SGPRBlocks: 4
; VGPRBlocks: 2
; NumSGPRsForWavesPerEU: 35
; NumVGPRsForWavesPerEU: 23
; AccumOffset: 24
; Occupancy: 7
; WaveLimiterHint : 1
; COMPUTE_PGM_RSRC2:SCRATCH_EN: 0
; COMPUTE_PGM_RSRC2:USER_SGPR: 6
; COMPUTE_PGM_RSRC2:TRAP_HANDLER: 0
; COMPUTE_PGM_RSRC2:TGID_X_EN: 1
; COMPUTE_PGM_RSRC2:TGID_Y_EN: 1
; COMPUTE_PGM_RSRC2:TGID_Z_EN: 1
; COMPUTE_PGM_RSRC2:TIDIG_COMP_CNT: 0
; COMPUTE_PGM_RSRC3_GFX90A:ACCUM_OFFSET: 5
; COMPUTE_PGM_RSRC3_GFX90A:TG_SPLIT: 0
	.section	.text._ZN7rocprim17ROCPRIM_304000_NS6detail33device_block_merge_oddeven_kernelINS1_37wrapped_merge_sort_block_merge_configINS0_14default_configEsN2at4cuda3cub6detail10OpaqueTypeILi8EEEEEPsSC_PSA_SD_jNS1_19radix_merge_compareILb1ELb1EsNS0_19identity_decomposerEEEEEvT0_T1_T2_T3_T4_SL_T5_,"axG",@progbits,_ZN7rocprim17ROCPRIM_304000_NS6detail33device_block_merge_oddeven_kernelINS1_37wrapped_merge_sort_block_merge_configINS0_14default_configEsN2at4cuda3cub6detail10OpaqueTypeILi8EEEEEPsSC_PSA_SD_jNS1_19radix_merge_compareILb1ELb1EsNS0_19identity_decomposerEEEEEvT0_T1_T2_T3_T4_SL_T5_,comdat
	.protected	_ZN7rocprim17ROCPRIM_304000_NS6detail33device_block_merge_oddeven_kernelINS1_37wrapped_merge_sort_block_merge_configINS0_14default_configEsN2at4cuda3cub6detail10OpaqueTypeILi8EEEEEPsSC_PSA_SD_jNS1_19radix_merge_compareILb1ELb1EsNS0_19identity_decomposerEEEEEvT0_T1_T2_T3_T4_SL_T5_ ; -- Begin function _ZN7rocprim17ROCPRIM_304000_NS6detail33device_block_merge_oddeven_kernelINS1_37wrapped_merge_sort_block_merge_configINS0_14default_configEsN2at4cuda3cub6detail10OpaqueTypeILi8EEEEEPsSC_PSA_SD_jNS1_19radix_merge_compareILb1ELb1EsNS0_19identity_decomposerEEEEEvT0_T1_T2_T3_T4_SL_T5_
	.globl	_ZN7rocprim17ROCPRIM_304000_NS6detail33device_block_merge_oddeven_kernelINS1_37wrapped_merge_sort_block_merge_configINS0_14default_configEsN2at4cuda3cub6detail10OpaqueTypeILi8EEEEEPsSC_PSA_SD_jNS1_19radix_merge_compareILb1ELb1EsNS0_19identity_decomposerEEEEEvT0_T1_T2_T3_T4_SL_T5_
	.p2align	8
	.type	_ZN7rocprim17ROCPRIM_304000_NS6detail33device_block_merge_oddeven_kernelINS1_37wrapped_merge_sort_block_merge_configINS0_14default_configEsN2at4cuda3cub6detail10OpaqueTypeILi8EEEEEPsSC_PSA_SD_jNS1_19radix_merge_compareILb1ELb1EsNS0_19identity_decomposerEEEEEvT0_T1_T2_T3_T4_SL_T5_,@function
_ZN7rocprim17ROCPRIM_304000_NS6detail33device_block_merge_oddeven_kernelINS1_37wrapped_merge_sort_block_merge_configINS0_14default_configEsN2at4cuda3cub6detail10OpaqueTypeILi8EEEEEPsSC_PSA_SD_jNS1_19radix_merge_compareILb1ELb1EsNS0_19identity_decomposerEEEEEvT0_T1_T2_T3_T4_SL_T5_: ; @_ZN7rocprim17ROCPRIM_304000_NS6detail33device_block_merge_oddeven_kernelINS1_37wrapped_merge_sort_block_merge_configINS0_14default_configEsN2at4cuda3cub6detail10OpaqueTypeILi8EEEEEPsSC_PSA_SD_jNS1_19radix_merge_compareILb1ELb1EsNS0_19identity_decomposerEEEEEvT0_T1_T2_T3_T4_SL_T5_
; %bb.0:
	s_load_dwordx4 s[16:19], s[4:5], 0x20
	s_waitcnt lgkmcnt(0)
	s_lshr_b32 s2, s16, 8
	s_cmp_lg_u32 s6, s2
	s_cselect_b64 s[0:1], -1, 0
	s_cmp_eq_u32 s6, s2
	s_cselect_b64 s[20:21], -1, 0
	s_lshl_b32 s22, s6, 8
	s_sub_i32 s2, s16, s22
	v_cmp_gt_u32_e64 s[2:3], s2, v0
	s_or_b64 s[0:1], s[0:1], s[2:3]
	s_and_saveexec_b64 s[8:9], s[0:1]
	s_cbranch_execz .LBB58_26
; %bb.1:
	s_load_dwordx8 s[8:15], s[4:5], 0x0
	s_mov_b32 s23, 0
	s_lshl_b64 s[0:1], s[22:23], 1
	v_lshlrev_b32_e32 v4, 3, v0
	v_lshlrev_b32_e32 v1, 1, v0
	s_waitcnt lgkmcnt(0)
	s_add_u32 s0, s8, s0
	s_addc_u32 s1, s9, s1
	s_lshl_b64 s[4:5], s[22:23], 3
	s_add_u32 s4, s12, s4
	s_addc_u32 s5, s13, s5
	global_load_dwordx2 v[2:3], v4, s[4:5]
	global_load_ushort v6, v1, s[0:1]
	s_lshr_b32 s0, s17, 8
	s_sub_i32 s1, 0, s0
	s_and_b32 s1, s6, s1
	s_and_b32 s0, s1, s0
	s_lshl_b32 s23, s1, 8
	s_sub_i32 s6, 0, s17
	s_cmp_eq_u32 s0, 0
	s_cselect_b64 s[0:1], -1, 0
	s_and_b64 s[4:5], s[0:1], exec
	s_cselect_b32 s19, s17, s6
	s_add_i32 s19, s19, s23
	s_cmp_lt_u32 s19, s16
	v_add_u32_e32 v4, s22, v0
	s_cbranch_scc1 .LBB58_6
; %bb.2:
	s_and_b64 vcc, exec, s[20:21]
	s_cbranch_vccz .LBB58_7
; %bb.3:
	v_cmp_gt_u32_e32 vcc, s16, v4
	s_mov_b64 s[6:7], 0
	s_mov_b64 s[4:5], 0
                                        ; implicit-def: $vgpr0_vgpr1
	s_and_saveexec_b64 s[12:13], vcc
	s_cbranch_execz .LBB58_5
; %bb.4:
	v_mov_b32_e32 v5, 0
	v_lshlrev_b64 v[0:1], 3, v[4:5]
	v_mov_b32_e32 v7, s15
	v_add_co_u32_e32 v0, vcc, s14, v0
	v_addc_co_u32_e32 v1, vcc, v7, v1, vcc
	v_lshlrev_b64 v[8:9], 1, v[4:5]
	v_mov_b32_e32 v5, s11
	v_add_co_u32_e32 v8, vcc, s10, v8
	s_mov_b64 s[4:5], exec
	v_addc_co_u32_e32 v9, vcc, v5, v9, vcc
	s_waitcnt vmcnt(0)
	global_store_short v[8:9], v6, off
.LBB58_5:
	s_or_b64 exec, exec, s[12:13]
	s_and_b64 vcc, exec, s[6:7]
	s_cbranch_vccnz .LBB58_8
	s_branch .LBB58_9
.LBB58_6:
	s_mov_b64 s[4:5], 0
                                        ; implicit-def: $vgpr0_vgpr1
	s_cbranch_execnz .LBB58_10
	s_branch .LBB58_24
.LBB58_7:
	s_mov_b64 s[4:5], 0
                                        ; implicit-def: $vgpr0_vgpr1
	s_cbranch_execz .LBB58_9
.LBB58_8:
	v_mov_b32_e32 v5, 0
	v_lshlrev_b64 v[0:1], 1, v[4:5]
	v_mov_b32_e32 v7, s11
	v_add_co_u32_e32 v0, vcc, s10, v0
	v_addc_co_u32_e32 v1, vcc, v7, v1, vcc
	s_waitcnt vmcnt(0)
	global_store_short v[0:1], v6, off
	v_lshlrev_b64 v[0:1], 3, v[4:5]
	v_mov_b32_e32 v5, s15
	v_add_co_u32_e32 v0, vcc, s14, v0
	v_addc_co_u32_e32 v1, vcc, v5, v1, vcc
	s_or_b64 s[4:5], s[4:5], exec
.LBB58_9:
	s_branch .LBB58_24
.LBB58_10:
	s_min_u32 s12, s19, s16
	s_add_i32 s6, s12, s17
	s_min_u32 s13, s6, s16
	s_min_u32 s6, s23, s12
	s_add_i32 s23, s23, s12
	v_subrev_u32_e32 v0, s23, v4
	v_add_u32_e32 v4, s6, v0
	s_and_b64 vcc, exec, s[20:21]
	s_cbranch_vccz .LBB58_18
; %bb.11:
                                        ; implicit-def: $vgpr0_vgpr1
	s_and_saveexec_b64 s[6:7], s[2:3]
	s_cbranch_execz .LBB58_17
; %bb.12:
	s_cmp_ge_u32 s19, s13
	v_mov_b32_e32 v0, s12
	s_cbranch_scc1 .LBB58_16
; %bb.13:
	s_waitcnt vmcnt(0)
	v_and_b32_e32 v1, s18, v6
	s_mov_b64 s[2:3], 0
	v_mov_b32_e32 v5, s13
	v_mov_b32_e32 v0, s12
.LBB58_14:                              ; =>This Inner Loop Header: Depth=1
	v_add_u32_e32 v7, v0, v5
	v_and_b32_e32 v8, -2, v7
	global_load_ushort v8, v8, s[8:9]
	v_lshrrev_b32_e32 v7, 1, v7
	v_add_u32_e32 v9, 1, v7
	s_waitcnt vmcnt(0)
	v_and_b32_e32 v8, s18, v8
	v_cmp_gt_i16_e32 vcc, v8, v1
	v_cndmask_b32_e64 v10, 0, 1, vcc
	v_cmp_le_i16_e32 vcc, v1, v8
	v_cndmask_b32_e64 v8, 0, 1, vcc
	v_cndmask_b32_e64 v8, v8, v10, s[0:1]
	v_and_b32_e32 v8, 1, v8
	v_cmp_eq_u32_e32 vcc, 1, v8
	v_cndmask_b32_e32 v5, v7, v5, vcc
	v_cndmask_b32_e32 v0, v0, v9, vcc
	v_cmp_ge_u32_e32 vcc, v0, v5
	s_or_b64 s[2:3], vcc, s[2:3]
	s_andn2_b64 exec, exec, s[2:3]
	s_cbranch_execnz .LBB58_14
; %bb.15:
	s_or_b64 exec, exec, s[2:3]
.LBB58_16:
	v_add_u32_e32 v0, v0, v4
	v_mov_b32_e32 v1, 0
	v_lshlrev_b64 v[8:9], 1, v[0:1]
	v_mov_b32_e32 v5, s11
	v_add_co_u32_e32 v8, vcc, s10, v8
	v_addc_co_u32_e32 v9, vcc, v5, v9, vcc
	v_lshlrev_b64 v[0:1], 3, v[0:1]
	v_mov_b32_e32 v5, s15
	v_add_co_u32_e32 v0, vcc, s14, v0
	s_waitcnt vmcnt(0)
	global_store_short v[8:9], v6, off
	v_addc_co_u32_e32 v1, vcc, v5, v1, vcc
	s_or_b64 s[4:5], s[4:5], exec
.LBB58_17:
	s_or_b64 exec, exec, s[6:7]
	s_branch .LBB58_24
.LBB58_18:
                                        ; implicit-def: $vgpr0_vgpr1
	s_cbranch_execz .LBB58_24
; %bb.19:
	s_cmp_ge_u32 s19, s13
	v_mov_b32_e32 v0, s12
	s_cbranch_scc1 .LBB58_23
; %bb.20:
	s_waitcnt vmcnt(0)
	v_and_b32_e32 v1, s18, v6
	s_mov_b64 s[2:3], 0
	v_mov_b32_e32 v5, s13
	v_mov_b32_e32 v0, s12
.LBB58_21:                              ; =>This Inner Loop Header: Depth=1
	v_add_u32_e32 v7, v0, v5
	v_and_b32_e32 v8, -2, v7
	global_load_ushort v8, v8, s[8:9]
	v_lshrrev_b32_e32 v7, 1, v7
	v_add_u32_e32 v9, 1, v7
	s_waitcnt vmcnt(0)
	v_and_b32_e32 v8, s18, v8
	v_cmp_gt_i16_e32 vcc, v8, v1
	v_cndmask_b32_e64 v10, 0, 1, vcc
	v_cmp_le_i16_e32 vcc, v1, v8
	v_cndmask_b32_e64 v8, 0, 1, vcc
	v_cndmask_b32_e64 v8, v8, v10, s[0:1]
	v_and_b32_e32 v8, 1, v8
	v_cmp_eq_u32_e32 vcc, 1, v8
	v_cndmask_b32_e32 v5, v7, v5, vcc
	v_cndmask_b32_e32 v0, v0, v9, vcc
	v_cmp_ge_u32_e32 vcc, v0, v5
	s_or_b64 s[2:3], vcc, s[2:3]
	s_andn2_b64 exec, exec, s[2:3]
	s_cbranch_execnz .LBB58_21
; %bb.22:
	s_or_b64 exec, exec, s[2:3]
.LBB58_23:
	v_add_u32_e32 v0, v0, v4
	v_mov_b32_e32 v1, 0
	v_lshlrev_b64 v[4:5], 1, v[0:1]
	v_mov_b32_e32 v7, s11
	v_add_co_u32_e32 v4, vcc, s10, v4
	v_addc_co_u32_e32 v5, vcc, v7, v5, vcc
	v_lshlrev_b64 v[0:1], 3, v[0:1]
	s_waitcnt vmcnt(0)
	global_store_short v[4:5], v6, off
	v_mov_b32_e32 v4, s15
	v_add_co_u32_e32 v0, vcc, s14, v0
	v_addc_co_u32_e32 v1, vcc, v4, v1, vcc
	s_mov_b64 s[4:5], -1
.LBB58_24:
	s_and_b64 exec, exec, s[4:5]
	s_cbranch_execz .LBB58_26
; %bb.25:
	s_waitcnt vmcnt(1)
	global_store_dwordx2 v[0:1], v[2:3], off
.LBB58_26:
	s_endpgm
	.section	.rodata,"a",@progbits
	.p2align	6, 0x0
	.amdhsa_kernel _ZN7rocprim17ROCPRIM_304000_NS6detail33device_block_merge_oddeven_kernelINS1_37wrapped_merge_sort_block_merge_configINS0_14default_configEsN2at4cuda3cub6detail10OpaqueTypeILi8EEEEEPsSC_PSA_SD_jNS1_19radix_merge_compareILb1ELb1EsNS0_19identity_decomposerEEEEEvT0_T1_T2_T3_T4_SL_T5_
		.amdhsa_group_segment_fixed_size 0
		.amdhsa_private_segment_fixed_size 0
		.amdhsa_kernarg_size 44
		.amdhsa_user_sgpr_count 6
		.amdhsa_user_sgpr_private_segment_buffer 1
		.amdhsa_user_sgpr_dispatch_ptr 0
		.amdhsa_user_sgpr_queue_ptr 0
		.amdhsa_user_sgpr_kernarg_segment_ptr 1
		.amdhsa_user_sgpr_dispatch_id 0
		.amdhsa_user_sgpr_flat_scratch_init 0
		.amdhsa_user_sgpr_kernarg_preload_length 0
		.amdhsa_user_sgpr_kernarg_preload_offset 0
		.amdhsa_user_sgpr_private_segment_size 0
		.amdhsa_uses_dynamic_stack 0
		.amdhsa_system_sgpr_private_segment_wavefront_offset 0
		.amdhsa_system_sgpr_workgroup_id_x 1
		.amdhsa_system_sgpr_workgroup_id_y 0
		.amdhsa_system_sgpr_workgroup_id_z 0
		.amdhsa_system_sgpr_workgroup_info 0
		.amdhsa_system_vgpr_workitem_id 0
		.amdhsa_next_free_vgpr 11
		.amdhsa_next_free_sgpr 24
		.amdhsa_accum_offset 12
		.amdhsa_reserve_vcc 1
		.amdhsa_reserve_flat_scratch 0
		.amdhsa_float_round_mode_32 0
		.amdhsa_float_round_mode_16_64 0
		.amdhsa_float_denorm_mode_32 3
		.amdhsa_float_denorm_mode_16_64 3
		.amdhsa_dx10_clamp 1
		.amdhsa_ieee_mode 1
		.amdhsa_fp16_overflow 0
		.amdhsa_tg_split 0
		.amdhsa_exception_fp_ieee_invalid_op 0
		.amdhsa_exception_fp_denorm_src 0
		.amdhsa_exception_fp_ieee_div_zero 0
		.amdhsa_exception_fp_ieee_overflow 0
		.amdhsa_exception_fp_ieee_underflow 0
		.amdhsa_exception_fp_ieee_inexact 0
		.amdhsa_exception_int_div_zero 0
	.end_amdhsa_kernel
	.section	.text._ZN7rocprim17ROCPRIM_304000_NS6detail33device_block_merge_oddeven_kernelINS1_37wrapped_merge_sort_block_merge_configINS0_14default_configEsN2at4cuda3cub6detail10OpaqueTypeILi8EEEEEPsSC_PSA_SD_jNS1_19radix_merge_compareILb1ELb1EsNS0_19identity_decomposerEEEEEvT0_T1_T2_T3_T4_SL_T5_,"axG",@progbits,_ZN7rocprim17ROCPRIM_304000_NS6detail33device_block_merge_oddeven_kernelINS1_37wrapped_merge_sort_block_merge_configINS0_14default_configEsN2at4cuda3cub6detail10OpaqueTypeILi8EEEEEPsSC_PSA_SD_jNS1_19radix_merge_compareILb1ELb1EsNS0_19identity_decomposerEEEEEvT0_T1_T2_T3_T4_SL_T5_,comdat
.Lfunc_end58:
	.size	_ZN7rocprim17ROCPRIM_304000_NS6detail33device_block_merge_oddeven_kernelINS1_37wrapped_merge_sort_block_merge_configINS0_14default_configEsN2at4cuda3cub6detail10OpaqueTypeILi8EEEEEPsSC_PSA_SD_jNS1_19radix_merge_compareILb1ELb1EsNS0_19identity_decomposerEEEEEvT0_T1_T2_T3_T4_SL_T5_, .Lfunc_end58-_ZN7rocprim17ROCPRIM_304000_NS6detail33device_block_merge_oddeven_kernelINS1_37wrapped_merge_sort_block_merge_configINS0_14default_configEsN2at4cuda3cub6detail10OpaqueTypeILi8EEEEEPsSC_PSA_SD_jNS1_19radix_merge_compareILb1ELb1EsNS0_19identity_decomposerEEEEEvT0_T1_T2_T3_T4_SL_T5_
                                        ; -- End function
	.section	.AMDGPU.csdata,"",@progbits
; Kernel info:
; codeLenInByte = 840
; NumSgprs: 28
; NumVgprs: 11
; NumAgprs: 0
; TotalNumVgprs: 11
; ScratchSize: 0
; MemoryBound: 0
; FloatMode: 240
; IeeeMode: 1
; LDSByteSize: 0 bytes/workgroup (compile time only)
; SGPRBlocks: 3
; VGPRBlocks: 1
; NumSGPRsForWavesPerEU: 28
; NumVGPRsForWavesPerEU: 11
; AccumOffset: 12
; Occupancy: 8
; WaveLimiterHint : 0
; COMPUTE_PGM_RSRC2:SCRATCH_EN: 0
; COMPUTE_PGM_RSRC2:USER_SGPR: 6
; COMPUTE_PGM_RSRC2:TRAP_HANDLER: 0
; COMPUTE_PGM_RSRC2:TGID_X_EN: 1
; COMPUTE_PGM_RSRC2:TGID_Y_EN: 0
; COMPUTE_PGM_RSRC2:TGID_Z_EN: 0
; COMPUTE_PGM_RSRC2:TIDIG_COMP_CNT: 0
; COMPUTE_PGM_RSRC3_GFX90A:ACCUM_OFFSET: 2
; COMPUTE_PGM_RSRC3_GFX90A:TG_SPLIT: 0
	.section	.text._ZN7rocprim17ROCPRIM_304000_NS6detail26onesweep_histograms_kernelINS1_34wrapped_radix_sort_onesweep_configINS0_14default_configEsN2at4cuda3cub6detail10OpaqueTypeILi8EEEEELb1EPKsmNS0_19identity_decomposerEEEvT1_PT2_SG_SG_T3_jj,"axG",@progbits,_ZN7rocprim17ROCPRIM_304000_NS6detail26onesweep_histograms_kernelINS1_34wrapped_radix_sort_onesweep_configINS0_14default_configEsN2at4cuda3cub6detail10OpaqueTypeILi8EEEEELb1EPKsmNS0_19identity_decomposerEEEvT1_PT2_SG_SG_T3_jj,comdat
	.protected	_ZN7rocprim17ROCPRIM_304000_NS6detail26onesweep_histograms_kernelINS1_34wrapped_radix_sort_onesweep_configINS0_14default_configEsN2at4cuda3cub6detail10OpaqueTypeILi8EEEEELb1EPKsmNS0_19identity_decomposerEEEvT1_PT2_SG_SG_T3_jj ; -- Begin function _ZN7rocprim17ROCPRIM_304000_NS6detail26onesweep_histograms_kernelINS1_34wrapped_radix_sort_onesweep_configINS0_14default_configEsN2at4cuda3cub6detail10OpaqueTypeILi8EEEEELb1EPKsmNS0_19identity_decomposerEEEvT1_PT2_SG_SG_T3_jj
	.globl	_ZN7rocprim17ROCPRIM_304000_NS6detail26onesweep_histograms_kernelINS1_34wrapped_radix_sort_onesweep_configINS0_14default_configEsN2at4cuda3cub6detail10OpaqueTypeILi8EEEEELb1EPKsmNS0_19identity_decomposerEEEvT1_PT2_SG_SG_T3_jj
	.p2align	8
	.type	_ZN7rocprim17ROCPRIM_304000_NS6detail26onesweep_histograms_kernelINS1_34wrapped_radix_sort_onesweep_configINS0_14default_configEsN2at4cuda3cub6detail10OpaqueTypeILi8EEEEELb1EPKsmNS0_19identity_decomposerEEEvT1_PT2_SG_SG_T3_jj,@function
_ZN7rocprim17ROCPRIM_304000_NS6detail26onesweep_histograms_kernelINS1_34wrapped_radix_sort_onesweep_configINS0_14default_configEsN2at4cuda3cub6detail10OpaqueTypeILi8EEEEELb1EPKsmNS0_19identity_decomposerEEEvT1_PT2_SG_SG_T3_jj: ; @_ZN7rocprim17ROCPRIM_304000_NS6detail26onesweep_histograms_kernelINS1_34wrapped_radix_sort_onesweep_configINS0_14default_configEsN2at4cuda3cub6detail10OpaqueTypeILi8EEEEELb1EPKsmNS0_19identity_decomposerEEEvT1_PT2_SG_SG_T3_jj
; %bb.0:
	s_load_dwordx8 s[12:19], s[4:5], 0x0
	s_load_dwordx2 s[20:21], s[4:5], 0x24
	s_mov_b32 s7, 0
	s_mul_i32 s1, s6, 0x3000
	s_mul_hi_u32 s0, s6, 0x3000
	s_waitcnt lgkmcnt(0)
	v_pk_mov_b32 v[2:3], s[18:19], s[18:19] op_sel:[0,1]
	v_cmp_ge_u64_e32 vcc, s[6:7], v[2:3]
	s_add_u32 s12, s12, s1
	s_addc_u32 s13, s13, s0
	s_mov_b64 s[0:1], -1
	v_lshlrev_b32_e32 v1, 1, v0
	s_cbranch_vccz .LBB59_44
; %bb.1:
	s_mul_i32 s0, s18, 0xffffe800
	s_add_i32 s16, s0, s16
	v_mov_b32_e32 v2, s13
	v_add_co_u32_e32 v6, vcc, s12, v1
	v_addc_co_u32_e32 v7, vcc, 0, v2, vcc
	v_cmp_gt_u32_e64 s[10:11], s16, v0
                                        ; implicit-def: $vgpr2_vgpr3_vgpr4_vgpr5
	s_and_saveexec_b64 s[0:1], s[10:11]
	s_cbranch_execz .LBB59_3
; %bb.2:
	global_load_ushort v2, v[6:7], off
.LBB59_3:
	s_or_b64 exec, exec, s[0:1]
	v_or_b32_e32 v5, 0x400, v0
	v_cmp_gt_u32_e64 s[8:9], s16, v5
	s_and_saveexec_b64 s[0:1], s[8:9]
	s_cbranch_execz .LBB59_5
; %bb.4:
	global_load_ushort v5, v[6:7], off offset:2048
	s_mov_b32 s2, 0x5040100
	s_waitcnt vmcnt(0)
	v_perm_b32 v2, v5, v2, s2
.LBB59_5:
	s_or_b64 exec, exec, s[0:1]
	v_or_b32_e32 v5, 0x800, v0
	v_cmp_gt_u32_e64 s[6:7], s16, v5
	s_and_saveexec_b64 s[0:1], s[6:7]
	s_cbranch_execz .LBB59_7
; %bb.6:
	v_add_co_u32_e32 v8, vcc, 0x1000, v6
	v_addc_co_u32_e32 v9, vcc, 0, v7, vcc
	global_load_ushort v5, v[8:9], off
	s_mov_b32 s2, 0xffff
	s_waitcnt vmcnt(0)
	v_bfi_b32 v3, s2, v5, v3
.LBB59_7:
	s_or_b64 exec, exec, s[0:1]
	v_or_b32_e32 v5, 0xc00, v0
	v_cmp_gt_u32_e64 s[4:5], s16, v5
	s_and_saveexec_b64 s[0:1], s[4:5]
	s_cbranch_execz .LBB59_9
; %bb.8:
	v_add_co_u32_e32 v8, vcc, 0x1000, v6
	v_addc_co_u32_e32 v9, vcc, 0, v7, vcc
	global_load_ushort v5, v[8:9], off offset:2048
	s_mov_b32 s2, 0x5040100
	s_waitcnt vmcnt(0)
	v_perm_b32 v3, v5, v3, s2
.LBB59_9:
	s_or_b64 exec, exec, s[0:1]
	v_or_b32_e32 v5, 0x1000, v0
	v_cmp_gt_u32_e64 s[2:3], s16, v5
	s_and_saveexec_b64 s[0:1], s[2:3]
	s_cbranch_execz .LBB59_11
; %bb.10:
	v_add_co_u32_e32 v8, vcc, 0x2000, v6
	v_addc_co_u32_e32 v9, vcc, 0, v7, vcc
	global_load_ushort v5, v[8:9], off
	s_mov_b32 s17, 0xffff
	s_waitcnt vmcnt(0)
	v_bfi_b32 v4, s17, v5, v4
.LBB59_11:
	s_or_b64 exec, exec, s[0:1]
	v_or_b32_e32 v5, 0x1400, v0
	v_cmp_gt_u32_e64 s[0:1], s16, v5
	s_and_saveexec_b64 s[16:17], s[0:1]
	s_cbranch_execz .LBB59_13
; %bb.12:
	v_add_co_u32_e32 v6, vcc, 0x2000, v6
	v_addc_co_u32_e32 v7, vcc, 0, v7, vcc
	global_load_ushort v5, v[6:7], off offset:2048
	s_mov_b32 s18, 0x5040100
	s_waitcnt vmcnt(0)
	v_perm_b32 v4, v5, v4, s18
.LBB59_13:
	s_or_b64 exec, exec, s[16:17]
	s_cmp_gt_u32 s21, s20
	v_lshlrev_b32_e32 v5, 2, v0
	v_mov_b32_e32 v6, 0
	s_cselect_b64 s[16:17], -1, 0
	s_cmp_le_u32 s21, s20
	ds_write2st64_b32 v5, v6, v6 offset1:16
	s_waitcnt lgkmcnt(0)
	s_barrier
	s_cbranch_scc1 .LBB59_38
; %bb.14:
	v_and_b32_e32 v5, 3, v0
	v_lshlrev_b32_e32 v5, 2, v5
	s_sub_i32 s22, s21, s20
	s_waitcnt vmcnt(0)
	v_xor_b32_e32 v6, 0x7fff, v2
	v_mov_b32_e32 v7, 1
	s_mov_b32 s23, s22
	v_mov_b32_e32 v8, v5
	s_mov_b32 s24, s20
	s_branch .LBB59_16
.LBB59_15:                              ;   in Loop: Header=BB59_16 Depth=1
	s_or_b64 exec, exec, s[18:19]
	s_add_i32 s24, s24, 8
	s_add_i32 s23, s23, -8
	s_cmp_ge_u32 s24, s21
	v_add_u32_e32 v8, 0x1000, v8
	s_cbranch_scc1 .LBB59_18
.LBB59_16:                              ; =>This Inner Loop Header: Depth=1
	s_and_saveexec_b64 s[18:19], s[10:11]
	s_cbranch_execz .LBB59_15
; %bb.17:                               ;   in Loop: Header=BB59_16 Depth=1
	s_min_u32 s25, s23, 8
	v_lshrrev_b32_sdwa v9, s24, v6 dst_sel:DWORD dst_unused:UNUSED_PAD src0_sel:DWORD src1_sel:WORD_0
	v_bfe_u32 v9, v9, 0, s25
	v_lshl_add_u32 v9, v9, 4, v8
	ds_add_u32 v9, v7
	s_branch .LBB59_15
.LBB59_18:
	s_movk_i32 s10, 0x7fff
	v_xor_b32_sdwa v2, v2, s10 dst_sel:DWORD dst_unused:UNUSED_PAD src0_sel:WORD_1 src1_sel:DWORD
	v_mov_b32_e32 v6, 1
	s_mov_b32 s18, s22
	v_mov_b32_e32 v7, v5
	s_mov_b32 s19, s20
	s_branch .LBB59_20
.LBB59_19:                              ;   in Loop: Header=BB59_20 Depth=1
	s_or_b64 exec, exec, s[10:11]
	s_add_i32 s19, s19, 8
	s_add_i32 s18, s18, -8
	s_cmp_lt_u32 s19, s21
	v_add_u32_e32 v7, 0x1000, v7
	s_cbranch_scc0 .LBB59_22
.LBB59_20:                              ; =>This Inner Loop Header: Depth=1
	s_and_saveexec_b64 s[10:11], s[8:9]
	s_cbranch_execz .LBB59_19
; %bb.21:                               ;   in Loop: Header=BB59_20 Depth=1
	s_min_u32 s23, s18, 8
	v_lshrrev_b32_sdwa v8, s19, v2 dst_sel:DWORD dst_unused:UNUSED_PAD src0_sel:DWORD src1_sel:WORD_0
	v_bfe_u32 v8, v8, 0, s23
	v_lshl_add_u32 v8, v8, 4, v7
	ds_add_u32 v8, v6
	s_branch .LBB59_19
.LBB59_22:
	v_xor_b32_e32 v2, 0x7fff, v3
	v_mov_b32_e32 v6, 1
	s_mov_b32 s10, s22
	v_mov_b32_e32 v7, v5
	s_mov_b32 s11, s20
	s_branch .LBB59_24
.LBB59_23:                              ;   in Loop: Header=BB59_24 Depth=1
	s_or_b64 exec, exec, s[8:9]
	s_add_i32 s11, s11, 8
	s_add_i32 s10, s10, -8
	s_cmp_lt_u32 s11, s21
	v_add_u32_e32 v7, 0x1000, v7
	s_cbranch_scc0 .LBB59_26
.LBB59_24:                              ; =>This Inner Loop Header: Depth=1
	s_and_saveexec_b64 s[8:9], s[6:7]
	s_cbranch_execz .LBB59_23
; %bb.25:                               ;   in Loop: Header=BB59_24 Depth=1
	s_min_u32 s18, s10, 8
	v_lshrrev_b32_sdwa v8, s11, v2 dst_sel:DWORD dst_unused:UNUSED_PAD src0_sel:DWORD src1_sel:WORD_0
	v_bfe_u32 v8, v8, 0, s18
	v_lshl_add_u32 v8, v8, 4, v7
	ds_add_u32 v8, v6
	s_branch .LBB59_23
.LBB59_26:
	s_movk_i32 s6, 0x7fff
	v_xor_b32_sdwa v2, v3, s6 dst_sel:DWORD dst_unused:UNUSED_PAD src0_sel:WORD_1 src1_sel:DWORD
	v_mov_b32_e32 v3, 1
	s_mov_b32 s8, s22
	v_mov_b32_e32 v6, v5
	s_mov_b32 s9, s20
	s_branch .LBB59_28
.LBB59_27:                              ;   in Loop: Header=BB59_28 Depth=1
	s_or_b64 exec, exec, s[6:7]
	s_add_i32 s9, s9, 8
	s_add_i32 s8, s8, -8
	s_cmp_lt_u32 s9, s21
	v_add_u32_e32 v6, 0x1000, v6
	s_cbranch_scc0 .LBB59_30
.LBB59_28:                              ; =>This Inner Loop Header: Depth=1
	s_and_saveexec_b64 s[6:7], s[4:5]
	s_cbranch_execz .LBB59_27
; %bb.29:                               ;   in Loop: Header=BB59_28 Depth=1
	s_min_u32 s10, s8, 8
	v_lshrrev_b32_sdwa v7, s9, v2 dst_sel:DWORD dst_unused:UNUSED_PAD src0_sel:DWORD src1_sel:WORD_0
	v_bfe_u32 v7, v7, 0, s10
	v_lshl_add_u32 v7, v7, 4, v6
	ds_add_u32 v7, v3
	s_branch .LBB59_27
.LBB59_30:
	v_xor_b32_e32 v2, 0x7fff, v4
	v_mov_b32_e32 v3, 1
	s_mov_b32 s6, s22
	v_mov_b32_e32 v6, v5
	s_mov_b32 s7, s20
	s_branch .LBB59_32
.LBB59_31:                              ;   in Loop: Header=BB59_32 Depth=1
	s_or_b64 exec, exec, s[4:5]
	s_add_i32 s7, s7, 8
	s_add_i32 s6, s6, -8
	s_cmp_lt_u32 s7, s21
	v_add_u32_e32 v6, 0x1000, v6
	s_cbranch_scc0 .LBB59_34
.LBB59_32:                              ; =>This Inner Loop Header: Depth=1
	s_and_saveexec_b64 s[4:5], s[2:3]
	s_cbranch_execz .LBB59_31
; %bb.33:                               ;   in Loop: Header=BB59_32 Depth=1
	s_min_u32 s8, s6, 8
	v_lshrrev_b32_sdwa v7, s7, v2 dst_sel:DWORD dst_unused:UNUSED_PAD src0_sel:DWORD src1_sel:WORD_0
	v_bfe_u32 v7, v7, 0, s8
	v_lshl_add_u32 v7, v7, 4, v6
	ds_add_u32 v7, v3
	s_branch .LBB59_31
.LBB59_34:
	s_movk_i32 s2, 0x7fff
	v_xor_b32_sdwa v2, v4, s2 dst_sel:DWORD dst_unused:UNUSED_PAD src0_sel:WORD_1 src1_sel:DWORD
	v_mov_b32_e32 v3, 1
	s_mov_b32 s4, s20
	s_branch .LBB59_36
.LBB59_35:                              ;   in Loop: Header=BB59_36 Depth=1
	s_or_b64 exec, exec, s[2:3]
	s_add_i32 s4, s4, 8
	s_add_i32 s22, s22, -8
	s_cmp_lt_u32 s4, s21
	v_add_u32_e32 v5, 0x1000, v5
	s_cbranch_scc0 .LBB59_38
.LBB59_36:                              ; =>This Inner Loop Header: Depth=1
	s_and_saveexec_b64 s[2:3], s[0:1]
	s_cbranch_execz .LBB59_35
; %bb.37:                               ;   in Loop: Header=BB59_36 Depth=1
	s_min_u32 s5, s22, 8
	v_lshrrev_b32_sdwa v4, s4, v2 dst_sel:DWORD dst_unused:UNUSED_PAD src0_sel:DWORD src1_sel:WORD_0
	v_bfe_u32 v4, v4, 0, s5
	v_lshl_add_u32 v4, v4, 4, v5
	ds_add_u32 v4, v3
	s_branch .LBB59_35
.LBB59_38:
	s_and_b64 vcc, exec, s[16:17]
	s_waitcnt lgkmcnt(0)
	s_barrier
	s_cbranch_vccz .LBB59_43
; %bb.39:
	s_movk_i32 s0, 0x100
	v_cmp_gt_u32_e32 vcc, s0, v0
	v_lshlrev_b32_e32 v4, 4, v0
	v_mov_b32_e32 v3, 0
	s_waitcnt vmcnt(0)
	v_mov_b32_e32 v2, v0
	s_mov_b32 s4, s20
	s_branch .LBB59_41
.LBB59_40:                              ;   in Loop: Header=BB59_41 Depth=1
	s_or_b64 exec, exec, s[2:3]
	s_add_i32 s4, s4, 8
	v_add_u32_e32 v2, 0x100, v2
	s_cmp_lt_u32 s4, s21
	v_add_u32_e32 v4, 0x1000, v4
	s_cbranch_scc0 .LBB59_43
.LBB59_41:                              ; =>This Inner Loop Header: Depth=1
	s_and_saveexec_b64 s[2:3], vcc
	s_cbranch_execz .LBB59_40
; %bb.42:                               ;   in Loop: Header=BB59_41 Depth=1
	ds_read2_b32 v[6:7], v4 offset1:1
	ds_read2_b32 v[8:9], v4 offset0:2 offset1:3
	v_lshlrev_b64 v[10:11], 3, v[2:3]
	v_mov_b32_e32 v5, s15
	s_waitcnt lgkmcnt(1)
	v_add_u32_e32 v6, v7, v6
	s_waitcnt lgkmcnt(0)
	v_add3_u32 v6, v6, v8, v9
	v_add_co_u32_e64 v8, s[0:1], s14, v10
	v_addc_co_u32_e64 v9, s[0:1], v5, v11, s[0:1]
	v_mov_b32_e32 v7, v3
	global_atomic_add_x2 v[8:9], v[6:7], off
	s_branch .LBB59_40
.LBB59_43:
	s_mov_b64 s[0:1], 0
.LBB59_44:
	s_and_b64 vcc, exec, s[0:1]
	s_cbranch_vccz .LBB59_68
; %bb.45:
	s_waitcnt vmcnt(0)
	v_mov_b32_e32 v2, s13
	v_add_co_u32_e32 v5, vcc, s12, v1
	v_addc_co_u32_e32 v6, vcc, 0, v2, vcc
	v_add_co_u32_e32 v2, vcc, 0x1000, v5
	v_addc_co_u32_e32 v3, vcc, 0, v6, vcc
	v_add_co_u32_e32 v10, vcc, 0x2000, v5
	global_load_ushort v4, v1, s[12:13] offset:2048
	v_addc_co_u32_e32 v11, vcc, 0, v6, vcc
	global_load_ushort v5, v[2:3], off
	global_load_ushort v6, v[2:3], off offset:2048
	global_load_ushort v7, v[10:11], off
	global_load_ushort v9, v1, s[12:13]
	global_load_ushort v8, v[10:11], off offset:2048
	s_cmp_eq_u32 s20, 0
	s_cselect_b64 s[0:1], -1, 0
	s_cmp_eq_u32 s21, 16
	s_cselect_b64 s[2:3], -1, 0
	s_and_b64 s[2:3], s[0:1], s[2:3]
	v_mov_b32_e32 v2, 0
	v_lshlrev_b32_e32 v1, 2, v0
	s_mov_b64 s[0:1], -1
	s_and_b64 vcc, exec, s[2:3]
	ds_write2st64_b32 v1, v2, v2 offset1:16
	s_waitcnt lgkmcnt(0)
	s_cbranch_vccnz .LBB59_65
; %bb.46:
	s_cmp_gt_u32 s21, s20
	s_cselect_b64 s[0:1], -1, 0
	s_and_b64 vcc, exec, s[0:1]
	s_barrier
	s_cbranch_vccz .LBB59_59
; %bb.47:
	v_and_b32_e32 v2, 3, v0
	v_lshlrev_b32_e32 v2, 2, v2
	s_sub_i32 s2, s21, s20
	s_waitcnt vmcnt(1)
	v_xor_b32_e32 v3, 0x7fff, v9
	v_mov_b32_e32 v10, 1
	s_mov_b32 s3, s2
	v_mov_b32_e32 v11, v2
	s_mov_b32 s4, s20
.LBB59_48:                              ; =>This Inner Loop Header: Depth=1
	s_min_u32 s5, s3, 8
	v_lshrrev_b32_sdwa v12, s4, v3 dst_sel:DWORD dst_unused:UNUSED_PAD src0_sel:DWORD src1_sel:WORD_0
	v_bfe_u32 v12, v12, 0, s5
	v_lshl_add_u32 v12, v12, 4, v11
	ds_add_u32 v12, v10
	s_add_i32 s4, s4, 8
	s_add_i32 s3, s3, -8
	s_cmp_ge_u32 s4, s21
	v_add_u32_e32 v11, 0x1000, v11
	s_cbranch_scc0 .LBB59_48
; %bb.49:
	v_xor_b32_e32 v3, 0x7fff, v4
	v_mov_b32_e32 v10, 1
	s_mov_b32 s3, s2
	v_mov_b32_e32 v11, v2
	s_mov_b32 s4, s20
.LBB59_50:                              ; =>This Inner Loop Header: Depth=1
	s_min_u32 s5, s3, 8
	v_lshrrev_b32_sdwa v12, s4, v3 dst_sel:DWORD dst_unused:UNUSED_PAD src0_sel:DWORD src1_sel:WORD_0
	v_bfe_u32 v12, v12, 0, s5
	v_lshl_add_u32 v12, v12, 4, v11
	ds_add_u32 v12, v10
	s_add_i32 s4, s4, 8
	s_add_i32 s3, s3, -8
	s_cmp_lt_u32 s4, s21
	v_add_u32_e32 v11, 0x1000, v11
	s_cbranch_scc1 .LBB59_50
; %bb.51:
	v_xor_b32_e32 v3, 0x7fff, v5
	v_mov_b32_e32 v10, 1
	s_mov_b32 s3, s2
	v_mov_b32_e32 v11, v2
	s_mov_b32 s4, s20
.LBB59_52:                              ; =>This Inner Loop Header: Depth=1
	s_min_u32 s5, s3, 8
	v_lshrrev_b32_sdwa v12, s4, v3 dst_sel:DWORD dst_unused:UNUSED_PAD src0_sel:DWORD src1_sel:WORD_0
	v_bfe_u32 v12, v12, 0, s5
	v_lshl_add_u32 v12, v12, 4, v11
	ds_add_u32 v12, v10
	s_add_i32 s4, s4, 8
	s_add_i32 s3, s3, -8
	s_cmp_lt_u32 s4, s21
	v_add_u32_e32 v11, 0x1000, v11
	s_cbranch_scc1 .LBB59_52
	;; [unrolled: 17-line block ×4, first 2 shown]
; %bb.57:
	s_waitcnt vmcnt(0)
	v_xor_b32_e32 v3, 0x7fff, v8
	v_mov_b32_e32 v10, 1
	s_mov_b32 s3, s20
.LBB59_58:                              ; =>This Inner Loop Header: Depth=1
	s_min_u32 s4, s2, 8
	v_lshrrev_b32_sdwa v11, s3, v3 dst_sel:DWORD dst_unused:UNUSED_PAD src0_sel:DWORD src1_sel:WORD_0
	v_bfe_u32 v11, v11, 0, s4
	v_lshl_add_u32 v11, v11, 4, v2
	ds_add_u32 v11, v10
	s_add_i32 s3, s3, 8
	s_add_i32 s2, s2, -8
	s_cmp_lt_u32 s3, s21
	v_add_u32_e32 v2, 0x1000, v2
	s_cbranch_scc1 .LBB59_58
.LBB59_59:
	s_and_b64 vcc, exec, s[0:1]
	s_waitcnt lgkmcnt(0)
	s_barrier
	s_cbranch_vccz .LBB59_64
; %bb.60:
	s_movk_i32 s0, 0x100
	v_cmp_gt_u32_e32 vcc, s0, v0
	v_lshlrev_b32_e32 v10, 4, v0
	v_mov_b32_e32 v3, 0
	v_mov_b32_e32 v2, v0
	s_branch .LBB59_62
.LBB59_61:                              ;   in Loop: Header=BB59_62 Depth=1
	s_or_b64 exec, exec, s[2:3]
	s_add_i32 s20, s20, 8
	v_add_u32_e32 v2, 0x100, v2
	s_cmp_ge_u32 s20, s21
	v_add_u32_e32 v10, 0x1000, v10
	s_cbranch_scc1 .LBB59_64
.LBB59_62:                              ; =>This Inner Loop Header: Depth=1
	s_and_saveexec_b64 s[2:3], vcc
	s_cbranch_execz .LBB59_61
; %bb.63:                               ;   in Loop: Header=BB59_62 Depth=1
	ds_read2_b32 v[12:13], v10 offset1:1
	ds_read2_b32 v[14:15], v10 offset0:2 offset1:3
	v_lshlrev_b64 v[16:17], 3, v[2:3]
	v_mov_b32_e32 v11, s15
	s_waitcnt lgkmcnt(1)
	v_add_u32_e32 v12, v13, v12
	s_waitcnt lgkmcnt(0)
	v_add3_u32 v12, v12, v14, v15
	v_add_co_u32_e64 v14, s[0:1], s14, v16
	v_addc_co_u32_e64 v15, s[0:1], v11, v17, s[0:1]
	v_mov_b32_e32 v13, v3
	global_atomic_add_x2 v[14:15], v[12:13], off
	s_branch .LBB59_61
.LBB59_64:
	s_mov_b64 s[0:1], 0
.LBB59_65:
	s_and_b64 vcc, exec, s[0:1]
	s_cbranch_vccz .LBB59_68
; %bb.66:
	s_waitcnt vmcnt(1)
	v_xor_b32_e32 v2, 0x7fff, v9
	v_and_b32_e32 v2, 0xffff, v2
	v_xor_b32_e32 v3, 0x7fff, v4
	v_xor_b32_e32 v4, 0x7fff, v5
	;; [unrolled: 1-line block ×4, first 2 shown]
	s_waitcnt vmcnt(0)
	v_xor_b32_e32 v7, 0x7fff, v8
	v_and_b32_e32 v8, 3, v0
	v_lshlrev_b32_e32 v9, 2, v2
	s_movk_i32 s0, 0x3fc
	v_and_or_b32 v9, v9, s0, v8
	v_bfe_u32 v2, v2, 8, 8
	v_lshlrev_b32_e32 v9, 2, v9
	v_mov_b32_e32 v10, 1
	v_lshl_or_b32 v2, v2, 2, v8
	s_barrier
	ds_add_u32 v9, v10
	v_lshlrev_b32_e32 v2, 2, v2
	ds_add_u32 v2, v10 offset:4096
	v_and_b32_e32 v2, 0xffff, v3
	v_lshlrev_b32_e32 v3, 2, v2
	v_and_or_b32 v3, v3, s0, v8
	v_bfe_u32 v2, v2, 8, 8
	v_lshlrev_b32_e32 v3, 2, v3
	v_lshl_or_b32 v2, v2, 2, v8
	ds_add_u32 v3, v10
	v_lshlrev_b32_e32 v2, 2, v2
	ds_add_u32 v2, v10 offset:4096
	v_and_b32_e32 v2, 0xffff, v4
	v_lshlrev_b32_e32 v3, 2, v2
	v_and_or_b32 v3, v3, s0, v8
	v_bfe_u32 v2, v2, 8, 8
	v_lshlrev_b32_e32 v3, 2, v3
	v_lshl_or_b32 v2, v2, 2, v8
	;; [unrolled: 9-line block ×5, first 2 shown]
	ds_add_u32 v3, v10
	v_lshlrev_b32_e32 v2, 2, v2
	ds_add_u32 v2, v10 offset:4096
	s_movk_i32 s0, 0x100
	v_cmp_gt_u32_e32 vcc, s0, v0
	s_waitcnt lgkmcnt(0)
	s_barrier
	s_and_saveexec_b64 s[0:1], vcc
	s_cbranch_execz .LBB59_68
; %bb.67:
	v_mad_u32_u24 v6, v0, 12, v1
	ds_read2_b32 v[2:3], v6 offset1:1
	ds_read2_b32 v[4:5], v6 offset0:2 offset1:3
	v_lshlrev_b32_e32 v7, 3, v0
	v_mov_b32_e32 v1, 0
	v_add_u32_e32 v8, 0x1000, v6
	s_waitcnt lgkmcnt(1)
	v_add_u32_e32 v0, v3, v2
	s_waitcnt lgkmcnt(0)
	v_add3_u32 v0, v0, v4, v5
	global_atomic_add_x2 v7, v[0:1], s[14:15]
	v_add_u32_e32 v0, 0x1008, v6
	ds_read2_b32 v[2:3], v8 offset1:1
	ds_read2_b32 v[4:5], v0 offset1:1
	s_waitcnt lgkmcnt(1)
	v_add_u32_e32 v0, v3, v2
	s_waitcnt lgkmcnt(0)
	v_add3_u32 v0, v0, v4, v5
	global_atomic_add_x2 v7, v[0:1], s[14:15] offset:2048
.LBB59_68:
	s_endpgm
	.section	.rodata,"a",@progbits
	.p2align	6, 0x0
	.amdhsa_kernel _ZN7rocprim17ROCPRIM_304000_NS6detail26onesweep_histograms_kernelINS1_34wrapped_radix_sort_onesweep_configINS0_14default_configEsN2at4cuda3cub6detail10OpaqueTypeILi8EEEEELb1EPKsmNS0_19identity_decomposerEEEvT1_PT2_SG_SG_T3_jj
		.amdhsa_group_segment_fixed_size 8192
		.amdhsa_private_segment_fixed_size 0
		.amdhsa_kernarg_size 44
		.amdhsa_user_sgpr_count 6
		.amdhsa_user_sgpr_private_segment_buffer 1
		.amdhsa_user_sgpr_dispatch_ptr 0
		.amdhsa_user_sgpr_queue_ptr 0
		.amdhsa_user_sgpr_kernarg_segment_ptr 1
		.amdhsa_user_sgpr_dispatch_id 0
		.amdhsa_user_sgpr_flat_scratch_init 0
		.amdhsa_user_sgpr_kernarg_preload_length 0
		.amdhsa_user_sgpr_kernarg_preload_offset 0
		.amdhsa_user_sgpr_private_segment_size 0
		.amdhsa_uses_dynamic_stack 0
		.amdhsa_system_sgpr_private_segment_wavefront_offset 0
		.amdhsa_system_sgpr_workgroup_id_x 1
		.amdhsa_system_sgpr_workgroup_id_y 0
		.amdhsa_system_sgpr_workgroup_id_z 0
		.amdhsa_system_sgpr_workgroup_info 0
		.amdhsa_system_vgpr_workitem_id 0
		.amdhsa_next_free_vgpr 18
		.amdhsa_next_free_sgpr 26
		.amdhsa_accum_offset 20
		.amdhsa_reserve_vcc 1
		.amdhsa_reserve_flat_scratch 0
		.amdhsa_float_round_mode_32 0
		.amdhsa_float_round_mode_16_64 0
		.amdhsa_float_denorm_mode_32 3
		.amdhsa_float_denorm_mode_16_64 3
		.amdhsa_dx10_clamp 1
		.amdhsa_ieee_mode 1
		.amdhsa_fp16_overflow 0
		.amdhsa_tg_split 0
		.amdhsa_exception_fp_ieee_invalid_op 0
		.amdhsa_exception_fp_denorm_src 0
		.amdhsa_exception_fp_ieee_div_zero 0
		.amdhsa_exception_fp_ieee_overflow 0
		.amdhsa_exception_fp_ieee_underflow 0
		.amdhsa_exception_fp_ieee_inexact 0
		.amdhsa_exception_int_div_zero 0
	.end_amdhsa_kernel
	.section	.text._ZN7rocprim17ROCPRIM_304000_NS6detail26onesweep_histograms_kernelINS1_34wrapped_radix_sort_onesweep_configINS0_14default_configEsN2at4cuda3cub6detail10OpaqueTypeILi8EEEEELb1EPKsmNS0_19identity_decomposerEEEvT1_PT2_SG_SG_T3_jj,"axG",@progbits,_ZN7rocprim17ROCPRIM_304000_NS6detail26onesweep_histograms_kernelINS1_34wrapped_radix_sort_onesweep_configINS0_14default_configEsN2at4cuda3cub6detail10OpaqueTypeILi8EEEEELb1EPKsmNS0_19identity_decomposerEEEvT1_PT2_SG_SG_T3_jj,comdat
.Lfunc_end59:
	.size	_ZN7rocprim17ROCPRIM_304000_NS6detail26onesweep_histograms_kernelINS1_34wrapped_radix_sort_onesweep_configINS0_14default_configEsN2at4cuda3cub6detail10OpaqueTypeILi8EEEEELb1EPKsmNS0_19identity_decomposerEEEvT1_PT2_SG_SG_T3_jj, .Lfunc_end59-_ZN7rocprim17ROCPRIM_304000_NS6detail26onesweep_histograms_kernelINS1_34wrapped_radix_sort_onesweep_configINS0_14default_configEsN2at4cuda3cub6detail10OpaqueTypeILi8EEEEELb1EPKsmNS0_19identity_decomposerEEEvT1_PT2_SG_SG_T3_jj
                                        ; -- End function
	.section	.AMDGPU.csdata,"",@progbits
; Kernel info:
; codeLenInByte = 2744
; NumSgprs: 30
; NumVgprs: 18
; NumAgprs: 0
; TotalNumVgprs: 18
; ScratchSize: 0
; MemoryBound: 0
; FloatMode: 240
; IeeeMode: 1
; LDSByteSize: 8192 bytes/workgroup (compile time only)
; SGPRBlocks: 3
; VGPRBlocks: 2
; NumSGPRsForWavesPerEU: 30
; NumVGPRsForWavesPerEU: 18
; AccumOffset: 20
; Occupancy: 8
; WaveLimiterHint : 1
; COMPUTE_PGM_RSRC2:SCRATCH_EN: 0
; COMPUTE_PGM_RSRC2:USER_SGPR: 6
; COMPUTE_PGM_RSRC2:TRAP_HANDLER: 0
; COMPUTE_PGM_RSRC2:TGID_X_EN: 1
; COMPUTE_PGM_RSRC2:TGID_Y_EN: 0
; COMPUTE_PGM_RSRC2:TGID_Z_EN: 0
; COMPUTE_PGM_RSRC2:TIDIG_COMP_CNT: 0
; COMPUTE_PGM_RSRC3_GFX90A:ACCUM_OFFSET: 4
; COMPUTE_PGM_RSRC3_GFX90A:TG_SPLIT: 0
	.section	.text._ZN7rocprim17ROCPRIM_304000_NS6detail31onesweep_scan_histograms_kernelINS1_34wrapped_radix_sort_onesweep_configINS0_14default_configEsN2at4cuda3cub6detail10OpaqueTypeILi8EEEEEmEEvPT0_,"axG",@progbits,_ZN7rocprim17ROCPRIM_304000_NS6detail31onesweep_scan_histograms_kernelINS1_34wrapped_radix_sort_onesweep_configINS0_14default_configEsN2at4cuda3cub6detail10OpaqueTypeILi8EEEEEmEEvPT0_,comdat
	.protected	_ZN7rocprim17ROCPRIM_304000_NS6detail31onesweep_scan_histograms_kernelINS1_34wrapped_radix_sort_onesweep_configINS0_14default_configEsN2at4cuda3cub6detail10OpaqueTypeILi8EEEEEmEEvPT0_ ; -- Begin function _ZN7rocprim17ROCPRIM_304000_NS6detail31onesweep_scan_histograms_kernelINS1_34wrapped_radix_sort_onesweep_configINS0_14default_configEsN2at4cuda3cub6detail10OpaqueTypeILi8EEEEEmEEvPT0_
	.globl	_ZN7rocprim17ROCPRIM_304000_NS6detail31onesweep_scan_histograms_kernelINS1_34wrapped_radix_sort_onesweep_configINS0_14default_configEsN2at4cuda3cub6detail10OpaqueTypeILi8EEEEEmEEvPT0_
	.p2align	8
	.type	_ZN7rocprim17ROCPRIM_304000_NS6detail31onesweep_scan_histograms_kernelINS1_34wrapped_radix_sort_onesweep_configINS0_14default_configEsN2at4cuda3cub6detail10OpaqueTypeILi8EEEEEmEEvPT0_,@function
_ZN7rocprim17ROCPRIM_304000_NS6detail31onesweep_scan_histograms_kernelINS1_34wrapped_radix_sort_onesweep_configINS0_14default_configEsN2at4cuda3cub6detail10OpaqueTypeILi8EEEEEmEEvPT0_: ; @_ZN7rocprim17ROCPRIM_304000_NS6detail31onesweep_scan_histograms_kernelINS1_34wrapped_radix_sort_onesweep_configINS0_14default_configEsN2at4cuda3cub6detail10OpaqueTypeILi8EEEEEmEEvPT0_
; %bb.0:
	s_load_dwordx2 s[0:1], s[4:5], 0x0
	s_lshl_b32 s2, s6, 8
	s_mov_b32 s3, 0
	s_lshl_b64 s[2:3], s[2:3], 3
	v_lshlrev_b32_e32 v5, 3, v0
	s_waitcnt lgkmcnt(0)
	s_add_u32 s14, s0, s2
	s_movk_i32 s0, 0x100
	s_addc_u32 s15, s1, s3
	v_cmp_gt_u32_e32 vcc, s0, v0
                                        ; implicit-def: $vgpr2_vgpr3
	s_and_saveexec_b64 s[0:1], vcc
	s_cbranch_execz .LBB60_2
; %bb.1:
	global_load_dwordx2 v[2:3], v5, s[14:15]
.LBB60_2:
	s_or_b64 exec, exec, s[0:1]
	v_mbcnt_lo_u32_b32 v1, -1, 0
	s_waitcnt vmcnt(0)
	v_mov_b32_dpp v4, v2 row_shr:1 row_mask:0xf bank_mask:0xf
	v_mbcnt_hi_u32_b32 v6, -1, v1
	v_add_co_u32_e64 v4, s[0:1], v2, v4
	v_and_b32_e32 v1, 15, v6
	v_addc_co_u32_e64 v8, s[0:1], 0, v3, s[0:1]
	v_mov_b32_dpp v7, v3 row_shr:1 row_mask:0xf bank_mask:0xf
	v_add_co_u32_e64 v9, s[0:1], 0, v4
	v_cmp_eq_u32_e64 s[2:3], 0, v1
	v_addc_co_u32_e64 v7, s[0:1], v7, v8, s[0:1]
	v_cndmask_b32_e64 v4, v4, v2, s[2:3]
	v_cndmask_b32_e64 v7, v7, v3, s[2:3]
	v_cndmask_b32_e64 v8, v9, v2, s[2:3]
	v_mov_b32_dpp v9, v4 row_shr:2 row_mask:0xf bank_mask:0xf
	v_mov_b32_dpp v10, v7 row_shr:2 row_mask:0xf bank_mask:0xf
	v_add_co_u32_e64 v9, s[0:1], v9, v8
	v_cmp_lt_u32_e64 s[4:5], 1, v1
	v_addc_co_u32_e64 v10, s[0:1], v10, v7, s[0:1]
	v_cndmask_b32_e64 v4, v4, v9, s[4:5]
	v_cndmask_b32_e64 v7, v7, v10, s[4:5]
	v_cndmask_b32_e64 v8, v8, v9, s[4:5]
	v_mov_b32_dpp v9, v4 row_shr:4 row_mask:0xf bank_mask:0xf
	v_mov_b32_dpp v10, v7 row_shr:4 row_mask:0xf bank_mask:0xf
	v_add_co_u32_e64 v9, s[0:1], v9, v8
	v_cmp_lt_u32_e64 s[6:7], 3, v1
	;; [unrolled: 8-line block ×3, first 2 shown]
	v_addc_co_u32_e64 v10, s[0:1], v10, v7, s[0:1]
	v_cndmask_b32_e64 v11, v4, v9, s[8:9]
	v_cndmask_b32_e64 v1, v7, v10, s[8:9]
	;; [unrolled: 1-line block ×3, first 2 shown]
	v_mov_b32_dpp v7, v11 row_bcast:15 row_mask:0xf bank_mask:0xf
	v_mov_b32_dpp v8, v1 row_bcast:15 row_mask:0xf bank_mask:0xf
	v_and_b32_e32 v10, 16, v6
	v_add_co_u32_e64 v7, s[0:1], v7, v4
	v_addc_co_u32_e64 v9, s[0:1], v8, v1, s[0:1]
	v_cmp_eq_u32_e64 s[10:11], 0, v10
	v_cndmask_b32_e64 v10, v9, v1, s[10:11]
	v_cndmask_b32_e64 v8, v7, v11, s[10:11]
	v_cmp_eq_u32_e64 s[0:1], 0, v6
	v_mov_b32_dpp v10, v10 row_bcast:31 row_mask:0xf bank_mask:0xf
	v_mov_b32_dpp v8, v8 row_bcast:31 row_mask:0xf bank_mask:0xf
	v_cmp_ne_u32_e64 s[12:13], 0, v6
	s_and_saveexec_b64 s[16:17], s[12:13]
; %bb.3:
	v_cndmask_b32_e64 v1, v9, v1, s[10:11]
	v_cndmask_b32_e64 v2, v7, v4, s[10:11]
	v_cmp_lt_u32_e64 s[10:11], 31, v6
	v_cndmask_b32_e64 v4, 0, v8, s[10:11]
	v_cndmask_b32_e64 v3, 0, v10, s[10:11]
	v_add_co_u32_e64 v2, s[10:11], v4, v2
	v_addc_co_u32_e64 v3, s[10:11], v3, v1, s[10:11]
; %bb.4:
	s_or_b64 exec, exec, s[16:17]
	v_and_b32_e32 v1, 63, v0
	v_lshrrev_b32_e32 v4, 6, v0
	v_cmp_eq_u32_e64 s[10:11], 63, v1
	s_and_saveexec_b64 s[12:13], s[10:11]
	s_cbranch_execz .LBB60_6
; %bb.5:
	v_lshlrev_b32_e32 v1, 3, v4
	ds_write_b64 v1, v[2:3]
.LBB60_6:
	s_or_b64 exec, exec, s[12:13]
	v_cmp_gt_u32_e64 s[10:11], 16, v0
	s_waitcnt lgkmcnt(0)
	s_barrier
	s_and_saveexec_b64 s[12:13], s[10:11]
	s_cbranch_execz .LBB60_8
; %bb.7:
	ds_read_b64 v[8:9], v5
	s_waitcnt lgkmcnt(0)
	s_nop 0
	v_mov_b32_dpp v1, v8 row_shr:1 row_mask:0xf bank_mask:0xf
	v_add_co_u32_e64 v1, s[10:11], v8, v1
	v_addc_co_u32_e64 v10, s[10:11], 0, v9, s[10:11]
	v_mov_b32_dpp v7, v9 row_shr:1 row_mask:0xf bank_mask:0xf
	v_add_co_u32_e64 v11, s[10:11], 0, v1
	v_addc_co_u32_e64 v7, s[10:11], v7, v10, s[10:11]
	v_cndmask_b32_e64 v1, v1, v8, s[2:3]
	v_cndmask_b32_e64 v7, v7, v9, s[2:3]
	;; [unrolled: 1-line block ×3, first 2 shown]
	v_mov_b32_dpp v8, v1 row_shr:2 row_mask:0xf bank_mask:0xf
	v_add_co_u32_e64 v8, s[2:3], v9, v8
	v_addc_co_u32_e64 v11, s[2:3], 0, v7, s[2:3]
	v_mov_b32_dpp v10, v7 row_shr:2 row_mask:0xf bank_mask:0xf
	v_add_co_u32_e64 v12, s[2:3], 0, v8
	v_cndmask_b32_e64 v1, v1, v8, s[4:5]
	v_addc_co_u32_e64 v10, s[2:3], v11, v10, s[2:3]
	v_cndmask_b32_e64 v8, v9, v12, s[4:5]
	v_mov_b32_dpp v9, v1 row_shr:4 row_mask:0xf bank_mask:0xf
	v_cndmask_b32_e64 v7, v7, v10, s[4:5]
	v_add_co_u32_e64 v9, s[2:3], v8, v9
	v_addc_co_u32_e64 v11, s[2:3], 0, v7, s[2:3]
	v_mov_b32_dpp v10, v7 row_shr:4 row_mask:0xf bank_mask:0xf
	v_add_co_u32_e64 v12, s[2:3], 0, v9
	v_addc_co_u32_e64 v10, s[2:3], v11, v10, s[2:3]
	v_cndmask_b32_e64 v1, v1, v9, s[6:7]
	v_cndmask_b32_e64 v7, v7, v10, s[6:7]
	;; [unrolled: 1-line block ×3, first 2 shown]
	v_mov_b32_dpp v1, v1 row_shr:8 row_mask:0xf bank_mask:0xf
	v_mov_b32_dpp v9, v7 row_shr:8 row_mask:0xf bank_mask:0xf
	v_cndmask_b32_e64 v1, 0, v1, s[8:9]
	v_cndmask_b32_e64 v9, 0, v9, s[8:9]
	v_add_co_u32_e64 v8, s[2:3], v1, v8
	v_addc_co_u32_e64 v9, s[2:3], v9, v7, s[2:3]
	ds_write_b64 v5, v[8:9]
.LBB60_8:
	s_or_b64 exec, exec, s[12:13]
	v_cmp_lt_u32_e64 s[2:3], 63, v0
	v_pk_mov_b32 v[0:1], 0, 0
	s_waitcnt lgkmcnt(0)
	s_barrier
	s_and_saveexec_b64 s[4:5], s[2:3]
	s_cbranch_execz .LBB60_10
; %bb.9:
	v_lshl_add_u32 v0, v4, 3, -8
	ds_read_b64 v[0:1], v0
.LBB60_10:
	s_or_b64 exec, exec, s[4:5]
	s_waitcnt lgkmcnt(0)
	v_add_co_u32_e64 v2, s[2:3], v0, v2
	v_addc_co_u32_e64 v3, s[2:3], v1, v3, s[2:3]
	v_add_u32_e32 v4, -1, v6
	v_and_b32_e32 v7, 64, v6
	v_cmp_lt_i32_e64 s[2:3], v4, v7
	v_cndmask_b32_e64 v4, v4, v6, s[2:3]
	v_lshlrev_b32_e32 v4, 2, v4
	ds_bpermute_b32 v2, v4, v2
	ds_bpermute_b32 v3, v4, v3
	s_and_saveexec_b64 s[2:3], vcc
	s_cbranch_execz .LBB60_12
; %bb.11:
	s_waitcnt lgkmcnt(0)
	v_cndmask_b32_e64 v1, v3, v1, s[0:1]
	v_cndmask_b32_e64 v0, v2, v0, s[0:1]
	global_store_dwordx2 v5, v[0:1], s[14:15]
.LBB60_12:
	s_endpgm
	.section	.rodata,"a",@progbits
	.p2align	6, 0x0
	.amdhsa_kernel _ZN7rocprim17ROCPRIM_304000_NS6detail31onesweep_scan_histograms_kernelINS1_34wrapped_radix_sort_onesweep_configINS0_14default_configEsN2at4cuda3cub6detail10OpaqueTypeILi8EEEEEmEEvPT0_
		.amdhsa_group_segment_fixed_size 128
		.amdhsa_private_segment_fixed_size 0
		.amdhsa_kernarg_size 8
		.amdhsa_user_sgpr_count 6
		.amdhsa_user_sgpr_private_segment_buffer 1
		.amdhsa_user_sgpr_dispatch_ptr 0
		.amdhsa_user_sgpr_queue_ptr 0
		.amdhsa_user_sgpr_kernarg_segment_ptr 1
		.amdhsa_user_sgpr_dispatch_id 0
		.amdhsa_user_sgpr_flat_scratch_init 0
		.amdhsa_user_sgpr_kernarg_preload_length 0
		.amdhsa_user_sgpr_kernarg_preload_offset 0
		.amdhsa_user_sgpr_private_segment_size 0
		.amdhsa_uses_dynamic_stack 0
		.amdhsa_system_sgpr_private_segment_wavefront_offset 0
		.amdhsa_system_sgpr_workgroup_id_x 1
		.amdhsa_system_sgpr_workgroup_id_y 0
		.amdhsa_system_sgpr_workgroup_id_z 0
		.amdhsa_system_sgpr_workgroup_info 0
		.amdhsa_system_vgpr_workitem_id 0
		.amdhsa_next_free_vgpr 13
		.amdhsa_next_free_sgpr 18
		.amdhsa_accum_offset 16
		.amdhsa_reserve_vcc 1
		.amdhsa_reserve_flat_scratch 0
		.amdhsa_float_round_mode_32 0
		.amdhsa_float_round_mode_16_64 0
		.amdhsa_float_denorm_mode_32 3
		.amdhsa_float_denorm_mode_16_64 3
		.amdhsa_dx10_clamp 1
		.amdhsa_ieee_mode 1
		.amdhsa_fp16_overflow 0
		.amdhsa_tg_split 0
		.amdhsa_exception_fp_ieee_invalid_op 0
		.amdhsa_exception_fp_denorm_src 0
		.amdhsa_exception_fp_ieee_div_zero 0
		.amdhsa_exception_fp_ieee_overflow 0
		.amdhsa_exception_fp_ieee_underflow 0
		.amdhsa_exception_fp_ieee_inexact 0
		.amdhsa_exception_int_div_zero 0
	.end_amdhsa_kernel
	.section	.text._ZN7rocprim17ROCPRIM_304000_NS6detail31onesweep_scan_histograms_kernelINS1_34wrapped_radix_sort_onesweep_configINS0_14default_configEsN2at4cuda3cub6detail10OpaqueTypeILi8EEEEEmEEvPT0_,"axG",@progbits,_ZN7rocprim17ROCPRIM_304000_NS6detail31onesweep_scan_histograms_kernelINS1_34wrapped_radix_sort_onesweep_configINS0_14default_configEsN2at4cuda3cub6detail10OpaqueTypeILi8EEEEEmEEvPT0_,comdat
.Lfunc_end60:
	.size	_ZN7rocprim17ROCPRIM_304000_NS6detail31onesweep_scan_histograms_kernelINS1_34wrapped_radix_sort_onesweep_configINS0_14default_configEsN2at4cuda3cub6detail10OpaqueTypeILi8EEEEEmEEvPT0_, .Lfunc_end60-_ZN7rocprim17ROCPRIM_304000_NS6detail31onesweep_scan_histograms_kernelINS1_34wrapped_radix_sort_onesweep_configINS0_14default_configEsN2at4cuda3cub6detail10OpaqueTypeILi8EEEEEmEEvPT0_
                                        ; -- End function
	.section	.AMDGPU.csdata,"",@progbits
; Kernel info:
; codeLenInByte = 1028
; NumSgprs: 22
; NumVgprs: 13
; NumAgprs: 0
; TotalNumVgprs: 13
; ScratchSize: 0
; MemoryBound: 0
; FloatMode: 240
; IeeeMode: 1
; LDSByteSize: 128 bytes/workgroup (compile time only)
; SGPRBlocks: 2
; VGPRBlocks: 1
; NumSGPRsForWavesPerEU: 22
; NumVGPRsForWavesPerEU: 13
; AccumOffset: 16
; Occupancy: 8
; WaveLimiterHint : 0
; COMPUTE_PGM_RSRC2:SCRATCH_EN: 0
; COMPUTE_PGM_RSRC2:USER_SGPR: 6
; COMPUTE_PGM_RSRC2:TRAP_HANDLER: 0
; COMPUTE_PGM_RSRC2:TGID_X_EN: 1
; COMPUTE_PGM_RSRC2:TGID_Y_EN: 0
; COMPUTE_PGM_RSRC2:TGID_Z_EN: 0
; COMPUTE_PGM_RSRC2:TIDIG_COMP_CNT: 0
; COMPUTE_PGM_RSRC3_GFX90A:ACCUM_OFFSET: 3
; COMPUTE_PGM_RSRC3_GFX90A:TG_SPLIT: 0
	.section	.text._ZN7rocprim17ROCPRIM_304000_NS6detail16transform_kernelINS1_24wrapped_transform_configINS0_14default_configEsEEsPKsPsNS0_8identityIsEEEEvT1_mT2_T3_,"axG",@progbits,_ZN7rocprim17ROCPRIM_304000_NS6detail16transform_kernelINS1_24wrapped_transform_configINS0_14default_configEsEEsPKsPsNS0_8identityIsEEEEvT1_mT2_T3_,comdat
	.protected	_ZN7rocprim17ROCPRIM_304000_NS6detail16transform_kernelINS1_24wrapped_transform_configINS0_14default_configEsEEsPKsPsNS0_8identityIsEEEEvT1_mT2_T3_ ; -- Begin function _ZN7rocprim17ROCPRIM_304000_NS6detail16transform_kernelINS1_24wrapped_transform_configINS0_14default_configEsEEsPKsPsNS0_8identityIsEEEEvT1_mT2_T3_
	.globl	_ZN7rocprim17ROCPRIM_304000_NS6detail16transform_kernelINS1_24wrapped_transform_configINS0_14default_configEsEEsPKsPsNS0_8identityIsEEEEvT1_mT2_T3_
	.p2align	8
	.type	_ZN7rocprim17ROCPRIM_304000_NS6detail16transform_kernelINS1_24wrapped_transform_configINS0_14default_configEsEEsPKsPsNS0_8identityIsEEEEvT1_mT2_T3_,@function
_ZN7rocprim17ROCPRIM_304000_NS6detail16transform_kernelINS1_24wrapped_transform_configINS0_14default_configEsEEsPKsPsNS0_8identityIsEEEEvT1_mT2_T3_: ; @_ZN7rocprim17ROCPRIM_304000_NS6detail16transform_kernelINS1_24wrapped_transform_configINS0_14default_configEsEEsPKsPsNS0_8identityIsEEEEvT1_mT2_T3_
; %bb.0:
	s_load_dword s7, s[4:5], 0x20
	s_load_dwordx4 s[0:3], s[4:5], 0x0
	s_load_dwordx2 s[16:17], s[4:5], 0x10
	s_lshl_b32 s4, s6, 9
	s_mov_b32 s5, 0
	s_waitcnt lgkmcnt(0)
	s_add_i32 s7, s7, -1
	s_lshl_b64 s[18:19], s[4:5], 1
	s_add_u32 s0, s0, s18
	s_addc_u32 s1, s1, s19
	v_lshlrev_b32_e32 v8, 1, v0
	v_mov_b32_e32 v1, s1
	v_add_co_u32_e32 v6, vcc, s0, v8
	s_cmp_lg_u32 s6, s7
	v_addc_co_u32_e32 v7, vcc, 0, v1, vcc
	s_cbranch_scc0 .LBB61_2
; %bb.1:
	global_load_ushort v2, v[6:7], off
	global_load_ushort v3, v[6:7], off offset:128
	global_load_ushort v4, v[6:7], off offset:256
	;; [unrolled: 1-line block ×7, first 2 shown]
	s_add_u32 s6, s16, s18
	s_addc_u32 s7, s17, s19
	s_mov_b64 s[20:21], -1
	s_waitcnt vmcnt(7)
	global_store_short v8, v2, s[6:7]
	s_waitcnt vmcnt(7)
	global_store_short v8, v3, s[6:7] offset:128
	s_waitcnt vmcnt(7)
	global_store_short v8, v4, s[6:7] offset:256
	;; [unrolled: 2-line block ×6, first 2 shown]
	s_cbranch_execz .LBB61_3
	s_branch .LBB61_32
.LBB61_2:
	s_mov_b64 s[20:21], 0
                                        ; implicit-def: $vgpr1
.LBB61_3:
	s_sub_i32 s14, s2, s4
	v_cmp_gt_u32_e32 vcc, s14, v0
                                        ; implicit-def: $vgpr2_vgpr3_vgpr4_vgpr5
	s_and_saveexec_b64 s[0:1], vcc
	s_cbranch_execz .LBB61_5
; %bb.4:
	global_load_ushort v2, v[6:7], off
.LBB61_5:
	s_or_b64 exec, exec, s[0:1]
	s_waitcnt vmcnt(7)
	v_or_b32_e32 v1, 64, v0
	v_cmp_gt_u32_e64 s[0:1], s14, v1
	s_and_saveexec_b64 s[2:3], s[0:1]
	s_cbranch_execz .LBB61_7
; %bb.6:
	global_load_ushort v1, v[6:7], off offset:128
	s_mov_b32 s4, 0x5040100
	s_waitcnt vmcnt(0)
	v_perm_b32 v2, v1, v2, s4
.LBB61_7:
	s_or_b64 exec, exec, s[2:3]
	v_or_b32_e32 v1, 0x80, v0
	v_cmp_gt_u32_e64 s[2:3], s14, v1
	s_and_saveexec_b64 s[4:5], s[2:3]
	s_cbranch_execz .LBB61_9
; %bb.8:
	global_load_ushort v1, v[6:7], off offset:256
	s_mov_b32 s6, 0xffff
	s_waitcnt vmcnt(0)
	v_bfi_b32 v3, s6, v1, v3
.LBB61_9:
	s_or_b64 exec, exec, s[4:5]
	v_or_b32_e32 v1, 0xc0, v0
	v_cmp_gt_u32_e64 s[4:5], s14, v1
	s_and_saveexec_b64 s[6:7], s[4:5]
	s_cbranch_execz .LBB61_11
; %bb.10:
	global_load_ushort v1, v[6:7], off offset:384
	s_mov_b32 s8, 0x5040100
	s_waitcnt vmcnt(0)
	v_perm_b32 v3, v1, v3, s8
.LBB61_11:
	s_or_b64 exec, exec, s[6:7]
	v_or_b32_e32 v1, 0x100, v0
	v_cmp_gt_u32_e64 s[6:7], s14, v1
	s_and_saveexec_b64 s[8:9], s[6:7]
	s_cbranch_execz .LBB61_13
; %bb.12:
	global_load_ushort v1, v[6:7], off offset:512
	s_mov_b32 s10, 0xffff
	s_waitcnt vmcnt(0)
	v_bfi_b32 v4, s10, v1, v4
.LBB61_13:
	s_or_b64 exec, exec, s[8:9]
	;; [unrolled: 22-line block ×3, first 2 shown]
	v_or_b32_e32 v0, 0x1c0, v0
	v_cmp_gt_u32_e64 s[12:13], s14, v0
	s_and_saveexec_b64 s[14:15], s[12:13]
	s_cbranch_execz .LBB61_19
; %bb.18:
	global_load_ushort v0, v[6:7], off offset:896
	s_mov_b32 s22, 0x5040100
	s_waitcnt vmcnt(0)
	v_perm_b32 v5, v0, v5, s22
.LBB61_19:
	s_or_b64 exec, exec, s[14:15]
	s_add_u32 s14, s16, s18
	s_addc_u32 s15, s17, s19
	v_mov_b32_e32 v1, s15
	v_add_co_u32_e64 v0, s[14:15], s14, v8
	v_addc_co_u32_e64 v1, s[14:15], 0, v1, s[14:15]
	s_and_saveexec_b64 s[14:15], vcc
	s_cbranch_execnz .LBB61_35
; %bb.20:
	s_or_b64 exec, exec, s[14:15]
	s_and_saveexec_b64 s[14:15], s[0:1]
	s_cbranch_execnz .LBB61_36
.LBB61_21:
	s_or_b64 exec, exec, s[14:15]
	s_mov_b32 s14, 0xffff
	s_and_saveexec_b64 s[0:1], s[2:3]
	s_cbranch_execz .LBB61_23
.LBB61_22:
	global_store_short v[0:1], v3, off offset:256
.LBB61_23:
	s_or_b64 exec, exec, s[0:1]
	s_waitcnt vmcnt(0)
	v_bfi_b32 v2, s14, v3, v3
	v_cndmask_b32_e64 v2, v2, v3, s[4:5]
	s_and_saveexec_b64 s[0:1], s[4:5]
	s_cbranch_execz .LBB61_25
; %bb.24:
	global_store_short_d16_hi v[0:1], v2, off offset:384
.LBB61_25:
	s_or_b64 exec, exec, s[0:1]
	s_mov_b32 s2, 0xffff
	v_cndmask_b32_e64 v2, v4, v4, s[6:7]
	s_and_saveexec_b64 s[0:1], s[6:7]
	s_cbranch_execz .LBB61_27
; %bb.26:
	global_store_short v[0:1], v2, off offset:512
.LBB61_27:
	s_or_b64 exec, exec, s[0:1]
	v_bfi_b32 v2, s2, v2, v4
	v_cndmask_b32_e64 v2, v2, v4, s[8:9]
	s_and_saveexec_b64 s[0:1], s[8:9]
	s_cbranch_execnz .LBB61_37
; %bb.28:
	s_or_b64 exec, exec, s[0:1]
	s_and_saveexec_b64 s[0:1], s[10:11]
	s_cbranch_execnz .LBB61_38
.LBB61_29:
	s_or_b64 exec, exec, s[0:1]
                                        ; implicit-def: $vgpr1
	s_and_saveexec_b64 s[0:1], s[12:13]
.LBB61_30:
	v_cndmask_b32_e64 v0, v5, v5, s[12:13]
	v_lshrrev_b32_e32 v1, 16, v0
	s_or_b64 s[20:21], s[20:21], exec
.LBB61_31:
	s_or_b64 exec, exec, s[0:1]
.LBB61_32:
	s_and_saveexec_b64 s[0:1], s[20:21]
	s_cbranch_execnz .LBB61_34
; %bb.33:
	s_endpgm
.LBB61_34:
	s_add_u32 s0, s16, s18
	s_addc_u32 s1, s17, s19
	s_waitcnt vmcnt(7)
	global_store_short v8, v1, s[0:1] offset:896
	s_endpgm
.LBB61_35:
	s_waitcnt vmcnt(0)
	global_store_short v[0:1], v2, off
	s_or_b64 exec, exec, s[14:15]
	s_and_saveexec_b64 s[14:15], s[0:1]
	s_cbranch_execz .LBB61_21
.LBB61_36:
	s_waitcnt vmcnt(0)
	global_store_short_d16_hi v[0:1], v2, off offset:128
	s_or_b64 exec, exec, s[14:15]
	s_mov_b32 s14, 0xffff
	s_and_saveexec_b64 s[0:1], s[2:3]
	s_cbranch_execnz .LBB61_22
	s_branch .LBB61_23
.LBB61_37:
	global_store_short_d16_hi v[0:1], v2, off offset:640
	s_or_b64 exec, exec, s[0:1]
	s_and_saveexec_b64 s[0:1], s[10:11]
	s_cbranch_execz .LBB61_29
.LBB61_38:
	v_cndmask_b32_e64 v2, v5, v5, s[10:11]
	global_store_short v[0:1], v2, off offset:768
	s_or_b64 exec, exec, s[0:1]
                                        ; implicit-def: $vgpr1
	s_and_saveexec_b64 s[0:1], s[12:13]
	s_cbranch_execnz .LBB61_30
	s_branch .LBB61_31
	.section	.rodata,"a",@progbits
	.p2align	6, 0x0
	.amdhsa_kernel _ZN7rocprim17ROCPRIM_304000_NS6detail16transform_kernelINS1_24wrapped_transform_configINS0_14default_configEsEEsPKsPsNS0_8identityIsEEEEvT1_mT2_T3_
		.amdhsa_group_segment_fixed_size 0
		.amdhsa_private_segment_fixed_size 0
		.amdhsa_kernarg_size 288
		.amdhsa_user_sgpr_count 6
		.amdhsa_user_sgpr_private_segment_buffer 1
		.amdhsa_user_sgpr_dispatch_ptr 0
		.amdhsa_user_sgpr_queue_ptr 0
		.amdhsa_user_sgpr_kernarg_segment_ptr 1
		.amdhsa_user_sgpr_dispatch_id 0
		.amdhsa_user_sgpr_flat_scratch_init 0
		.amdhsa_user_sgpr_kernarg_preload_length 0
		.amdhsa_user_sgpr_kernarg_preload_offset 0
		.amdhsa_user_sgpr_private_segment_size 0
		.amdhsa_uses_dynamic_stack 0
		.amdhsa_system_sgpr_private_segment_wavefront_offset 0
		.amdhsa_system_sgpr_workgroup_id_x 1
		.amdhsa_system_sgpr_workgroup_id_y 0
		.amdhsa_system_sgpr_workgroup_id_z 0
		.amdhsa_system_sgpr_workgroup_info 0
		.amdhsa_system_vgpr_workitem_id 0
		.amdhsa_next_free_vgpr 12
		.amdhsa_next_free_sgpr 23
		.amdhsa_accum_offset 12
		.amdhsa_reserve_vcc 1
		.amdhsa_reserve_flat_scratch 0
		.amdhsa_float_round_mode_32 0
		.amdhsa_float_round_mode_16_64 0
		.amdhsa_float_denorm_mode_32 3
		.amdhsa_float_denorm_mode_16_64 3
		.amdhsa_dx10_clamp 1
		.amdhsa_ieee_mode 1
		.amdhsa_fp16_overflow 0
		.amdhsa_tg_split 0
		.amdhsa_exception_fp_ieee_invalid_op 0
		.amdhsa_exception_fp_denorm_src 0
		.amdhsa_exception_fp_ieee_div_zero 0
		.amdhsa_exception_fp_ieee_overflow 0
		.amdhsa_exception_fp_ieee_underflow 0
		.amdhsa_exception_fp_ieee_inexact 0
		.amdhsa_exception_int_div_zero 0
	.end_amdhsa_kernel
	.section	.text._ZN7rocprim17ROCPRIM_304000_NS6detail16transform_kernelINS1_24wrapped_transform_configINS0_14default_configEsEEsPKsPsNS0_8identityIsEEEEvT1_mT2_T3_,"axG",@progbits,_ZN7rocprim17ROCPRIM_304000_NS6detail16transform_kernelINS1_24wrapped_transform_configINS0_14default_configEsEEsPKsPsNS0_8identityIsEEEEvT1_mT2_T3_,comdat
.Lfunc_end61:
	.size	_ZN7rocprim17ROCPRIM_304000_NS6detail16transform_kernelINS1_24wrapped_transform_configINS0_14default_configEsEEsPKsPsNS0_8identityIsEEEEvT1_mT2_T3_, .Lfunc_end61-_ZN7rocprim17ROCPRIM_304000_NS6detail16transform_kernelINS1_24wrapped_transform_configINS0_14default_configEsEEsPKsPsNS0_8identityIsEEEEvT1_mT2_T3_
                                        ; -- End function
	.section	.AMDGPU.csdata,"",@progbits
; Kernel info:
; codeLenInByte = 1036
; NumSgprs: 27
; NumVgprs: 12
; NumAgprs: 0
; TotalNumVgprs: 12
; ScratchSize: 0
; MemoryBound: 0
; FloatMode: 240
; IeeeMode: 1
; LDSByteSize: 0 bytes/workgroup (compile time only)
; SGPRBlocks: 3
; VGPRBlocks: 1
; NumSGPRsForWavesPerEU: 27
; NumVGPRsForWavesPerEU: 12
; AccumOffset: 12
; Occupancy: 8
; WaveLimiterHint : 1
; COMPUTE_PGM_RSRC2:SCRATCH_EN: 0
; COMPUTE_PGM_RSRC2:USER_SGPR: 6
; COMPUTE_PGM_RSRC2:TRAP_HANDLER: 0
; COMPUTE_PGM_RSRC2:TGID_X_EN: 1
; COMPUTE_PGM_RSRC2:TGID_Y_EN: 0
; COMPUTE_PGM_RSRC2:TGID_Z_EN: 0
; COMPUTE_PGM_RSRC2:TIDIG_COMP_CNT: 0
; COMPUTE_PGM_RSRC3_GFX90A:ACCUM_OFFSET: 2
; COMPUTE_PGM_RSRC3_GFX90A:TG_SPLIT: 0
	.section	.text._ZN7rocprim17ROCPRIM_304000_NS6detail25onesweep_iteration_kernelINS1_34wrapped_radix_sort_onesweep_configINS0_14default_configEsN2at4cuda3cub6detail10OpaqueTypeILi8EEEEELb1EPKsPsPKSA_PSA_mNS0_19identity_decomposerEEEvT1_T2_T3_T4_jPT5_SO_PNS1_23onesweep_lookback_stateET6_jjj,"axG",@progbits,_ZN7rocprim17ROCPRIM_304000_NS6detail25onesweep_iteration_kernelINS1_34wrapped_radix_sort_onesweep_configINS0_14default_configEsN2at4cuda3cub6detail10OpaqueTypeILi8EEEEELb1EPKsPsPKSA_PSA_mNS0_19identity_decomposerEEEvT1_T2_T3_T4_jPT5_SO_PNS1_23onesweep_lookback_stateET6_jjj,comdat
	.protected	_ZN7rocprim17ROCPRIM_304000_NS6detail25onesweep_iteration_kernelINS1_34wrapped_radix_sort_onesweep_configINS0_14default_configEsN2at4cuda3cub6detail10OpaqueTypeILi8EEEEELb1EPKsPsPKSA_PSA_mNS0_19identity_decomposerEEEvT1_T2_T3_T4_jPT5_SO_PNS1_23onesweep_lookback_stateET6_jjj ; -- Begin function _ZN7rocprim17ROCPRIM_304000_NS6detail25onesweep_iteration_kernelINS1_34wrapped_radix_sort_onesweep_configINS0_14default_configEsN2at4cuda3cub6detail10OpaqueTypeILi8EEEEELb1EPKsPsPKSA_PSA_mNS0_19identity_decomposerEEEvT1_T2_T3_T4_jPT5_SO_PNS1_23onesweep_lookback_stateET6_jjj
	.globl	_ZN7rocprim17ROCPRIM_304000_NS6detail25onesweep_iteration_kernelINS1_34wrapped_radix_sort_onesweep_configINS0_14default_configEsN2at4cuda3cub6detail10OpaqueTypeILi8EEEEELb1EPKsPsPKSA_PSA_mNS0_19identity_decomposerEEEvT1_T2_T3_T4_jPT5_SO_PNS1_23onesweep_lookback_stateET6_jjj
	.p2align	8
	.type	_ZN7rocprim17ROCPRIM_304000_NS6detail25onesweep_iteration_kernelINS1_34wrapped_radix_sort_onesweep_configINS0_14default_configEsN2at4cuda3cub6detail10OpaqueTypeILi8EEEEELb1EPKsPsPKSA_PSA_mNS0_19identity_decomposerEEEvT1_T2_T3_T4_jPT5_SO_PNS1_23onesweep_lookback_stateET6_jjj,@function
_ZN7rocprim17ROCPRIM_304000_NS6detail25onesweep_iteration_kernelINS1_34wrapped_radix_sort_onesweep_configINS0_14default_configEsN2at4cuda3cub6detail10OpaqueTypeILi8EEEEELb1EPKsPsPKSA_PSA_mNS0_19identity_decomposerEEEvT1_T2_T3_T4_jPT5_SO_PNS1_23onesweep_lookback_stateET6_jjj: ; @_ZN7rocprim17ROCPRIM_304000_NS6detail25onesweep_iteration_kernelINS1_34wrapped_radix_sort_onesweep_configINS0_14default_configEsN2at4cuda3cub6detail10OpaqueTypeILi8EEEEELb1EPKsPsPKSA_PSA_mNS0_19identity_decomposerEEEvT1_T2_T3_T4_jPT5_SO_PNS1_23onesweep_lookback_stateET6_jjj
; %bb.0:
	s_load_dwordx4 s[48:51], s[4:5], 0x44
	s_load_dwordx8 s[36:43], s[4:5], 0x0
	s_load_dwordx4 s[44:47], s[4:5], 0x28
	s_load_dwordx2 s[34:35], s[4:5], 0x38
	s_mul_i32 s30, s6, 0x1800
	s_waitcnt lgkmcnt(0)
	s_cmp_ge_u32 s6, s50
	v_mbcnt_lo_u32_b32 v1, -1, 0
	s_cbranch_scc0 .LBB62_86
; %bb.1:
	s_load_dword s2, s[4:5], 0x20
	s_mulk_i32 s50, 0xe800
	s_mov_b32 s31, 0
	v_and_b32_e32 v6, 0x3ff, v0
	s_lshl_b64 s[0:1], s[30:31], 1
	s_waitcnt lgkmcnt(0)
	s_add_i32 s50, s50, s2
	s_add_u32 s0, s36, s0
	v_mbcnt_hi_u32_b32 v12, -1, v1
	v_and_b32_e32 v2, 0x3c0, v6
	s_addc_u32 s1, s37, s1
	v_mul_u32_u24_e32 v7, 6, v2
	v_lshlrev_b32_e32 v2, 1, v12
	v_mov_b32_e32 v3, s1
	v_add_co_u32_e32 v2, vcc, s0, v2
	v_addc_co_u32_e32 v3, vcc, 0, v3, vcc
	v_lshlrev_b32_e32 v4, 1, v7
	s_mov_b32 s0, 0x80008000
	v_add_co_u32_e32 v8, vcc, v2, v4
	s_mov_b32 s2, s0
	v_addc_co_u32_e32 v9, vcc, 0, v3, vcc
	v_or_b32_e32 v10, v12, v7
	s_mov_b32 s1, s0
	v_pk_mov_b32 v[4:5], s[2:3], s[2:3] op_sel:[0,1]
	v_cmp_gt_u32_e32 vcc, s50, v10
	v_pk_mov_b32 v[2:3], s[0:1], s[0:1] op_sel:[0,1]
	s_and_saveexec_b64 s[0:1], vcc
	s_cbranch_execz .LBB62_3
; %bb.2:
	global_load_ushort v2, v[8:9], off
	s_movk_i32 s2, 0x8000
	v_mov_b32_e32 v4, 0x5040100
	v_mov_b32_e32 v3, 0x80008000
	s_waitcnt vmcnt(0)
	v_perm_b32 v2, s2, v2, v4
	v_mov_b32_e32 v4, v3
.LBB62_3:
	s_or_b64 exec, exec, s[0:1]
	v_add_u32_e32 v5, 64, v10
	v_cmp_gt_u32_e64 s[0:1], s50, v5
	s_and_saveexec_b64 s[2:3], s[0:1]
	s_cbranch_execz .LBB62_5
; %bb.4:
	global_load_ushort v5, v[8:9], off offset:128
	s_mov_b32 s7, 0x5040100
	s_waitcnt vmcnt(0)
	v_perm_b32 v2, v5, v2, s7
.LBB62_5:
	s_or_b64 exec, exec, s[2:3]
	v_add_u32_e32 v5, 0x80, v10
	v_cmp_gt_u32_e64 s[2:3], s50, v5
	s_and_saveexec_b64 s[8:9], s[2:3]
	s_cbranch_execz .LBB62_7
; %bb.6:
	global_load_ushort v5, v[8:9], off offset:256
	s_mov_b32 s7, 0xffff
	s_waitcnt vmcnt(0)
	v_bfi_b32 v3, s7, v5, v3
.LBB62_7:
	s_or_b64 exec, exec, s[8:9]
	v_add_u32_e32 v5, 0xc0, v10
	v_cmp_gt_u32_e64 s[26:27], s50, v5
	s_and_saveexec_b64 s[8:9], s[26:27]
	s_cbranch_execz .LBB62_9
; %bb.8:
	global_load_ushort v5, v[8:9], off offset:384
	s_mov_b32 s7, 0x5040100
	s_waitcnt vmcnt(0)
	v_perm_b32 v3, v5, v3, s7
.LBB62_9:
	s_or_b64 exec, exec, s[8:9]
	v_add_u32_e32 v5, 0x100, v10
	v_cmp_gt_u32_e64 s[8:9], s50, v5
	s_and_saveexec_b64 s[10:11], s[8:9]
	s_cbranch_execz .LBB62_11
; %bb.10:
	global_load_ushort v5, v[8:9], off offset:512
	s_mov_b32 s7, 0xffff
	s_waitcnt vmcnt(0)
	v_bfi_b32 v4, s7, v5, v4
.LBB62_11:
	s_or_b64 exec, exec, s[10:11]
	v_add_u32_e32 v5, 0x140, v10
	v_cmp_gt_u32_e64 s[10:11], s50, v5
	s_and_saveexec_b64 s[12:13], s[10:11]
	s_cbranch_execz .LBB62_13
; %bb.12:
	global_load_ushort v5, v[8:9], off offset:640
	s_mov_b32 s7, 0x5040100
	s_waitcnt vmcnt(0)
	v_perm_b32 v4, v5, v4, s7
.LBB62_13:
	s_or_b64 exec, exec, s[12:13]
	s_load_dword s12, s[4:5], 0x5c
	s_load_dword s7, s[4:5], 0x50
	s_add_u32 s13, s4, 0x50
	s_addc_u32 s14, s5, 0
	v_mov_b32_e32 v8, 0
	s_waitcnt lgkmcnt(0)
	s_lshr_b32 s15, s12, 16
	s_cmp_lt_u32 s6, s7
	s_cselect_b32 s12, 12, 18
	s_add_u32 s12, s13, s12
	s_addc_u32 s13, s14, 0
	global_load_ushort v5, v8, s[12:13]
	v_xor_b32_e32 v13, 0x7fff, v2
	v_mul_u32_u24_e32 v11, 5, v6
	s_lshl_b32 s12, -1, s49
	v_lshlrev_b32_e32 v14, 2, v11
	v_lshrrev_b32_sdwa v11, s48, v13 dst_sel:DWORD dst_unused:UNUSED_PAD src0_sel:DWORD src1_sel:WORD_0
	s_not_b32 s33, s12
	v_and_b32_e32 v11, s33, v11
	v_and_b32_e32 v16, 1, v11
	v_bfe_u32 v9, v0, 10, 10
	v_bfe_u32 v10, v0, 20, 10
	v_add_co_u32_e64 v17, s[12:13], -1, v16
	v_mad_u32_u24 v10, v10, s15, v9
	v_lshlrev_b32_e32 v9, 30, v11
	v_addc_co_u32_e64 v18, s[12:13], 0, -1, s[12:13]
	v_cmp_ne_u32_e64 s[12:13], 0, v16
	v_cmp_gt_i64_e64 s[14:15], 0, v[8:9]
	v_not_b32_e32 v16, v9
	v_lshlrev_b32_e32 v9, 29, v11
	v_xor_b32_e32 v18, s13, v18
	v_xor_b32_e32 v17, s12, v17
	v_ashrrev_i32_e32 v16, 31, v16
	v_cmp_gt_i64_e64 s[12:13], 0, v[8:9]
	v_not_b32_e32 v19, v9
	v_lshlrev_b32_e32 v9, 28, v11
	v_and_b32_e32 v18, exec_hi, v18
	v_and_b32_e32 v17, exec_lo, v17
	v_xor_b32_e32 v20, s15, v16
	v_xor_b32_e32 v16, s14, v16
	v_ashrrev_i32_e32 v19, 31, v19
	v_cmp_gt_i64_e64 s[14:15], 0, v[8:9]
	v_not_b32_e32 v21, v9
	v_lshlrev_b32_e32 v9, 27, v11
	v_and_b32_e32 v18, v18, v20
	v_and_b32_e32 v16, v17, v16
	v_xor_b32_e32 v17, s13, v19
	v_xor_b32_e32 v19, s12, v19
	v_ashrrev_i32_e32 v20, 31, v21
	v_cmp_gt_i64_e64 s[12:13], 0, v[8:9]
	v_not_b32_e32 v21, v9
	v_lshlrev_b32_e32 v9, 26, v11
	v_and_b32_e32 v17, v18, v17
	v_and_b32_e32 v16, v16, v19
	;; [unrolled: 8-line block ×3, first 2 shown]
	v_xor_b32_e32 v18, s13, v20
	v_xor_b32_e32 v19, s12, v20
	v_ashrrev_i32_e32 v20, 31, v21
	v_not_b32_e32 v21, v9
	v_mul_u32_u24_e32 v15, 17, v11
	v_cmp_gt_i64_e64 s[12:13], 0, v[8:9]
	v_lshlrev_b32_e32 v9, 24, v11
	v_and_b32_e32 v11, v17, v18
	v_and_b32_e32 v16, v16, v19
	v_xor_b32_e32 v17, s15, v20
	v_ashrrev_i32_e32 v19, 31, v21
	v_xor_b32_e32 v18, s14, v20
	v_cmp_gt_i64_e64 s[14:15], 0, v[8:9]
	v_and_b32_e32 v11, v11, v17
	v_xor_b32_e32 v17, s13, v19
	v_not_b32_e32 v9, v9
	v_and_b32_e32 v16, v16, v18
	v_xor_b32_e32 v18, s12, v19
	v_and_b32_e32 v17, v11, v17
	v_ashrrev_i32_e32 v9, 31, v9
	v_and_b32_e32 v16, v16, v18
	s_movk_i32 s16, 0x7fff
	ds_write2_b32 v14, v8, v8 offset0:16 offset1:17
	ds_write2_b32 v14, v8, v8 offset0:18 offset1:19
	ds_write_b32 v14, v8 offset:80
	s_waitcnt lgkmcnt(0)
	s_barrier
	s_waitcnt vmcnt(0)
	v_mad_u64_u32 v[10:11], s[12:13], v10, v5, v[6:7]
	v_lshrrev_b32_e32 v5, 6, v10
	v_xor_b32_e32 v10, s15, v9
	v_xor_b32_e32 v9, s14, v9
	v_and_b32_e32 v11, v17, v10
	v_and_b32_e32 v10, v16, v9
	v_mbcnt_lo_u32_b32 v9, v10, 0
	v_add_lshl_u32 v18, v5, v15, 2
	v_mbcnt_hi_u32_b32 v15, v11, v9
	v_cmp_eq_u32_e64 s[12:13], 0, v15
	v_cmp_ne_u64_e64 s[14:15], 0, v[10:11]
	s_and_b64 s[14:15], s[14:15], s[12:13]
	; wave barrier
	s_and_saveexec_b64 s[12:13], s[14:15]
	s_cbranch_execz .LBB62_15
; %bb.14:
	v_bcnt_u32_b32 v9, v10, 0
	v_bcnt_u32_b32 v9, v11, v9
	ds_write_b32 v18, v9 offset:64
.LBB62_15:
	s_or_b64 exec, exec, s[12:13]
	v_xor_b32_sdwa v16, v2, s16 dst_sel:DWORD dst_unused:UNUSED_PAD src0_sel:WORD_1 src1_sel:DWORD
	v_lshrrev_b32_sdwa v2, s48, v16 dst_sel:DWORD dst_unused:UNUSED_PAD src0_sel:DWORD src1_sel:WORD_0
	v_and_b32_e32 v2, s33, v2
	v_mul_u32_u24_e32 v9, 17, v2
	v_add_lshl_u32 v19, v5, v9, 2
	v_and_b32_e32 v9, 1, v2
	v_add_co_u32_e64 v10, s[12:13], -1, v9
	v_addc_co_u32_e64 v11, s[12:13], 0, -1, s[12:13]
	v_cmp_ne_u32_e64 s[12:13], 0, v9
	v_xor_b32_e32 v9, s13, v11
	v_and_b32_e32 v11, exec_hi, v9
	v_lshlrev_b32_e32 v9, 30, v2
	v_xor_b32_e32 v10, s12, v10
	v_cmp_gt_i64_e64 s[12:13], 0, v[8:9]
	v_not_b32_e32 v9, v9
	v_ashrrev_i32_e32 v9, 31, v9
	v_and_b32_e32 v10, exec_lo, v10
	v_xor_b32_e32 v20, s13, v9
	v_xor_b32_e32 v9, s12, v9
	v_and_b32_e32 v10, v10, v9
	v_lshlrev_b32_e32 v9, 29, v2
	v_cmp_gt_i64_e64 s[12:13], 0, v[8:9]
	v_not_b32_e32 v9, v9
	v_ashrrev_i32_e32 v9, 31, v9
	v_and_b32_e32 v11, v11, v20
	v_xor_b32_e32 v20, s13, v9
	v_xor_b32_e32 v9, s12, v9
	v_and_b32_e32 v10, v10, v9
	v_lshlrev_b32_e32 v9, 28, v2
	v_cmp_gt_i64_e64 s[12:13], 0, v[8:9]
	v_not_b32_e32 v9, v9
	v_ashrrev_i32_e32 v9, 31, v9
	v_and_b32_e32 v11, v11, v20
	;; [unrolled: 8-line block ×5, first 2 shown]
	v_xor_b32_e32 v20, s13, v9
	v_xor_b32_e32 v9, s12, v9
	v_and_b32_e32 v10, v10, v9
	v_lshlrev_b32_e32 v9, 24, v2
	v_not_b32_e32 v2, v9
	v_cmp_gt_i64_e64 s[12:13], 0, v[8:9]
	v_ashrrev_i32_e32 v2, 31, v2
	v_and_b32_e32 v11, v11, v20
	v_xor_b32_e32 v8, s13, v2
	v_xor_b32_e32 v2, s12, v2
	; wave barrier
	ds_read_b32 v17, v19 offset:64
	v_and_b32_e32 v9, v11, v8
	v_and_b32_e32 v8, v10, v2
	v_mbcnt_lo_u32_b32 v2, v8, 0
	v_mbcnt_hi_u32_b32 v21, v9, v2
	v_cmp_eq_u32_e64 s[12:13], 0, v21
	v_cmp_ne_u64_e64 s[14:15], 0, v[8:9]
	s_and_b64 s[14:15], s[14:15], s[12:13]
	; wave barrier
	s_and_saveexec_b64 s[12:13], s[14:15]
	s_cbranch_execz .LBB62_17
; %bb.16:
	v_bcnt_u32_b32 v2, v8, 0
	v_bcnt_u32_b32 v2, v9, v2
	s_waitcnt lgkmcnt(0)
	v_add_u32_e32 v2, v17, v2
	ds_write_b32 v19, v2 offset:64
.LBB62_17:
	s_or_b64 exec, exec, s[12:13]
	v_xor_b32_e32 v22, 0x7fff, v3
	v_lshrrev_b32_sdwa v2, s48, v22 dst_sel:DWORD dst_unused:UNUSED_PAD src0_sel:DWORD src1_sel:WORD_0
	v_and_b32_e32 v2, s33, v2
	v_and_b32_e32 v9, 1, v2
	v_add_co_u32_e64 v10, s[12:13], -1, v9
	v_addc_co_u32_e64 v11, s[12:13], 0, -1, s[12:13]
	v_cmp_ne_u32_e64 s[12:13], 0, v9
	v_mul_u32_u24_e32 v8, 17, v2
	v_xor_b32_e32 v9, s13, v11
	v_add_lshl_u32 v20, v5, v8, 2
	v_mov_b32_e32 v8, 0
	v_and_b32_e32 v11, exec_hi, v9
	v_lshlrev_b32_e32 v9, 30, v2
	v_xor_b32_e32 v10, s12, v10
	v_cmp_gt_i64_e64 s[12:13], 0, v[8:9]
	v_not_b32_e32 v9, v9
	v_ashrrev_i32_e32 v9, 31, v9
	v_and_b32_e32 v10, exec_lo, v10
	v_xor_b32_e32 v24, s13, v9
	v_xor_b32_e32 v9, s12, v9
	v_and_b32_e32 v10, v10, v9
	v_lshlrev_b32_e32 v9, 29, v2
	v_cmp_gt_i64_e64 s[12:13], 0, v[8:9]
	v_not_b32_e32 v9, v9
	v_ashrrev_i32_e32 v9, 31, v9
	v_and_b32_e32 v11, v11, v24
	v_xor_b32_e32 v24, s13, v9
	v_xor_b32_e32 v9, s12, v9
	v_and_b32_e32 v10, v10, v9
	v_lshlrev_b32_e32 v9, 28, v2
	v_cmp_gt_i64_e64 s[12:13], 0, v[8:9]
	v_not_b32_e32 v9, v9
	v_ashrrev_i32_e32 v9, 31, v9
	v_and_b32_e32 v11, v11, v24
	;; [unrolled: 8-line block ×5, first 2 shown]
	v_xor_b32_e32 v24, s13, v9
	v_xor_b32_e32 v9, s12, v9
	v_and_b32_e32 v10, v10, v9
	v_lshlrev_b32_e32 v9, 24, v2
	v_not_b32_e32 v2, v9
	v_cmp_gt_i64_e64 s[12:13], 0, v[8:9]
	v_ashrrev_i32_e32 v2, 31, v2
	v_xor_b32_e32 v9, s13, v2
	v_xor_b32_e32 v2, s12, v2
	; wave barrier
	ds_read_b32 v23, v20 offset:64
	v_and_b32_e32 v11, v11, v24
	v_and_b32_e32 v10, v10, v2
	;; [unrolled: 1-line block ×3, first 2 shown]
	v_mbcnt_lo_u32_b32 v2, v10, 0
	v_mbcnt_hi_u32_b32 v24, v11, v2
	v_cmp_eq_u32_e64 s[12:13], 0, v24
	v_cmp_ne_u64_e64 s[14:15], 0, v[10:11]
	s_and_b64 s[14:15], s[14:15], s[12:13]
	; wave barrier
	s_and_saveexec_b64 s[12:13], s[14:15]
	s_cbranch_execz .LBB62_19
; %bb.18:
	v_bcnt_u32_b32 v2, v10, 0
	v_bcnt_u32_b32 v2, v11, v2
	s_waitcnt lgkmcnt(0)
	v_add_u32_e32 v2, v23, v2
	ds_write_b32 v20, v2 offset:64
.LBB62_19:
	s_or_b64 exec, exec, s[12:13]
	v_xor_b32_sdwa v10, v3, s16 dst_sel:DWORD dst_unused:UNUSED_PAD src0_sel:WORD_1 src1_sel:DWORD
	v_lshrrev_b32_sdwa v2, s48, v10 dst_sel:DWORD dst_unused:UNUSED_PAD src0_sel:DWORD src1_sel:WORD_0
	v_and_b32_e32 v2, s33, v2
	v_mul_u32_u24_e32 v3, 17, v2
	v_add_lshl_u32 v25, v5, v3, 2
	v_and_b32_e32 v3, 1, v2
	v_add_co_u32_e64 v9, s[12:13], -1, v3
	v_addc_co_u32_e64 v26, s[12:13], 0, -1, s[12:13]
	v_cmp_ne_u32_e64 s[12:13], 0, v3
	v_xor_b32_e32 v9, s12, v9
	v_xor_b32_e32 v3, s13, v26
	v_and_b32_e32 v26, exec_lo, v9
	v_lshlrev_b32_e32 v9, 30, v2
	v_cmp_gt_i64_e64 s[12:13], 0, v[8:9]
	v_not_b32_e32 v9, v9
	v_ashrrev_i32_e32 v9, 31, v9
	v_xor_b32_e32 v27, s13, v9
	v_xor_b32_e32 v9, s12, v9
	v_and_b32_e32 v26, v26, v9
	v_lshlrev_b32_e32 v9, 29, v2
	v_cmp_gt_i64_e64 s[12:13], 0, v[8:9]
	v_not_b32_e32 v9, v9
	v_and_b32_e32 v3, exec_hi, v3
	v_ashrrev_i32_e32 v9, 31, v9
	v_and_b32_e32 v3, v3, v27
	v_xor_b32_e32 v27, s13, v9
	v_xor_b32_e32 v9, s12, v9
	v_and_b32_e32 v26, v26, v9
	v_lshlrev_b32_e32 v9, 28, v2
	v_cmp_gt_i64_e64 s[12:13], 0, v[8:9]
	v_not_b32_e32 v9, v9
	v_ashrrev_i32_e32 v9, 31, v9
	v_and_b32_e32 v3, v3, v27
	v_xor_b32_e32 v27, s13, v9
	v_xor_b32_e32 v9, s12, v9
	v_and_b32_e32 v26, v26, v9
	v_lshlrev_b32_e32 v9, 27, v2
	v_cmp_gt_i64_e64 s[12:13], 0, v[8:9]
	v_not_b32_e32 v9, v9
	;; [unrolled: 8-line block ×4, first 2 shown]
	v_ashrrev_i32_e32 v9, 31, v9
	v_and_b32_e32 v3, v3, v27
	v_xor_b32_e32 v27, s13, v9
	v_xor_b32_e32 v9, s12, v9
	v_and_b32_e32 v26, v26, v9
	v_lshlrev_b32_e32 v9, 24, v2
	v_not_b32_e32 v2, v9
	v_cmp_gt_i64_e64 s[12:13], 0, v[8:9]
	v_ashrrev_i32_e32 v2, 31, v2
	v_xor_b32_e32 v8, s13, v2
	v_xor_b32_e32 v2, s12, v2
	; wave barrier
	ds_read_b32 v11, v25 offset:64
	v_and_b32_e32 v3, v3, v27
	v_and_b32_e32 v2, v26, v2
	;; [unrolled: 1-line block ×3, first 2 shown]
	v_mbcnt_lo_u32_b32 v8, v2, 0
	v_mbcnt_hi_u32_b32 v28, v3, v8
	v_cmp_eq_u32_e64 s[12:13], 0, v28
	v_cmp_ne_u64_e64 s[14:15], 0, v[2:3]
	s_and_b64 s[14:15], s[14:15], s[12:13]
	; wave barrier
	s_and_saveexec_b64 s[12:13], s[14:15]
	s_cbranch_execz .LBB62_21
; %bb.20:
	v_bcnt_u32_b32 v2, v2, 0
	v_bcnt_u32_b32 v2, v3, v2
	s_waitcnt lgkmcnt(0)
	v_add_u32_e32 v2, v11, v2
	ds_write_b32 v25, v2 offset:64
.LBB62_21:
	s_or_b64 exec, exec, s[12:13]
	v_xor_b32_e32 v29, 0x7fff, v4
	v_lshrrev_b32_sdwa v2, s48, v29 dst_sel:DWORD dst_unused:UNUSED_PAD src0_sel:DWORD src1_sel:WORD_0
	v_and_b32_e32 v8, s33, v2
	v_and_b32_e32 v3, 1, v8
	v_add_co_u32_e64 v9, s[12:13], -1, v3
	v_addc_co_u32_e64 v27, s[12:13], 0, -1, s[12:13]
	v_cmp_ne_u32_e64 s[12:13], 0, v3
	v_mul_u32_u24_e32 v2, 17, v8
	v_xor_b32_e32 v3, s13, v27
	v_add_lshl_u32 v26, v5, v2, 2
	v_mov_b32_e32 v2, 0
	v_and_b32_e32 v27, exec_hi, v3
	v_lshlrev_b32_e32 v3, 30, v8
	v_xor_b32_e32 v9, s12, v9
	v_cmp_gt_i64_e64 s[12:13], 0, v[2:3]
	v_not_b32_e32 v3, v3
	v_ashrrev_i32_e32 v3, 31, v3
	v_and_b32_e32 v9, exec_lo, v9
	v_xor_b32_e32 v31, s13, v3
	v_xor_b32_e32 v3, s12, v3
	v_and_b32_e32 v9, v9, v3
	v_lshlrev_b32_e32 v3, 29, v8
	v_cmp_gt_i64_e64 s[12:13], 0, v[2:3]
	v_not_b32_e32 v3, v3
	v_ashrrev_i32_e32 v3, 31, v3
	v_and_b32_e32 v27, v27, v31
	v_xor_b32_e32 v31, s13, v3
	v_xor_b32_e32 v3, s12, v3
	v_and_b32_e32 v9, v9, v3
	v_lshlrev_b32_e32 v3, 28, v8
	v_cmp_gt_i64_e64 s[12:13], 0, v[2:3]
	v_not_b32_e32 v3, v3
	v_ashrrev_i32_e32 v3, 31, v3
	v_and_b32_e32 v27, v27, v31
	;; [unrolled: 8-line block ×5, first 2 shown]
	v_xor_b32_e32 v31, s13, v3
	v_xor_b32_e32 v3, s12, v3
	v_and_b32_e32 v27, v27, v31
	v_and_b32_e32 v31, v9, v3
	v_lshlrev_b32_e32 v3, 24, v8
	v_cmp_gt_i64_e64 s[12:13], 0, v[2:3]
	v_not_b32_e32 v3, v3
	v_ashrrev_i32_e32 v3, 31, v3
	v_xor_b32_e32 v8, s13, v3
	v_xor_b32_e32 v3, s12, v3
	; wave barrier
	ds_read_b32 v30, v26 offset:64
	v_and_b32_e32 v9, v27, v8
	v_and_b32_e32 v8, v31, v3
	v_mbcnt_lo_u32_b32 v3, v8, 0
	v_mbcnt_hi_u32_b32 v31, v9, v3
	v_cmp_eq_u32_e64 s[12:13], 0, v31
	v_cmp_ne_u64_e64 s[14:15], 0, v[8:9]
	s_and_b64 s[14:15], s[14:15], s[12:13]
	; wave barrier
	s_and_saveexec_b64 s[12:13], s[14:15]
	s_cbranch_execz .LBB62_23
; %bb.22:
	v_bcnt_u32_b32 v3, v8, 0
	v_bcnt_u32_b32 v3, v9, v3
	s_waitcnt lgkmcnt(0)
	v_add_u32_e32 v3, v30, v3
	ds_write_b32 v26, v3 offset:64
.LBB62_23:
	s_or_b64 exec, exec, s[12:13]
	v_xor_b32_sdwa v8, v4, s16 dst_sel:DWORD dst_unused:UNUSED_PAD src0_sel:WORD_1 src1_sel:DWORD
	v_lshrrev_b32_sdwa v3, s48, v8 dst_sel:DWORD dst_unused:UNUSED_PAD src0_sel:DWORD src1_sel:WORD_0
	v_and_b32_e32 v4, s33, v3
	v_mul_u32_u24_e32 v3, 17, v4
	v_add_lshl_u32 v27, v5, v3, 2
	v_and_b32_e32 v3, 1, v4
	v_add_co_u32_e64 v5, s[12:13], -1, v3
	v_addc_co_u32_e64 v33, s[12:13], 0, -1, s[12:13]
	v_cmp_ne_u32_e64 s[12:13], 0, v3
	v_xor_b32_e32 v3, s13, v33
	v_and_b32_e32 v33, exec_hi, v3
	v_lshlrev_b32_e32 v3, 30, v4
	v_xor_b32_e32 v5, s12, v5
	v_cmp_gt_i64_e64 s[12:13], 0, v[2:3]
	v_not_b32_e32 v3, v3
	v_ashrrev_i32_e32 v3, 31, v3
	v_and_b32_e32 v5, exec_lo, v5
	v_xor_b32_e32 v34, s13, v3
	v_xor_b32_e32 v3, s12, v3
	v_and_b32_e32 v5, v5, v3
	v_lshlrev_b32_e32 v3, 29, v4
	v_cmp_gt_i64_e64 s[12:13], 0, v[2:3]
	v_not_b32_e32 v3, v3
	v_ashrrev_i32_e32 v3, 31, v3
	v_and_b32_e32 v33, v33, v34
	v_xor_b32_e32 v34, s13, v3
	v_xor_b32_e32 v3, s12, v3
	v_and_b32_e32 v5, v5, v3
	v_lshlrev_b32_e32 v3, 28, v4
	v_cmp_gt_i64_e64 s[12:13], 0, v[2:3]
	v_not_b32_e32 v3, v3
	v_ashrrev_i32_e32 v3, 31, v3
	v_and_b32_e32 v33, v33, v34
	v_xor_b32_e32 v34, s13, v3
	v_xor_b32_e32 v3, s12, v3
	v_and_b32_e32 v5, v5, v3
	v_lshlrev_b32_e32 v3, 27, v4
	v_cmp_gt_i64_e64 s[12:13], 0, v[2:3]
	v_not_b32_e32 v3, v3
	v_ashrrev_i32_e32 v3, 31, v3
	v_and_b32_e32 v33, v33, v34
	v_xor_b32_e32 v34, s13, v3
	v_xor_b32_e32 v3, s12, v3
	v_and_b32_e32 v5, v5, v3
	v_lshlrev_b32_e32 v3, 26, v4
	v_cmp_gt_i64_e64 s[12:13], 0, v[2:3]
	v_not_b32_e32 v3, v3
	v_ashrrev_i32_e32 v3, 31, v3
	v_and_b32_e32 v33, v33, v34
	v_xor_b32_e32 v34, s13, v3
	v_xor_b32_e32 v3, s12, v3
	v_and_b32_e32 v5, v5, v3
	v_lshlrev_b32_e32 v3, 25, v4
	v_cmp_gt_i64_e64 s[12:13], 0, v[2:3]
	v_not_b32_e32 v3, v3
	v_ashrrev_i32_e32 v3, 31, v3
	v_and_b32_e32 v33, v33, v34
	v_xor_b32_e32 v34, s13, v3
	v_xor_b32_e32 v3, s12, v3
	v_and_b32_e32 v5, v5, v3
	v_lshlrev_b32_e32 v3, 24, v4
	v_cmp_gt_i64_e64 s[12:13], 0, v[2:3]
	v_not_b32_e32 v2, v3
	v_ashrrev_i32_e32 v2, 31, v2
	v_xor_b32_e32 v3, s13, v2
	v_xor_b32_e32 v2, s12, v2
	; wave barrier
	ds_read_b32 v9, v27 offset:64
	v_and_b32_e32 v33, v33, v34
	v_and_b32_e32 v2, v5, v2
	;; [unrolled: 1-line block ×3, first 2 shown]
	v_mbcnt_lo_u32_b32 v4, v2, 0
	v_mbcnt_hi_u32_b32 v33, v3, v4
	v_cmp_eq_u32_e64 s[12:13], 0, v33
	v_cmp_ne_u64_e64 s[14:15], 0, v[2:3]
	v_add_u32_e32 v32, 64, v14
	s_and_b64 s[14:15], s[14:15], s[12:13]
	; wave barrier
	s_and_saveexec_b64 s[12:13], s[14:15]
	s_cbranch_execz .LBB62_25
; %bb.24:
	v_bcnt_u32_b32 v2, v2, 0
	v_bcnt_u32_b32 v2, v3, v2
	s_waitcnt lgkmcnt(0)
	v_add_u32_e32 v2, v9, v2
	ds_write_b32 v27, v2 offset:64
.LBB62_25:
	s_or_b64 exec, exec, s[12:13]
	; wave barrier
	s_waitcnt lgkmcnt(0)
	s_barrier
	ds_read2_b32 v[4:5], v14 offset0:16 offset1:17
	ds_read2_b32 v[2:3], v32 offset0:2 offset1:3
	ds_read_b32 v34, v32 offset:16
	v_cmp_lt_u32_e64 s[20:21], 31, v12
	s_waitcnt lgkmcnt(1)
	v_add3_u32 v35, v5, v4, v2
	s_waitcnt lgkmcnt(0)
	v_add3_u32 v34, v35, v3, v34
	v_and_b32_e32 v35, 15, v12
	v_cmp_eq_u32_e64 s[12:13], 0, v35
	v_mov_b32_dpp v36, v34 row_shr:1 row_mask:0xf bank_mask:0xf
	v_cndmask_b32_e64 v36, v36, 0, s[12:13]
	v_add_u32_e32 v34, v36, v34
	v_cmp_lt_u32_e64 s[14:15], 1, v35
	v_cmp_lt_u32_e64 s[16:17], 3, v35
	v_mov_b32_dpp v36, v34 row_shr:2 row_mask:0xf bank_mask:0xf
	v_cndmask_b32_e64 v36, 0, v36, s[14:15]
	v_add_u32_e32 v34, v34, v36
	v_cmp_lt_u32_e64 s[18:19], 7, v35
	s_nop 0
	v_mov_b32_dpp v36, v34 row_shr:4 row_mask:0xf bank_mask:0xf
	v_cndmask_b32_e64 v36, 0, v36, s[16:17]
	v_add_u32_e32 v34, v34, v36
	s_nop 1
	v_mov_b32_dpp v36, v34 row_shr:8 row_mask:0xf bank_mask:0xf
	v_cndmask_b32_e64 v35, 0, v36, s[18:19]
	v_add_u32_e32 v34, v34, v35
	v_bfe_i32 v36, v12, 4, 1
	s_nop 0
	v_mov_b32_dpp v35, v34 row_bcast:15 row_mask:0xf bank_mask:0xf
	v_and_b32_e32 v35, v36, v35
	v_add_u32_e32 v34, v34, v35
	v_and_b32_e32 v36, 63, v6
	s_nop 0
	v_mov_b32_dpp v35, v34 row_bcast:31 row_mask:0xf bank_mask:0xf
	v_cndmask_b32_e64 v35, 0, v35, s[20:21]
	v_add_u32_e32 v34, v34, v35
	v_lshrrev_b32_e32 v35, 6, v6
	v_cmp_eq_u32_e64 s[20:21], 63, v36
	s_and_saveexec_b64 s[22:23], s[20:21]
	s_cbranch_execz .LBB62_27
; %bb.26:
	v_lshlrev_b32_e32 v36, 2, v35
	ds_write_b32 v36, v34
.LBB62_27:
	s_or_b64 exec, exec, s[22:23]
	v_cmp_gt_u32_e64 s[20:21], 16, v6
	s_waitcnt lgkmcnt(0)
	s_barrier
	s_and_saveexec_b64 s[22:23], s[20:21]
	s_cbranch_execz .LBB62_29
; %bb.28:
	v_lshlrev_b32_e32 v36, 2, v6
	ds_read_b32 v37, v36
	s_waitcnt lgkmcnt(0)
	s_nop 0
	v_mov_b32_dpp v38, v37 row_shr:1 row_mask:0xf bank_mask:0xf
	v_cndmask_b32_e64 v38, v38, 0, s[12:13]
	v_add_u32_e32 v37, v38, v37
	s_nop 1
	v_mov_b32_dpp v38, v37 row_shr:2 row_mask:0xf bank_mask:0xf
	v_cndmask_b32_e64 v38, 0, v38, s[14:15]
	v_add_u32_e32 v37, v37, v38
	s_nop 1
	v_mov_b32_dpp v38, v37 row_shr:4 row_mask:0xf bank_mask:0xf
	v_cndmask_b32_e64 v38, 0, v38, s[16:17]
	v_add_u32_e32 v37, v37, v38
	s_nop 1
	v_mov_b32_dpp v38, v37 row_shr:8 row_mask:0xf bank_mask:0xf
	v_cndmask_b32_e64 v38, 0, v38, s[18:19]
	v_add_u32_e32 v37, v37, v38
	ds_write_b32 v36, v37
.LBB62_29:
	s_or_b64 exec, exec, s[22:23]
	v_cmp_lt_u32_e64 s[12:13], 63, v6
	v_mov_b32_e32 v36, 0
	s_waitcnt lgkmcnt(0)
	s_barrier
	s_and_saveexec_b64 s[14:15], s[12:13]
	s_cbranch_execz .LBB62_31
; %bb.30:
	v_lshl_add_u32 v35, v35, 2, -4
	ds_read_b32 v36, v35
.LBB62_31:
	s_or_b64 exec, exec, s[14:15]
	v_add_u32_e32 v35, -1, v12
	v_and_b32_e32 v37, 64, v12
	v_cmp_lt_i32_e64 s[12:13], v35, v37
	v_cndmask_b32_e64 v35, v35, v12, s[12:13]
	s_waitcnt lgkmcnt(0)
	v_add_u32_e32 v34, v36, v34
	v_lshlrev_b32_e32 v35, 2, v35
	ds_bpermute_b32 v34, v35, v34
	v_cmp_eq_u32_e64 s[12:13], 0, v12
	s_waitcnt lgkmcnt(0)
	v_cndmask_b32_e64 v34, v34, v36, s[12:13]
	v_cmp_ne_u32_e64 s[12:13], 0, v6
	v_cndmask_b32_e64 v34, 0, v34, s[12:13]
	v_add_u32_e32 v4, v34, v4
	v_add_u32_e32 v5, v4, v5
	v_add_u32_e32 v2, v5, v2
	v_add_u32_e32 v3, v2, v3
	ds_write2_b32 v14, v34, v4 offset0:16 offset1:17
	ds_write2_b32 v32, v5, v2 offset0:2 offset1:3
	ds_write_b32 v32, v3 offset:16
	s_waitcnt lgkmcnt(0)
	s_barrier
	ds_read_b32 v4, v18 offset:64
	ds_read_b32 v5, v19 offset:64
	;; [unrolled: 1-line block ×6, first 2 shown]
	s_movk_i32 s12, 0x100
	v_cmp_gt_u32_e64 s[12:13], s12, v6
	v_pk_mov_b32 v[2:3], 0, 0
                                        ; implicit-def: $vgpr20
	s_and_saveexec_b64 s[16:17], s[12:13]
	s_cbranch_execz .LBB62_35
; %bb.32:
	v_mul_u32_u24_e32 v2, 17, v6
	v_lshlrev_b32_e32 v20, 2, v2
	ds_read_b32 v2, v20 offset:64
	s_movk_i32 s14, 0xff
	v_cmp_ne_u32_e64 s[14:15], s14, v6
	v_mov_b32_e32 v3, 0x1800
	s_and_saveexec_b64 s[18:19], s[14:15]
	s_cbranch_execz .LBB62_34
; %bb.33:
	ds_read_b32 v3, v20 offset:132
.LBB62_34:
	s_or_b64 exec, exec, s[18:19]
	s_waitcnt lgkmcnt(0)
	v_sub_u32_e32 v20, v3, v2
	v_mov_b32_e32 v3, 0
.LBB62_35:
	s_or_b64 exec, exec, s[16:17]
	s_waitcnt lgkmcnt(5)
	v_add_u32_e32 v27, v4, v15
	s_waitcnt lgkmcnt(4)
	v_add3_u32 v26, v21, v17, v5
	v_lshlrev_b32_e32 v4, 1, v27
	s_waitcnt lgkmcnt(3)
	v_add3_u32 v25, v24, v23, v14
	s_waitcnt lgkmcnt(0)
	s_barrier
	ds_write_b16 v4, v13 offset:2048
	v_lshlrev_b32_e32 v4, 1, v26
	v_add3_u32 v24, v28, v11, v18
	ds_write_b16 v4, v16 offset:2048
	v_lshlrev_b32_e32 v4, 1, v25
	v_add3_u32 v23, v31, v30, v19
	;; [unrolled: 3-line block ×3, first 2 shown]
	ds_write_b16 v4, v10 offset:2048
	v_lshlrev_b32_e32 v4, 1, v23
	ds_write_b16 v4, v29 offset:2048
	v_lshlrev_b32_e32 v4, 1, v21
	ds_write_b16 v4, v8 offset:2048
	s_waitcnt lgkmcnt(0)
	s_barrier
	s_and_saveexec_b64 s[16:17], s[12:13]
	s_cbranch_execz .LBB62_45
; %bb.36:
	v_lshl_or_b32 v4, s6, 8, v6
	v_mov_b32_e32 v5, 0
	v_lshlrev_b64 v[8:9], 2, v[4:5]
	v_mov_b32_e32 v13, s35
	v_add_co_u32_e64 v8, s[14:15], s34, v8
	v_addc_co_u32_e64 v9, s[14:15], v13, v9, s[14:15]
	v_or_b32_e32 v4, 2.0, v20
	s_mov_b64 s[18:19], 0
	s_brev_b32 s24, 1
	s_mov_b32 s25, s6
	v_mov_b32_e32 v14, 0
	global_store_dword v[8:9], v4, off
                                        ; implicit-def: $sgpr14_sgpr15
	s_branch .LBB62_38
.LBB62_37:                              ;   in Loop: Header=BB62_38 Depth=1
	s_or_b64 exec, exec, s[20:21]
	v_and_b32_e32 v10, 0x3fffffff, v15
	v_add_u32_e32 v14, v10, v14
	v_cmp_eq_u32_e64 s[14:15], s24, v4
	s_and_b64 s[20:21], exec, s[14:15]
	s_or_b64 s[18:19], s[20:21], s[18:19]
	s_andn2_b64 exec, exec, s[18:19]
	s_cbranch_execz .LBB62_44
.LBB62_38:                              ; =>This Loop Header: Depth=1
                                        ;     Child Loop BB62_41 Depth 2
	s_or_b64 s[14:15], s[14:15], exec
	s_cmp_eq_u32 s25, 0
	s_cbranch_scc1 .LBB62_43
; %bb.39:                               ;   in Loop: Header=BB62_38 Depth=1
	s_add_i32 s25, s25, -1
	v_lshl_or_b32 v4, s25, 8, v6
	v_lshlrev_b64 v[10:11], 2, v[4:5]
	v_add_co_u32_e64 v10, s[14:15], s34, v10
	v_addc_co_u32_e64 v11, s[14:15], v13, v11, s[14:15]
	global_load_dword v15, v[10:11], off glc
	s_waitcnt vmcnt(0)
	v_and_b32_e32 v4, -2.0, v15
	v_cmp_eq_u32_e64 s[14:15], 0, v4
	s_and_saveexec_b64 s[20:21], s[14:15]
	s_cbranch_execz .LBB62_37
; %bb.40:                               ;   in Loop: Header=BB62_38 Depth=1
	s_mov_b64 s[22:23], 0
.LBB62_41:                              ;   Parent Loop BB62_38 Depth=1
                                        ; =>  This Inner Loop Header: Depth=2
	global_load_dword v15, v[10:11], off glc
	s_waitcnt vmcnt(0)
	v_and_b32_e32 v4, -2.0, v15
	v_cmp_ne_u32_e64 s[14:15], 0, v4
	s_or_b64 s[22:23], s[14:15], s[22:23]
	s_andn2_b64 exec, exec, s[22:23]
	s_cbranch_execnz .LBB62_41
; %bb.42:                               ;   in Loop: Header=BB62_38 Depth=1
	s_or_b64 exec, exec, s[22:23]
	s_branch .LBB62_37
.LBB62_43:                              ;   in Loop: Header=BB62_38 Depth=1
                                        ; implicit-def: $sgpr25
	s_and_b64 s[20:21], exec, s[14:15]
	s_or_b64 s[18:19], s[20:21], s[18:19]
	s_andn2_b64 exec, exec, s[18:19]
	s_cbranch_execnz .LBB62_38
.LBB62_44:
	s_or_b64 exec, exec, s[18:19]
	v_add_u32_e32 v4, v14, v20
	v_or_b32_e32 v4, 0x80000000, v4
	global_store_dword v[8:9], v4, off
	v_lshlrev_b32_e32 v8, 3, v6
	global_load_dwordx2 v[4:5], v8, s[44:45]
	v_sub_co_u32_e64 v9, s[14:15], v14, v2
	v_subb_co_u32_e64 v10, s[14:15], 0, v3, s[14:15]
	s_waitcnt vmcnt(0)
	v_add_co_u32_e64 v4, s[14:15], v9, v4
	v_addc_co_u32_e64 v5, s[14:15], v10, v5, s[14:15]
	ds_write_b64 v8, v[4:5]
.LBB62_45:
	s_or_b64 exec, exec, s[16:17]
	v_cmp_gt_u32_e64 s[14:15], s50, v6
	v_lshlrev_b32_e32 v32, 1, v6
	s_waitcnt lgkmcnt(0)
	s_barrier
	s_and_saveexec_b64 s[18:19], s[14:15]
	s_cbranch_execz .LBB62_47
; %bb.46:
	ds_read_u16 v8, v32 offset:2048
	v_mov_b32_e32 v9, s39
	s_waitcnt lgkmcnt(0)
	v_lshrrev_b32_sdwa v4, s48, v8 dst_sel:DWORD dst_unused:UNUSED_PAD src0_sel:DWORD src1_sel:WORD_0
	v_and_b32_e32 v4, s33, v4
	v_lshlrev_b32_e32 v4, 3, v4
	ds_read_b64 v[4:5], v4
	v_xor_b32_e32 v8, 0x7fff, v8
	s_waitcnt lgkmcnt(0)
	v_lshlrev_b64 v[4:5], 1, v[4:5]
	v_add_co_u32_e64 v4, s[16:17], s38, v4
	v_addc_co_u32_e64 v5, s[16:17], v9, v5, s[16:17]
	v_add_co_u32_e64 v4, s[16:17], v4, v32
	v_addc_co_u32_e64 v5, s[16:17], 0, v5, s[16:17]
	global_store_short v[4:5], v8, off
.LBB62_47:
	s_or_b64 exec, exec, s[18:19]
	v_or_b32_e32 v22, 0x400, v6
	v_cmp_gt_u32_e64 s[16:17], s50, v22
	s_and_saveexec_b64 s[20:21], s[16:17]
	s_cbranch_execz .LBB62_49
; %bb.48:
	ds_read_u16 v8, v32 offset:4096
	v_mov_b32_e32 v9, s39
	s_waitcnt lgkmcnt(0)
	v_lshrrev_b32_sdwa v4, s48, v8 dst_sel:DWORD dst_unused:UNUSED_PAD src0_sel:DWORD src1_sel:WORD_0
	v_and_b32_e32 v4, s33, v4
	v_lshlrev_b32_e32 v4, 3, v4
	ds_read_b64 v[4:5], v4
	v_xor_b32_e32 v8, 0x7fff, v8
	s_waitcnt lgkmcnt(0)
	v_lshlrev_b64 v[4:5], 1, v[4:5]
	v_add_co_u32_e64 v4, s[18:19], s38, v4
	v_addc_co_u32_e64 v5, s[18:19], v9, v5, s[18:19]
	v_add_co_u32_e64 v4, s[18:19], v4, v32
	v_addc_co_u32_e64 v5, s[18:19], 0, v5, s[18:19]
	global_store_short v[4:5], v8, off offset:2048
.LBB62_49:
	s_or_b64 exec, exec, s[20:21]
	v_or_b32_e32 v28, 0x800, v6
	v_cmp_gt_u32_e64 s[18:19], s50, v28
	s_and_saveexec_b64 s[22:23], s[18:19]
	s_cbranch_execz .LBB62_51
; %bb.50:
	ds_read_u16 v8, v32 offset:6144
	v_mov_b32_e32 v9, s39
	v_lshlrev_b32_e32 v10, 1, v28
	s_waitcnt lgkmcnt(0)
	v_lshrrev_b32_sdwa v4, s48, v8 dst_sel:DWORD dst_unused:UNUSED_PAD src0_sel:DWORD src1_sel:WORD_0
	v_and_b32_e32 v4, s33, v4
	v_lshlrev_b32_e32 v4, 3, v4
	ds_read_b64 v[4:5], v4
	v_xor_b32_e32 v8, 0x7fff, v8
	s_waitcnt lgkmcnt(0)
	v_lshlrev_b64 v[4:5], 1, v[4:5]
	v_add_co_u32_e64 v4, s[20:21], s38, v4
	v_addc_co_u32_e64 v5, s[20:21], v9, v5, s[20:21]
	v_add_co_u32_e64 v4, s[20:21], v4, v10
	v_addc_co_u32_e64 v5, s[20:21], 0, v5, s[20:21]
	global_store_short v[4:5], v8, off
.LBB62_51:
	s_or_b64 exec, exec, s[22:23]
	v_or_b32_e32 v29, 0xc00, v6
	v_cmp_gt_u32_e64 s[20:21], s50, v29
	s_and_saveexec_b64 s[24:25], s[20:21]
	s_cbranch_execz .LBB62_53
; %bb.52:
	ds_read_u16 v8, v32 offset:8192
	v_mov_b32_e32 v9, s39
	v_lshlrev_b32_e32 v10, 1, v29
	s_waitcnt lgkmcnt(0)
	v_lshrrev_b32_sdwa v4, s48, v8 dst_sel:DWORD dst_unused:UNUSED_PAD src0_sel:DWORD src1_sel:WORD_0
	v_and_b32_e32 v4, s33, v4
	v_lshlrev_b32_e32 v4, 3, v4
	ds_read_b64 v[4:5], v4
	v_xor_b32_e32 v8, 0x7fff, v8
	s_waitcnt lgkmcnt(0)
	v_lshlrev_b64 v[4:5], 1, v[4:5]
	v_add_co_u32_e64 v4, s[22:23], s38, v4
	v_addc_co_u32_e64 v5, s[22:23], v9, v5, s[22:23]
	v_add_co_u32_e64 v4, s[22:23], v4, v10
	v_addc_co_u32_e64 v5, s[22:23], 0, v5, s[22:23]
	global_store_short v[4:5], v8, off
.LBB62_53:
	;; [unrolled: 23-line block ×4, first 2 shown]
	s_or_b64 exec, exec, s[50:51]
	s_lshl_b64 s[28:29], s[30:31], 3
	s_add_u32 s28, s40, s28
	s_addc_u32 s29, s41, s29
	v_lshlrev_b32_e32 v4, 3, v12
	v_mov_b32_e32 v5, s29
	v_add_co_u32_e64 v4, s[28:29], s28, v4
	v_addc_co_u32_e64 v5, s[28:29], 0, v5, s[28:29]
	v_lshlrev_b32_e32 v7, 3, v7
	v_add_co_u32_e64 v18, s[28:29], v4, v7
	v_addc_co_u32_e64 v19, s[28:29], 0, v5, s[28:29]
                                        ; implicit-def: $vgpr4_vgpr5
	s_and_saveexec_b64 s[28:29], vcc
	s_xor_b64 s[28:29], exec, s[28:29]
	s_cbranch_execnz .LBB62_127
; %bb.58:
	s_or_b64 exec, exec, s[28:29]
                                        ; implicit-def: $vgpr8_vgpr9
	s_and_saveexec_b64 s[28:29], s[0:1]
	s_cbranch_execnz .LBB62_128
.LBB62_59:
	s_or_b64 exec, exec, s[28:29]
                                        ; implicit-def: $vgpr10_vgpr11
	s_and_saveexec_b64 s[0:1], s[2:3]
	s_cbranch_execnz .LBB62_129
.LBB62_60:
	s_or_b64 exec, exec, s[0:1]
                                        ; implicit-def: $vgpr12_vgpr13
	s_and_saveexec_b64 s[0:1], s[26:27]
	s_cbranch_execnz .LBB62_130
.LBB62_61:
	s_or_b64 exec, exec, s[0:1]
                                        ; implicit-def: $vgpr14_vgpr15
	s_and_saveexec_b64 s[0:1], s[8:9]
	s_cbranch_execnz .LBB62_131
.LBB62_62:
	s_or_b64 exec, exec, s[0:1]
                                        ; implicit-def: $vgpr16_vgpr17
	s_and_saveexec_b64 s[0:1], s[10:11]
	s_cbranch_execz .LBB62_64
.LBB62_63:
	global_load_dwordx2 v[16:17], v[18:19], off offset:2560
.LBB62_64:
	s_or_b64 exec, exec, s[0:1]
	v_mov_b32_e32 v33, 0
	v_mov_b32_e32 v35, 0
	s_and_saveexec_b64 s[0:1], s[14:15]
	s_cbranch_execz .LBB62_66
; %bb.65:
	ds_read_u16 v7, v32 offset:2048
	s_waitcnt lgkmcnt(0)
	v_lshrrev_b32_e32 v7, s48, v7
	v_and_b32_e32 v35, s33, v7
.LBB62_66:
	s_or_b64 exec, exec, s[0:1]
	s_and_saveexec_b64 s[0:1], s[16:17]
	s_cbranch_execz .LBB62_68
; %bb.67:
	ds_read_u16 v7, v32 offset:4096
	s_waitcnt lgkmcnt(0)
	v_lshrrev_b32_e32 v7, s48, v7
	v_and_b32_e32 v33, s33, v7
.LBB62_68:
	s_or_b64 exec, exec, s[0:1]
	v_mov_b32_e32 v18, 0
	v_mov_b32_e32 v34, 0
	s_and_saveexec_b64 s[0:1], s[18:19]
	s_cbranch_execz .LBB62_70
; %bb.69:
	ds_read_u16 v7, v32 offset:6144
	s_waitcnt lgkmcnt(0)
	v_lshrrev_b32_e32 v7, s48, v7
	v_and_b32_e32 v34, s33, v7
.LBB62_70:
	s_or_b64 exec, exec, s[0:1]
	s_and_saveexec_b64 s[0:1], s[20:21]
	s_cbranch_execz .LBB62_72
; %bb.71:
	ds_read_u16 v7, v32 offset:8192
	s_waitcnt lgkmcnt(0)
	v_lshrrev_b32_e32 v7, s48, v7
	v_and_b32_e32 v18, s33, v7
.LBB62_72:
	;; [unrolled: 20-line block ×3, first 2 shown]
	s_or_b64 exec, exec, s[0:1]
	v_lshlrev_b32_e32 v27, 3, v27
	s_barrier
	s_waitcnt vmcnt(0)
	ds_write_b64 v27, v[4:5] offset:2048
	v_lshlrev_b32_e32 v4, 3, v26
	ds_write_b64 v4, v[8:9] offset:2048
	v_lshlrev_b32_e32 v4, 3, v25
	;; [unrolled: 2-line block ×6, first 2 shown]
	s_waitcnt lgkmcnt(0)
	s_barrier
	s_and_saveexec_b64 s[0:1], s[14:15]
	s_cbranch_execnz .LBB62_132
; %bb.77:
	s_or_b64 exec, exec, s[0:1]
	s_and_saveexec_b64 s[0:1], s[16:17]
	s_cbranch_execnz .LBB62_133
.LBB62_78:
	s_or_b64 exec, exec, s[0:1]
	s_and_saveexec_b64 s[0:1], s[18:19]
	s_cbranch_execnz .LBB62_134
.LBB62_79:
	s_or_b64 exec, exec, s[0:1]
	s_and_saveexec_b64 s[0:1], s[20:21]
	s_cbranch_execnz .LBB62_135
.LBB62_80:
	s_or_b64 exec, exec, s[0:1]
	s_and_saveexec_b64 s[0:1], s[22:23]
	s_cbranch_execnz .LBB62_136
.LBB62_81:
	s_or_b64 exec, exec, s[0:1]
	s_and_saveexec_b64 s[0:1], s[24:25]
	s_cbranch_execz .LBB62_83
.LBB62_82:
	v_lshlrev_b32_e32 v5, 3, v7
	ds_read_b64 v[8:9], v5
	ds_read_b64 v[4:5], v4 offset:43008
	v_mov_b32_e32 v7, s43
	s_waitcnt lgkmcnt(1)
	v_lshlrev_b64 v[8:9], 3, v[8:9]
	v_add_co_u32_e32 v8, vcc, s42, v8
	v_addc_co_u32_e32 v7, vcc, v7, v9, vcc
	v_lshlrev_b32_e32 v9, 3, v31
	v_add_co_u32_e32 v8, vcc, v8, v9
	v_addc_co_u32_e32 v9, vcc, 0, v7, vcc
	s_waitcnt lgkmcnt(0)
	global_store_dwordx2 v[8:9], v[4:5], off
.LBB62_83:
	s_or_b64 exec, exec, s[0:1]
	s_add_i32 s7, s7, -1
	s_cmp_eq_u32 s6, s7
	s_cselect_b64 s[0:1], -1, 0
	s_and_b64 s[2:3], s[12:13], s[0:1]
	s_mov_b64 s[0:1], 0
	s_mov_b64 s[10:11], 0
                                        ; implicit-def: $vgpr4_vgpr5
	s_and_saveexec_b64 s[8:9], s[2:3]
	s_xor_b64 s[2:3], exec, s[8:9]
; %bb.84:
	v_add_co_u32_e32 v4, vcc, v2, v20
	s_mov_b64 s[10:11], exec
	v_mov_b32_e32 v7, 0
	v_addc_co_u32_e32 v5, vcc, 0, v3, vcc
; %bb.85:
	s_or_b64 exec, exec, s[2:3]
	s_and_b64 vcc, exec, s[0:1]
	s_cbranch_vccnz .LBB62_87
	s_branch .LBB62_124
.LBB62_86:
	s_mov_b64 s[10:11], 0
                                        ; implicit-def: $vgpr4_vgpr5
                                        ; implicit-def: $vgpr6_vgpr7
	s_cbranch_execz .LBB62_124
.LBB62_87:
	v_and_b32_e32 v6, 0x3ff, v0
	s_mov_b32 s31, 0
	s_lshl_b64 s[0:1], s[30:31], 1
	v_mbcnt_hi_u32_b32 v11, -1, v1
	v_and_b32_e32 v1, 0x3c0, v6
	s_add_u32 s0, s36, s0
	v_mul_u32_u24_e32 v10, 6, v1
	v_lshlrev_b32_e32 v1, 1, v11
	v_add_co_u32_e32 v1, vcc, s0, v1
	s_load_dword s7, s[4:5], 0x50
	s_load_dword s0, s[4:5], 0x5c
	s_addc_u32 s1, s37, s1
	v_mov_b32_e32 v3, s1
	v_addc_co_u32_e32 v3, vcc, 0, v3, vcc
	v_lshlrev_b32_e32 v4, 1, v10
	s_add_u32 s1, s4, 0x50
	v_add_co_u32_e32 v12, vcc, v1, v4
	s_addc_u32 s2, s5, 0
	s_waitcnt lgkmcnt(0)
	s_lshr_b32 s3, s0, 16
	v_addc_co_u32_e32 v13, vcc, 0, v3, vcc
	s_cmp_lt_u32 s6, s7
	global_load_ushort v1, v[12:13], off
	s_cselect_b32 s0, 12, 18
	s_add_u32 s0, s1, s0
	v_mov_b32_e32 v2, 0
	s_addc_u32 s1, s2, 0
	global_load_ushort v3, v2, s[0:1]
	v_mul_u32_u24_e32 v5, 5, v6
	v_lshlrev_b32_e32 v5, 2, v5
	ds_write2_b32 v5, v2, v2 offset0:16 offset1:17
	ds_write2_b32 v5, v2, v2 offset0:18 offset1:19
	ds_write_b32 v5, v2 offset:80
	global_load_ushort v9, v[12:13], off offset:128
	global_load_ushort v15, v[12:13], off offset:256
	;; [unrolled: 1-line block ×5, first 2 shown]
	v_bfe_u32 v4, v0, 10, 10
	v_bfe_u32 v0, v0, 20, 10
	v_mad_u32_u24 v0, v0, s3, v4
	s_lshl_b32 s0, -1, s49
	s_not_b32 s14, s0
	s_waitcnt lgkmcnt(0)
	s_barrier
	s_waitcnt lgkmcnt(0)
	; wave barrier
	s_waitcnt vmcnt(6)
	v_xor_b32_e32 v4, 0x7fff, v1
	v_lshrrev_b32_sdwa v1, s48, v4 dst_sel:DWORD dst_unused:UNUSED_PAD src0_sel:DWORD src1_sel:WORD_0
	v_and_b32_e32 v8, s14, v1
	s_waitcnt vmcnt(5)
	v_mad_u64_u32 v[0:1], s[0:1], v0, v3, v[6:7]
	v_and_b32_e32 v7, 1, v8
	v_lshrrev_b32_e32 v18, 6, v0
	v_add_co_u32_e32 v0, vcc, -1, v7
	v_lshlrev_b32_e32 v3, 30, v8
	v_addc_co_u32_e64 v12, s[0:1], 0, -1, vcc
	v_mul_u32_u24_e32 v1, 17, v8
	v_cmp_ne_u32_e32 vcc, 0, v7
	v_cmp_gt_i64_e64 s[0:1], 0, v[2:3]
	v_not_b32_e32 v13, v3
	v_lshlrev_b32_e32 v3, 29, v8
	v_add_lshl_u32 v7, v18, v1, 2
	v_xor_b32_e32 v1, vcc_hi, v12
	v_xor_b32_e32 v0, vcc_lo, v0
	v_ashrrev_i32_e32 v12, 31, v13
	v_cmp_gt_i64_e32 vcc, 0, v[2:3]
	v_not_b32_e32 v13, v3
	v_lshlrev_b32_e32 v3, 28, v8
	v_and_b32_e32 v1, exec_hi, v1
	v_and_b32_e32 v0, exec_lo, v0
	v_xor_b32_e32 v14, s1, v12
	v_xor_b32_e32 v12, s0, v12
	v_ashrrev_i32_e32 v13, 31, v13
	v_cmp_gt_i64_e64 s[0:1], 0, v[2:3]
	v_not_b32_e32 v16, v3
	v_lshlrev_b32_e32 v3, 27, v8
	v_and_b32_e32 v1, v1, v14
	v_and_b32_e32 v0, v0, v12
	v_xor_b32_e32 v12, vcc_hi, v13
	v_xor_b32_e32 v13, vcc_lo, v13
	v_ashrrev_i32_e32 v14, 31, v16
	v_cmp_gt_i64_e32 vcc, 0, v[2:3]
	v_not_b32_e32 v3, v3
	v_and_b32_e32 v1, v1, v12
	v_and_b32_e32 v0, v0, v13
	v_xor_b32_e32 v12, s1, v14
	v_xor_b32_e32 v13, s0, v14
	v_ashrrev_i32_e32 v3, 31, v3
	v_and_b32_e32 v1, v1, v12
	v_and_b32_e32 v0, v0, v13
	v_xor_b32_e32 v12, vcc_hi, v3
	v_xor_b32_e32 v3, vcc_lo, v3
	v_and_b32_e32 v0, v0, v3
	v_lshlrev_b32_e32 v3, 26, v8
	v_cmp_gt_i64_e32 vcc, 0, v[2:3]
	v_not_b32_e32 v3, v3
	v_ashrrev_i32_e32 v3, 31, v3
	v_and_b32_e32 v1, v1, v12
	v_xor_b32_e32 v12, vcc_hi, v3
	v_xor_b32_e32 v3, vcc_lo, v3
	v_and_b32_e32 v0, v0, v3
	v_lshlrev_b32_e32 v3, 25, v8
	v_cmp_gt_i64_e32 vcc, 0, v[2:3]
	v_not_b32_e32 v3, v3
	v_ashrrev_i32_e32 v3, 31, v3
	;; [unrolled: 8-line block ×3, first 2 shown]
	v_xor_b32_e32 v8, vcc_hi, v3
	v_xor_b32_e32 v3, vcc_lo, v3
	v_and_b32_e32 v1, v1, v12
	v_and_b32_e32 v0, v0, v3
	v_and_b32_e32 v1, v1, v8
	v_mbcnt_lo_u32_b32 v3, v0, 0
	v_mbcnt_hi_u32_b32 v8, v1, v3
	v_cmp_eq_u32_e32 vcc, 0, v8
	v_cmp_ne_u64_e64 s[0:1], 0, v[0:1]
	s_and_b64 s[2:3], s[0:1], vcc
	s_and_saveexec_b64 s[0:1], s[2:3]
	s_cbranch_execz .LBB62_89
; %bb.88:
	v_bcnt_u32_b32 v0, v0, 0
	v_bcnt_u32_b32 v0, v1, v0
	ds_write_b32 v7, v0 offset:64
.LBB62_89:
	s_or_b64 exec, exec, s[0:1]
	s_waitcnt vmcnt(4)
	v_xor_b32_e32 v9, 0x7fff, v9
	v_lshrrev_b32_sdwa v0, s48, v9 dst_sel:DWORD dst_unused:UNUSED_PAD src0_sel:DWORD src1_sel:WORD_0
	v_and_b32_e32 v0, s14, v0
	v_mul_u32_u24_e32 v1, 17, v0
	v_add_lshl_u32 v13, v18, v1, 2
	v_and_b32_e32 v1, 1, v0
	v_add_co_u32_e32 v3, vcc, -1, v1
	v_addc_co_u32_e64 v14, s[0:1], 0, -1, vcc
	v_cmp_ne_u32_e32 vcc, 0, v1
	v_xor_b32_e32 v3, vcc_lo, v3
	v_xor_b32_e32 v1, vcc_hi, v14
	v_and_b32_e32 v14, exec_lo, v3
	v_lshlrev_b32_e32 v3, 30, v0
	v_cmp_gt_i64_e32 vcc, 0, v[2:3]
	v_not_b32_e32 v3, v3
	v_ashrrev_i32_e32 v3, 31, v3
	v_xor_b32_e32 v16, vcc_hi, v3
	v_xor_b32_e32 v3, vcc_lo, v3
	v_and_b32_e32 v14, v14, v3
	v_lshlrev_b32_e32 v3, 29, v0
	v_cmp_gt_i64_e32 vcc, 0, v[2:3]
	v_not_b32_e32 v3, v3
	v_and_b32_e32 v1, exec_hi, v1
	v_ashrrev_i32_e32 v3, 31, v3
	v_and_b32_e32 v1, v1, v16
	v_xor_b32_e32 v16, vcc_hi, v3
	v_xor_b32_e32 v3, vcc_lo, v3
	v_and_b32_e32 v14, v14, v3
	v_lshlrev_b32_e32 v3, 28, v0
	v_cmp_gt_i64_e32 vcc, 0, v[2:3]
	v_not_b32_e32 v3, v3
	v_ashrrev_i32_e32 v3, 31, v3
	v_and_b32_e32 v1, v1, v16
	v_xor_b32_e32 v16, vcc_hi, v3
	v_xor_b32_e32 v3, vcc_lo, v3
	v_and_b32_e32 v14, v14, v3
	v_lshlrev_b32_e32 v3, 27, v0
	v_cmp_gt_i64_e32 vcc, 0, v[2:3]
	v_not_b32_e32 v3, v3
	;; [unrolled: 8-line block ×4, first 2 shown]
	v_ashrrev_i32_e32 v3, 31, v3
	v_and_b32_e32 v1, v1, v16
	v_xor_b32_e32 v16, vcc_hi, v3
	v_xor_b32_e32 v3, vcc_lo, v3
	v_and_b32_e32 v14, v14, v3
	v_lshlrev_b32_e32 v3, 24, v0
	v_not_b32_e32 v0, v3
	v_cmp_gt_i64_e32 vcc, 0, v[2:3]
	v_ashrrev_i32_e32 v0, 31, v0
	v_xor_b32_e32 v2, vcc_hi, v0
	v_xor_b32_e32 v0, vcc_lo, v0
	; wave barrier
	ds_read_b32 v12, v13 offset:64
	v_and_b32_e32 v1, v1, v16
	v_and_b32_e32 v0, v14, v0
	;; [unrolled: 1-line block ×3, first 2 shown]
	v_mbcnt_lo_u32_b32 v2, v0, 0
	v_mbcnt_hi_u32_b32 v14, v1, v2
	v_cmp_eq_u32_e32 vcc, 0, v14
	v_cmp_ne_u64_e64 s[0:1], 0, v[0:1]
	s_and_b64 s[2:3], s[0:1], vcc
	; wave barrier
	s_and_saveexec_b64 s[0:1], s[2:3]
	s_cbranch_execz .LBB62_91
; %bb.90:
	v_bcnt_u32_b32 v0, v0, 0
	v_bcnt_u32_b32 v0, v1, v0
	s_waitcnt lgkmcnt(0)
	v_add_u32_e32 v0, v12, v0
	ds_write_b32 v13, v0 offset:64
.LBB62_91:
	s_or_b64 exec, exec, s[0:1]
	s_waitcnt vmcnt(3)
	v_xor_b32_e32 v15, 0x7fff, v15
	v_lshrrev_b32_sdwa v0, s48, v15 dst_sel:DWORD dst_unused:UNUSED_PAD src0_sel:DWORD src1_sel:WORD_0
	v_and_b32_e32 v2, s14, v0
	v_and_b32_e32 v1, 1, v2
	v_add_co_u32_e32 v3, vcc, -1, v1
	v_addc_co_u32_e64 v20, s[0:1], 0, -1, vcc
	v_cmp_ne_u32_e32 vcc, 0, v1
	v_mul_u32_u24_e32 v0, 17, v2
	v_xor_b32_e32 v1, vcc_hi, v20
	v_add_lshl_u32 v19, v18, v0, 2
	v_mov_b32_e32 v0, 0
	v_and_b32_e32 v20, exec_hi, v1
	v_lshlrev_b32_e32 v1, 30, v2
	v_xor_b32_e32 v3, vcc_lo, v3
	v_cmp_gt_i64_e32 vcc, 0, v[0:1]
	v_not_b32_e32 v1, v1
	v_ashrrev_i32_e32 v1, 31, v1
	v_and_b32_e32 v3, exec_lo, v3
	v_xor_b32_e32 v22, vcc_hi, v1
	v_xor_b32_e32 v1, vcc_lo, v1
	v_and_b32_e32 v3, v3, v1
	v_lshlrev_b32_e32 v1, 29, v2
	v_cmp_gt_i64_e32 vcc, 0, v[0:1]
	v_not_b32_e32 v1, v1
	v_ashrrev_i32_e32 v1, 31, v1
	v_and_b32_e32 v20, v20, v22
	v_xor_b32_e32 v22, vcc_hi, v1
	v_xor_b32_e32 v1, vcc_lo, v1
	v_and_b32_e32 v3, v3, v1
	v_lshlrev_b32_e32 v1, 28, v2
	v_cmp_gt_i64_e32 vcc, 0, v[0:1]
	v_not_b32_e32 v1, v1
	v_ashrrev_i32_e32 v1, 31, v1
	v_and_b32_e32 v20, v20, v22
	;; [unrolled: 8-line block ×5, first 2 shown]
	v_xor_b32_e32 v22, vcc_hi, v1
	v_xor_b32_e32 v1, vcc_lo, v1
	v_and_b32_e32 v20, v20, v22
	v_and_b32_e32 v22, v3, v1
	v_lshlrev_b32_e32 v1, 24, v2
	v_cmp_gt_i64_e32 vcc, 0, v[0:1]
	v_not_b32_e32 v1, v1
	v_ashrrev_i32_e32 v1, 31, v1
	v_xor_b32_e32 v2, vcc_hi, v1
	v_xor_b32_e32 v1, vcc_lo, v1
	; wave barrier
	ds_read_b32 v16, v19 offset:64
	v_and_b32_e32 v3, v20, v2
	v_and_b32_e32 v2, v22, v1
	v_mbcnt_lo_u32_b32 v1, v2, 0
	v_mbcnt_hi_u32_b32 v20, v3, v1
	v_cmp_eq_u32_e32 vcc, 0, v20
	v_cmp_ne_u64_e64 s[0:1], 0, v[2:3]
	s_and_b64 s[2:3], s[0:1], vcc
	; wave barrier
	s_and_saveexec_b64 s[0:1], s[2:3]
	s_cbranch_execz .LBB62_93
; %bb.92:
	v_bcnt_u32_b32 v1, v2, 0
	v_bcnt_u32_b32 v1, v3, v1
	s_waitcnt lgkmcnt(0)
	v_add_u32_e32 v1, v16, v1
	ds_write_b32 v19, v1 offset:64
.LBB62_93:
	s_or_b64 exec, exec, s[0:1]
	s_waitcnt vmcnt(2)
	v_xor_b32_e32 v21, 0x7fff, v21
	v_lshrrev_b32_sdwa v1, s48, v21 dst_sel:DWORD dst_unused:UNUSED_PAD src0_sel:DWORD src1_sel:WORD_0
	v_and_b32_e32 v2, s14, v1
	v_mul_u32_u24_e32 v1, 17, v2
	v_add_lshl_u32 v24, v18, v1, 2
	v_and_b32_e32 v1, 1, v2
	v_add_co_u32_e32 v3, vcc, -1, v1
	v_addc_co_u32_e64 v25, s[0:1], 0, -1, vcc
	v_cmp_ne_u32_e32 vcc, 0, v1
	v_xor_b32_e32 v1, vcc_hi, v25
	v_and_b32_e32 v25, exec_hi, v1
	v_lshlrev_b32_e32 v1, 30, v2
	v_xor_b32_e32 v3, vcc_lo, v3
	v_cmp_gt_i64_e32 vcc, 0, v[0:1]
	v_not_b32_e32 v1, v1
	v_ashrrev_i32_e32 v1, 31, v1
	v_and_b32_e32 v3, exec_lo, v3
	v_xor_b32_e32 v26, vcc_hi, v1
	v_xor_b32_e32 v1, vcc_lo, v1
	v_and_b32_e32 v3, v3, v1
	v_lshlrev_b32_e32 v1, 29, v2
	v_cmp_gt_i64_e32 vcc, 0, v[0:1]
	v_not_b32_e32 v1, v1
	v_ashrrev_i32_e32 v1, 31, v1
	v_and_b32_e32 v25, v25, v26
	v_xor_b32_e32 v26, vcc_hi, v1
	v_xor_b32_e32 v1, vcc_lo, v1
	v_and_b32_e32 v3, v3, v1
	v_lshlrev_b32_e32 v1, 28, v2
	v_cmp_gt_i64_e32 vcc, 0, v[0:1]
	v_not_b32_e32 v1, v1
	v_ashrrev_i32_e32 v1, 31, v1
	v_and_b32_e32 v25, v25, v26
	;; [unrolled: 8-line block ×5, first 2 shown]
	v_xor_b32_e32 v26, vcc_hi, v1
	v_xor_b32_e32 v1, vcc_lo, v1
	v_and_b32_e32 v3, v3, v1
	v_lshlrev_b32_e32 v1, 24, v2
	v_cmp_gt_i64_e32 vcc, 0, v[0:1]
	v_not_b32_e32 v0, v1
	v_ashrrev_i32_e32 v0, 31, v0
	v_xor_b32_e32 v1, vcc_hi, v0
	v_xor_b32_e32 v0, vcc_lo, v0
	; wave barrier
	ds_read_b32 v22, v24 offset:64
	v_and_b32_e32 v25, v25, v26
	v_and_b32_e32 v0, v3, v0
	;; [unrolled: 1-line block ×3, first 2 shown]
	v_mbcnt_lo_u32_b32 v2, v0, 0
	v_mbcnt_hi_u32_b32 v25, v1, v2
	v_cmp_eq_u32_e32 vcc, 0, v25
	v_cmp_ne_u64_e64 s[0:1], 0, v[0:1]
	s_and_b64 s[2:3], s[0:1], vcc
	; wave barrier
	s_and_saveexec_b64 s[0:1], s[2:3]
	s_cbranch_execz .LBB62_95
; %bb.94:
	v_bcnt_u32_b32 v0, v0, 0
	v_bcnt_u32_b32 v0, v1, v0
	s_waitcnt lgkmcnt(0)
	v_add_u32_e32 v0, v22, v0
	ds_write_b32 v24, v0 offset:64
.LBB62_95:
	s_or_b64 exec, exec, s[0:1]
	s_waitcnt vmcnt(1)
	v_xor_b32_e32 v23, 0x7fff, v23
	v_lshrrev_b32_sdwa v0, s48, v23 dst_sel:DWORD dst_unused:UNUSED_PAD src0_sel:DWORD src1_sel:WORD_0
	v_and_b32_e32 v2, s14, v0
	v_and_b32_e32 v1, 1, v2
	v_add_co_u32_e32 v3, vcc, -1, v1
	v_addc_co_u32_e64 v28, s[0:1], 0, -1, vcc
	v_cmp_ne_u32_e32 vcc, 0, v1
	v_mul_u32_u24_e32 v0, 17, v2
	v_xor_b32_e32 v1, vcc_hi, v28
	v_add_lshl_u32 v27, v18, v0, 2
	v_mov_b32_e32 v0, 0
	v_and_b32_e32 v28, exec_hi, v1
	v_lshlrev_b32_e32 v1, 30, v2
	v_xor_b32_e32 v3, vcc_lo, v3
	v_cmp_gt_i64_e32 vcc, 0, v[0:1]
	v_not_b32_e32 v1, v1
	v_ashrrev_i32_e32 v1, 31, v1
	v_and_b32_e32 v3, exec_lo, v3
	v_xor_b32_e32 v29, vcc_hi, v1
	v_xor_b32_e32 v1, vcc_lo, v1
	v_and_b32_e32 v3, v3, v1
	v_lshlrev_b32_e32 v1, 29, v2
	v_cmp_gt_i64_e32 vcc, 0, v[0:1]
	v_not_b32_e32 v1, v1
	v_ashrrev_i32_e32 v1, 31, v1
	v_and_b32_e32 v28, v28, v29
	v_xor_b32_e32 v29, vcc_hi, v1
	v_xor_b32_e32 v1, vcc_lo, v1
	v_and_b32_e32 v3, v3, v1
	v_lshlrev_b32_e32 v1, 28, v2
	v_cmp_gt_i64_e32 vcc, 0, v[0:1]
	v_not_b32_e32 v1, v1
	v_ashrrev_i32_e32 v1, 31, v1
	v_and_b32_e32 v28, v28, v29
	;; [unrolled: 8-line block ×5, first 2 shown]
	v_xor_b32_e32 v29, vcc_hi, v1
	v_xor_b32_e32 v1, vcc_lo, v1
	v_and_b32_e32 v28, v28, v29
	v_and_b32_e32 v29, v3, v1
	v_lshlrev_b32_e32 v1, 24, v2
	v_cmp_gt_i64_e32 vcc, 0, v[0:1]
	v_not_b32_e32 v1, v1
	v_ashrrev_i32_e32 v1, 31, v1
	v_xor_b32_e32 v2, vcc_hi, v1
	v_xor_b32_e32 v1, vcc_lo, v1
	; wave barrier
	ds_read_b32 v26, v27 offset:64
	v_and_b32_e32 v3, v28, v2
	v_and_b32_e32 v2, v29, v1
	v_mbcnt_lo_u32_b32 v1, v2, 0
	v_mbcnt_hi_u32_b32 v28, v3, v1
	v_cmp_eq_u32_e32 vcc, 0, v28
	v_cmp_ne_u64_e64 s[0:1], 0, v[2:3]
	s_and_b64 s[2:3], s[0:1], vcc
	; wave barrier
	s_and_saveexec_b64 s[0:1], s[2:3]
	s_cbranch_execz .LBB62_97
; %bb.96:
	v_bcnt_u32_b32 v1, v2, 0
	v_bcnt_u32_b32 v1, v3, v1
	s_waitcnt lgkmcnt(0)
	v_add_u32_e32 v1, v26, v1
	ds_write_b32 v27, v1 offset:64
.LBB62_97:
	s_or_b64 exec, exec, s[0:1]
	s_waitcnt vmcnt(0)
	v_xor_b32_e32 v29, 0x7fff, v17
	v_lshrrev_b32_sdwa v1, s48, v29 dst_sel:DWORD dst_unused:UNUSED_PAD src0_sel:DWORD src1_sel:WORD_0
	v_and_b32_e32 v2, s14, v1
	v_mul_u32_u24_e32 v1, 17, v2
	v_add_lshl_u32 v17, v18, v1, 2
	v_and_b32_e32 v1, 1, v2
	v_add_co_u32_e32 v3, vcc, -1, v1
	v_addc_co_u32_e64 v18, s[0:1], 0, -1, vcc
	v_cmp_ne_u32_e32 vcc, 0, v1
	v_xor_b32_e32 v1, vcc_hi, v18
	v_and_b32_e32 v18, exec_hi, v1
	v_lshlrev_b32_e32 v1, 30, v2
	v_xor_b32_e32 v3, vcc_lo, v3
	v_cmp_gt_i64_e32 vcc, 0, v[0:1]
	v_not_b32_e32 v1, v1
	v_ashrrev_i32_e32 v1, 31, v1
	v_and_b32_e32 v3, exec_lo, v3
	v_xor_b32_e32 v32, vcc_hi, v1
	v_xor_b32_e32 v1, vcc_lo, v1
	v_and_b32_e32 v3, v3, v1
	v_lshlrev_b32_e32 v1, 29, v2
	v_cmp_gt_i64_e32 vcc, 0, v[0:1]
	v_not_b32_e32 v1, v1
	v_ashrrev_i32_e32 v1, 31, v1
	v_and_b32_e32 v18, v18, v32
	v_xor_b32_e32 v32, vcc_hi, v1
	v_xor_b32_e32 v1, vcc_lo, v1
	v_and_b32_e32 v3, v3, v1
	v_lshlrev_b32_e32 v1, 28, v2
	v_cmp_gt_i64_e32 vcc, 0, v[0:1]
	v_not_b32_e32 v1, v1
	v_ashrrev_i32_e32 v1, 31, v1
	v_and_b32_e32 v18, v18, v32
	;; [unrolled: 8-line block ×5, first 2 shown]
	v_xor_b32_e32 v32, vcc_hi, v1
	v_xor_b32_e32 v1, vcc_lo, v1
	v_and_b32_e32 v3, v3, v1
	v_lshlrev_b32_e32 v1, 24, v2
	v_cmp_gt_i64_e32 vcc, 0, v[0:1]
	v_not_b32_e32 v0, v1
	v_ashrrev_i32_e32 v0, 31, v0
	v_xor_b32_e32 v1, vcc_hi, v0
	v_xor_b32_e32 v0, vcc_lo, v0
	; wave barrier
	ds_read_b32 v30, v17 offset:64
	v_and_b32_e32 v18, v18, v32
	v_and_b32_e32 v0, v3, v0
	;; [unrolled: 1-line block ×3, first 2 shown]
	v_mbcnt_lo_u32_b32 v2, v0, 0
	v_mbcnt_hi_u32_b32 v32, v1, v2
	v_cmp_eq_u32_e32 vcc, 0, v32
	v_cmp_ne_u64_e64 s[0:1], 0, v[0:1]
	v_add_u32_e32 v31, 64, v5
	s_and_b64 s[2:3], s[0:1], vcc
	; wave barrier
	s_and_saveexec_b64 s[0:1], s[2:3]
	s_cbranch_execz .LBB62_99
; %bb.98:
	v_bcnt_u32_b32 v0, v0, 0
	v_bcnt_u32_b32 v0, v1, v0
	s_waitcnt lgkmcnt(0)
	v_add_u32_e32 v0, v30, v0
	ds_write_b32 v17, v0 offset:64
.LBB62_99:
	s_or_b64 exec, exec, s[0:1]
	; wave barrier
	s_waitcnt lgkmcnt(0)
	s_barrier
	ds_read2_b32 v[2:3], v5 offset0:16 offset1:17
	ds_read2_b32 v[0:1], v31 offset0:2 offset1:3
	ds_read_b32 v18, v31 offset:16
	v_cmp_lt_u32_e64 s[8:9], 31, v11
	s_waitcnt lgkmcnt(1)
	v_add3_u32 v33, v3, v2, v0
	s_waitcnt lgkmcnt(0)
	v_add3_u32 v18, v33, v1, v18
	v_and_b32_e32 v33, 15, v11
	v_cmp_eq_u32_e32 vcc, 0, v33
	v_mov_b32_dpp v34, v18 row_shr:1 row_mask:0xf bank_mask:0xf
	v_cndmask_b32_e64 v34, v34, 0, vcc
	v_add_u32_e32 v18, v34, v18
	v_cmp_lt_u32_e64 s[0:1], 1, v33
	v_cmp_lt_u32_e64 s[2:3], 3, v33
	v_mov_b32_dpp v34, v18 row_shr:2 row_mask:0xf bank_mask:0xf
	v_cndmask_b32_e64 v34, 0, v34, s[0:1]
	v_add_u32_e32 v18, v18, v34
	v_cmp_lt_u32_e64 s[4:5], 7, v33
	s_nop 0
	v_mov_b32_dpp v34, v18 row_shr:4 row_mask:0xf bank_mask:0xf
	v_cndmask_b32_e64 v34, 0, v34, s[2:3]
	v_add_u32_e32 v18, v18, v34
	s_nop 1
	v_mov_b32_dpp v34, v18 row_shr:8 row_mask:0xf bank_mask:0xf
	v_cndmask_b32_e64 v33, 0, v34, s[4:5]
	v_add_u32_e32 v18, v18, v33
	v_bfe_i32 v34, v11, 4, 1
	s_nop 0
	v_mov_b32_dpp v33, v18 row_bcast:15 row_mask:0xf bank_mask:0xf
	v_and_b32_e32 v33, v34, v33
	v_add_u32_e32 v18, v18, v33
	v_and_b32_e32 v34, 63, v6
	s_nop 0
	v_mov_b32_dpp v33, v18 row_bcast:31 row_mask:0xf bank_mask:0xf
	v_cndmask_b32_e64 v33, 0, v33, s[8:9]
	v_add_u32_e32 v18, v18, v33
	v_lshrrev_b32_e32 v33, 6, v6
	v_cmp_eq_u32_e64 s[8:9], 63, v34
	s_and_saveexec_b64 s[12:13], s[8:9]
	s_cbranch_execz .LBB62_101
; %bb.100:
	v_lshlrev_b32_e32 v34, 2, v33
	ds_write_b32 v34, v18
.LBB62_101:
	s_or_b64 exec, exec, s[12:13]
	v_cmp_gt_u32_e64 s[8:9], 16, v6
	s_waitcnt lgkmcnt(0)
	s_barrier
	s_and_saveexec_b64 s[12:13], s[8:9]
	s_cbranch_execz .LBB62_103
; %bb.102:
	v_lshlrev_b32_e32 v34, 2, v6
	ds_read_b32 v35, v34
	s_waitcnt lgkmcnt(0)
	s_nop 0
	v_mov_b32_dpp v36, v35 row_shr:1 row_mask:0xf bank_mask:0xf
	v_cndmask_b32_e64 v36, v36, 0, vcc
	v_add_u32_e32 v35, v36, v35
	s_nop 1
	v_mov_b32_dpp v36, v35 row_shr:2 row_mask:0xf bank_mask:0xf
	v_cndmask_b32_e64 v36, 0, v36, s[0:1]
	v_add_u32_e32 v35, v35, v36
	s_nop 1
	v_mov_b32_dpp v36, v35 row_shr:4 row_mask:0xf bank_mask:0xf
	v_cndmask_b32_e64 v36, 0, v36, s[2:3]
	;; [unrolled: 4-line block ×3, first 2 shown]
	v_add_u32_e32 v35, v35, v36
	ds_write_b32 v34, v35
.LBB62_103:
	s_or_b64 exec, exec, s[12:13]
	v_cmp_lt_u32_e32 vcc, 63, v6
	v_mov_b32_e32 v34, 0
	s_waitcnt lgkmcnt(0)
	s_barrier
	s_and_saveexec_b64 s[0:1], vcc
	s_cbranch_execz .LBB62_105
; %bb.104:
	v_lshl_add_u32 v33, v33, 2, -4
	ds_read_b32 v34, v33
.LBB62_105:
	s_or_b64 exec, exec, s[0:1]
	v_add_u32_e32 v33, -1, v11
	v_and_b32_e32 v35, 64, v11
	v_cmp_lt_i32_e32 vcc, v33, v35
	v_cndmask_b32_e32 v33, v33, v11, vcc
	s_waitcnt lgkmcnt(0)
	v_add_u32_e32 v18, v34, v18
	v_lshlrev_b32_e32 v33, 2, v33
	ds_bpermute_b32 v18, v33, v18
	v_cmp_eq_u32_e32 vcc, 0, v11
	s_movk_i32 s2, 0xff
	s_movk_i32 s3, 0x100
	v_cmp_lt_u32_e64 s[0:1], s2, v6
	s_waitcnt lgkmcnt(0)
	v_cndmask_b32_e32 v18, v18, v34, vcc
	v_cmp_ne_u32_e32 vcc, 0, v6
	v_cndmask_b32_e32 v18, 0, v18, vcc
	v_add_u32_e32 v2, v18, v2
	v_add_u32_e32 v3, v2, v3
	;; [unrolled: 1-line block ×4, first 2 shown]
	ds_write2_b32 v5, v18, v2 offset0:16 offset1:17
	ds_write2_b32 v31, v3, v0 offset0:2 offset1:3
	ds_write_b32 v31, v1 offset:16
	s_waitcnt lgkmcnt(0)
	s_barrier
	ds_read_b32 v2, v7 offset:64
	ds_read_b32 v3, v13 offset:64
	;; [unrolled: 1-line block ×6, first 2 shown]
	v_cmp_gt_u32_e32 vcc, s3, v6
	v_pk_mov_b32 v[0:1], 0, 0
                                        ; implicit-def: $vgpr13
	s_and_saveexec_b64 s[4:5], vcc
	s_cbranch_execz .LBB62_109
; %bb.106:
	v_mul_u32_u24_e32 v0, 17, v6
	v_lshlrev_b32_e32 v13, 2, v0
	ds_read_b32 v0, v13 offset:64
	v_cmp_ne_u32_e64 s[2:3], s2, v6
	v_mov_b32_e32 v1, 0x1800
	s_and_saveexec_b64 s[8:9], s[2:3]
	s_cbranch_execz .LBB62_108
; %bb.107:
	ds_read_b32 v1, v13 offset:132
.LBB62_108:
	s_or_b64 exec, exec, s[8:9]
	s_waitcnt lgkmcnt(0)
	v_sub_u32_e32 v13, v1, v0
	v_mov_b32_e32 v1, 0
.LBB62_109:
	s_or_b64 exec, exec, s[4:5]
	s_waitcnt lgkmcnt(5)
	v_add_u32_e32 v19, v2, v8
	s_waitcnt lgkmcnt(4)
	v_add3_u32 v18, v14, v12, v3
	v_lshlrev_b32_e32 v2, 1, v19
	s_waitcnt lgkmcnt(3)
	v_add3_u32 v17, v20, v16, v5
	s_waitcnt lgkmcnt(0)
	s_barrier
	ds_write_b16 v2, v4 offset:2048
	v_lshlrev_b32_e32 v2, 1, v18
	v_add3_u32 v16, v25, v22, v7
	ds_write_b16 v2, v9 offset:2048
	v_lshlrev_b32_e32 v2, 1, v17
	v_add3_u32 v14, v28, v26, v24
	;; [unrolled: 3-line block ×3, first 2 shown]
	ds_write_b16 v2, v21 offset:2048
	v_lshlrev_b32_e32 v2, 1, v14
	ds_write_b16 v2, v23 offset:2048
	v_lshlrev_b32_e32 v2, 1, v12
	ds_write_b16 v2, v29 offset:2048
	s_waitcnt lgkmcnt(0)
	s_barrier
	s_and_saveexec_b64 s[2:3], s[0:1]
	s_xor_b64 s[0:1], exec, s[2:3]
; %bb.110:
	v_mov_b32_e32 v7, 0
; %bb.111:
	s_andn2_saveexec_b64 s[2:3], s[0:1]
	s_cbranch_execz .LBB62_121
; %bb.112:
	v_lshl_or_b32 v2, s6, 8, v6
	v_mov_b32_e32 v3, 0
	v_lshlrev_b64 v[4:5], 2, v[2:3]
	v_mov_b32_e32 v7, s35
	v_add_co_u32_e64 v4, s[0:1], s34, v4
	v_addc_co_u32_e64 v5, s[0:1], v7, v5, s[0:1]
	v_or_b32_e32 v2, 2.0, v13
	s_mov_b64 s[4:5], 0
	s_brev_b32 s15, 1
	s_mov_b32 s16, s6
	v_mov_b32_e32 v15, 0
	global_store_dword v[4:5], v2, off
                                        ; implicit-def: $sgpr0_sgpr1
	s_branch .LBB62_115
.LBB62_113:                             ;   in Loop: Header=BB62_115 Depth=1
	s_or_b64 exec, exec, s[12:13]
.LBB62_114:                             ;   in Loop: Header=BB62_115 Depth=1
	s_or_b64 exec, exec, s[8:9]
	v_and_b32_e32 v8, 0x3fffffff, v20
	v_add_u32_e32 v15, v8, v15
	v_cmp_eq_u32_e64 s[0:1], s15, v2
	s_and_b64 s[8:9], exec, s[0:1]
	s_or_b64 s[4:5], s[8:9], s[4:5]
	s_andn2_b64 exec, exec, s[4:5]
	s_cbranch_execz .LBB62_120
.LBB62_115:                             ; =>This Loop Header: Depth=1
                                        ;     Child Loop BB62_118 Depth 2
	s_or_b64 s[0:1], s[0:1], exec
	s_cmp_eq_u32 s16, 0
	s_cbranch_scc1 .LBB62_119
; %bb.116:                              ;   in Loop: Header=BB62_115 Depth=1
	s_add_i32 s16, s16, -1
	v_lshl_or_b32 v2, s16, 8, v6
	v_lshlrev_b64 v[8:9], 2, v[2:3]
	v_add_co_u32_e64 v8, s[0:1], s34, v8
	v_addc_co_u32_e64 v9, s[0:1], v7, v9, s[0:1]
	global_load_dword v20, v[8:9], off glc
	s_waitcnt vmcnt(0)
	v_and_b32_e32 v2, -2.0, v20
	v_cmp_eq_u32_e64 s[0:1], 0, v2
	s_and_saveexec_b64 s[8:9], s[0:1]
	s_cbranch_execz .LBB62_114
; %bb.117:                              ;   in Loop: Header=BB62_115 Depth=1
	s_mov_b64 s[12:13], 0
.LBB62_118:                             ;   Parent Loop BB62_115 Depth=1
                                        ; =>  This Inner Loop Header: Depth=2
	global_load_dword v20, v[8:9], off glc
	s_waitcnt vmcnt(0)
	v_and_b32_e32 v2, -2.0, v20
	v_cmp_ne_u32_e64 s[0:1], 0, v2
	s_or_b64 s[12:13], s[0:1], s[12:13]
	s_andn2_b64 exec, exec, s[12:13]
	s_cbranch_execnz .LBB62_118
	s_branch .LBB62_113
.LBB62_119:                             ;   in Loop: Header=BB62_115 Depth=1
                                        ; implicit-def: $sgpr16
	s_and_b64 s[8:9], exec, s[0:1]
	s_or_b64 s[4:5], s[8:9], s[4:5]
	s_andn2_b64 exec, exec, s[4:5]
	s_cbranch_execnz .LBB62_115
.LBB62_120:
	s_or_b64 exec, exec, s[4:5]
	v_add_u32_e32 v2, v15, v13
	v_or_b32_e32 v2, 0x80000000, v2
	global_store_dword v[4:5], v2, off
	v_lshlrev_b32_e32 v4, 3, v6
	global_load_dwordx2 v[2:3], v4, s[44:45]
	v_sub_co_u32_e64 v5, s[0:1], v15, v0
	v_subb_co_u32_e64 v8, s[0:1], 0, v1, s[0:1]
	v_mov_b32_e32 v7, 0
	s_waitcnt vmcnt(0)
	v_add_co_u32_e64 v2, s[0:1], v5, v2
	v_addc_co_u32_e64 v3, s[0:1], v8, v3, s[0:1]
	ds_write_b64 v4, v[2:3]
.LBB62_121:
	s_or_b64 exec, exec, s[2:3]
	v_lshlrev_b32_e32 v2, 1, v6
	s_waitcnt lgkmcnt(0)
	s_barrier
	ds_read_u16 v2, v2 offset:2048
	v_lshlrev_b32_e32 v15, 1, v6
	ds_read_u16 v20, v15 offset:4096
	ds_read_u16 v32, v15 offset:8192
	;; [unrolled: 1-line block ×3, first 2 shown]
	v_mov_b32_e32 v8, s39
	v_or_b32_e32 v37, 0x800, v15
	s_waitcnt lgkmcnt(3)
	v_lshrrev_b32_sdwa v3, s48, v2 dst_sel:DWORD dst_unused:UNUSED_PAD src0_sel:DWORD src1_sel:WORD_0
	v_and_b32_e32 v3, s14, v3
	v_xor_b32_e32 v21, 0x7fff, v2
	v_lshlrev_b32_e32 v34, 3, v3
	s_waitcnt lgkmcnt(2)
	v_lshrrev_b32_sdwa v2, s48, v20 dst_sel:DWORD dst_unused:UNUSED_PAD src0_sel:DWORD src1_sel:WORD_0
	v_and_b32_e32 v4, s14, v2
	ds_read_b64 v[2:3], v34
	v_lshlrev_b32_e32 v35, 3, v4
	ds_read_u16 v22, v15 offset:6144
	ds_read_b64 v[4:5], v35
	ds_read_u16 v36, v15 offset:10240
	s_waitcnt lgkmcnt(5)
	v_lshrrev_b32_sdwa v24, s48, v32 dst_sel:DWORD dst_unused:UNUSED_PAD src0_sel:DWORD src1_sel:WORD_0
	v_and_b32_e32 v24, s14, v24
	s_waitcnt lgkmcnt(3)
	v_lshlrev_b64 v[2:3], 1, v[2:3]
	v_add_co_u32_e64 v9, s[0:1], s38, v2
	v_addc_co_u32_e64 v23, s[0:1], v8, v3, s[0:1]
	v_lshlrev_b64 v[2:3], 1, v[6:7]
	v_add_co_u32_e64 v8, s[0:1], v9, v2
	v_addc_co_u32_e64 v9, s[0:1], v23, v3, s[0:1]
	s_waitcnt lgkmcnt(1)
	v_lshlrev_b64 v[4:5], 1, v[4:5]
	global_store_short v[8:9], v21, off
	v_mov_b32_e32 v9, s39
	v_add_co_u32_e64 v4, s[0:1], s38, v4
	v_addc_co_u32_e64 v5, s[0:1], v9, v5, s[0:1]
	v_add_co_u32_e64 v2, s[0:1], v4, v2
	v_addc_co_u32_e64 v3, s[0:1], v5, v3, s[0:1]
	s_lshl_b64 s[0:1], s[30:31], 3
	v_xor_b32_e32 v8, 0x7fff, v20
	s_add_u32 s0, s40, s0
	global_store_short v[2:3], v8, off offset:2048
	s_addc_u32 s1, s41, s1
	v_lshlrev_b32_e32 v2, 3, v11
	v_mov_b32_e32 v3, s1
	v_add_co_u32_e64 v2, s[0:1], s0, v2
	v_addc_co_u32_e64 v3, s[0:1], 0, v3, s[0:1]
	v_lshlrev_b32_e32 v4, 3, v10
	v_add_co_u32_e64 v2, s[0:1], v2, v4
	v_addc_co_u32_e64 v3, s[0:1], 0, v3, s[0:1]
	v_lshrrev_b32_sdwa v8, s48, v22 dst_sel:DWORD dst_unused:UNUSED_PAD src0_sel:DWORD src1_sel:WORD_0
	global_load_dwordx2 v[4:5], v[2:3], off
	v_and_b32_e32 v15, s14, v8
	global_load_dwordx2 v[8:9], v[2:3], off offset:512
	global_load_dwordx2 v[10:11], v[2:3], off offset:1024
	;; [unrolled: 1-line block ×3, first 2 shown]
	v_xor_b32_e32 v39, 0x7fff, v22
	global_load_dwordx2 v[22:23], v[2:3], off offset:2048
	v_lshlrev_b32_e32 v40, 3, v24
	global_load_dwordx2 v[2:3], v[2:3], off offset:2560
	s_waitcnt lgkmcnt(0)
	v_lshrrev_b32_sdwa v24, s48, v36 dst_sel:DWORD dst_unused:UNUSED_PAD src0_sel:DWORD src1_sel:WORD_0
	v_and_b32_e32 v24, s14, v24
	v_lshlrev_b32_e32 v15, 3, v15
	v_lshlrev_b32_e32 v41, 3, v24
	v_lshrrev_b32_sdwa v24, s48, v33 dst_sel:DWORD dst_unused:UNUSED_PAD src0_sel:DWORD src1_sel:WORD_0
	v_and_b32_e32 v26, s14, v24
	ds_read_b64 v[24:25], v15
	v_or_b32_e32 v38, 0x800, v6
	v_mov_b32_e32 v43, s39
	v_lshlrev_b32_e32 v42, 3, v26
	ds_read_b64 v[26:27], v40
	ds_read_b64 v[28:29], v41
	ds_read_b64 v[30:31], v42
	s_waitcnt lgkmcnt(3)
	v_lshlrev_b64 v[24:25], 1, v[24:25]
	v_add_co_u32_e64 v24, s[0:1], s38, v24
	v_addc_co_u32_e64 v25, s[0:1], v43, v25, s[0:1]
	v_lshlrev_b32_e32 v43, 1, v38
	v_add_co_u32_e64 v24, s[0:1], v24, v43
	v_addc_co_u32_e64 v25, s[0:1], 0, v25, s[0:1]
	global_store_short v[24:25], v39, off
	s_waitcnt lgkmcnt(2)
	v_lshlrev_b64 v[24:25], 1, v[26:27]
	v_or_b32_e32 v39, 0xc00, v6
	v_mov_b32_e32 v26, s39
	v_add_co_u32_e64 v24, s[0:1], s38, v24
	v_addc_co_u32_e64 v25, s[0:1], v26, v25, s[0:1]
	v_lshlrev_b32_e32 v26, 1, v39
	v_add_co_u32_e64 v24, s[0:1], v24, v26
	v_xor_b32_e32 v32, 0x7fff, v32
	v_addc_co_u32_e64 v25, s[0:1], 0, v25, s[0:1]
	global_store_short v[24:25], v32, off
	s_waitcnt lgkmcnt(1)
	v_lshlrev_b64 v[24:25], 1, v[28:29]
	v_or_b32_e32 v26, 0x1000, v6
	v_mov_b32_e32 v28, s39
	v_add_co_u32_e64 v24, s[0:1], s38, v24
	v_addc_co_u32_e64 v25, s[0:1], v28, v25, s[0:1]
	v_lshlrev_b32_e32 v28, 1, v26
	v_add_co_u32_e64 v24, s[0:1], v24, v28
	v_xor_b32_e32 v27, 0x7fff, v36
	;; [unrolled: 11-line block ×3, first 2 shown]
	v_addc_co_u32_e64 v25, s[0:1], 0, v25, s[0:1]
	v_lshlrev_b32_e32 v19, 3, v19
	global_store_short v[24:25], v28, off
	s_barrier
	s_add_i32 s7, s7, -1
	s_cmp_eq_u32 s6, s7
	s_waitcnt vmcnt(9)
	ds_write_b64 v19, v[4:5] offset:2048
	v_lshlrev_b32_e32 v4, 3, v18
	s_waitcnt vmcnt(8)
	ds_write_b64 v4, v[8:9] offset:2048
	v_lshlrev_b32_e32 v4, 3, v17
	;; [unrolled: 3-line block ×5, first 2 shown]
	s_waitcnt vmcnt(4)
	ds_write_b64 v4, v[2:3] offset:2048
	s_waitcnt lgkmcnt(0)
	s_barrier
	ds_read_b64 v[2:3], v34
	v_mov_b32_e32 v5, s43
	v_lshlrev_b32_e32 v4, 3, v6
	ds_read_b64 v[8:9], v35
	ds_read_b64 v[10:11], v15
	;; [unrolled: 1-line block ×3, first 2 shown]
	v_mov_b32_e32 v22, s43
	s_waitcnt lgkmcnt(3)
	v_lshlrev_b64 v[2:3], 3, v[2:3]
	v_add_co_u32_e64 v12, s[0:1], s42, v2
	v_addc_co_u32_e64 v5, s[0:1], v5, v3, s[0:1]
	v_lshlrev_b64 v[2:3], 3, v[6:7]
	v_add_co_u32_e64 v2, s[0:1], v12, v2
	v_addc_co_u32_e64 v3, s[0:1], v5, v3, s[0:1]
	ds_read_b64 v[4:5], v4 offset:2048
	v_mad_u32_u24 v12, v6, 6, v37
	s_waitcnt lgkmcnt(3)
	v_lshlrev_b64 v[8:9], 3, v[8:9]
	ds_read_b64 v[16:17], v41
	ds_read_b64 v[18:19], v12 offset:40960
	ds_read_b64 v[20:21], v42
	v_add_co_u32_e64 v8, s[0:1], s42, v8
	s_waitcnt lgkmcnt(3)
	global_store_dwordx2 v[2:3], v[4:5], off
	ds_read2st64_b64 v[2:5], v12 offset0:16 offset1:32
	v_addc_co_u32_e64 v9, s[0:1], v22, v9, s[0:1]
	v_mov_b32_e32 v22, 0x2000
	v_lshl_or_b32 v22, v6, 3, v22
	v_add_co_u32_e64 v8, s[0:1], v8, v22
	v_addc_co_u32_e64 v9, s[0:1], 0, v9, s[0:1]
	s_waitcnt lgkmcnt(0)
	global_store_dwordx2 v[8:9], v[2:3], off
	v_lshlrev_b64 v[2:3], 3, v[10:11]
	v_mov_b32_e32 v8, s43
	v_add_co_u32_e64 v2, s[0:1], s42, v2
	v_addc_co_u32_e64 v3, s[0:1], v8, v3, s[0:1]
	v_lshlrev_b32_e32 v8, 3, v38
	v_add_co_u32_e64 v2, s[0:1], v2, v8
	v_addc_co_u32_e64 v3, s[0:1], 0, v3, s[0:1]
	global_store_dwordx2 v[2:3], v[4:5], off
	ds_read2st64_b64 v[2:5], v12 offset0:48 offset1:64
	v_lshlrev_b64 v[8:9], 3, v[14:15]
	v_mov_b32_e32 v10, s43
	v_add_co_u32_e64 v8, s[0:1], s42, v8
	v_addc_co_u32_e64 v9, s[0:1], v10, v9, s[0:1]
	v_lshlrev_b32_e32 v10, 3, v39
	v_add_co_u32_e64 v8, s[0:1], v8, v10
	v_addc_co_u32_e64 v9, s[0:1], 0, v9, s[0:1]
	s_waitcnt lgkmcnt(0)
	global_store_dwordx2 v[8:9], v[2:3], off
	v_lshlrev_b64 v[2:3], 3, v[16:17]
	v_mov_b32_e32 v8, s43
	v_add_co_u32_e64 v2, s[0:1], s42, v2
	v_addc_co_u32_e64 v3, s[0:1], v8, v3, s[0:1]
	v_lshlrev_b32_e32 v8, 3, v26
	v_add_co_u32_e64 v2, s[0:1], v2, v8
	v_addc_co_u32_e64 v3, s[0:1], 0, v3, s[0:1]
	global_store_dwordx2 v[2:3], v[4:5], off
	v_lshlrev_b64 v[2:3], 3, v[20:21]
	v_mov_b32_e32 v4, s43
	v_add_co_u32_e64 v2, s[0:1], s42, v2
	v_addc_co_u32_e64 v3, s[0:1], v4, v3, s[0:1]
	v_lshlrev_b32_e32 v4, 3, v27
	v_add_co_u32_e64 v2, s[0:1], v2, v4
	v_addc_co_u32_e64 v3, s[0:1], 0, v3, s[0:1]
	s_cselect_b64 s[0:1], -1, 0
	s_and_b64 s[2:3], vcc, s[0:1]
	global_store_dwordx2 v[2:3], v[18:19], off
                                        ; implicit-def: $vgpr4_vgpr5
	s_and_saveexec_b64 s[0:1], s[2:3]
; %bb.122:
	v_add_co_u32_e32 v4, vcc, v0, v13
	v_addc_co_u32_e32 v5, vcc, 0, v1, vcc
	s_or_b64 s[10:11], s[10:11], exec
; %bb.123:
	s_or_b64 exec, exec, s[0:1]
.LBB62_124:
	s_and_saveexec_b64 s[0:1], s[10:11]
	s_cbranch_execnz .LBB62_126
; %bb.125:
	s_endpgm
.LBB62_126:
	v_lshlrev_b32_e32 v2, 3, v6
	ds_read_b64 v[2:3], v2
	v_lshlrev_b64 v[0:1], 3, v[6:7]
	v_mov_b32_e32 v6, s47
	v_add_co_u32_e32 v0, vcc, s46, v0
	v_addc_co_u32_e32 v1, vcc, v6, v1, vcc
	s_waitcnt lgkmcnt(0)
	v_add_co_u32_e32 v2, vcc, v2, v4
	v_addc_co_u32_e32 v3, vcc, v3, v5, vcc
	global_store_dwordx2 v[0:1], v[2:3], off
	s_endpgm
.LBB62_127:
	global_load_dwordx2 v[4:5], v[18:19], off
	s_or_b64 exec, exec, s[28:29]
                                        ; implicit-def: $vgpr8_vgpr9
	s_and_saveexec_b64 s[28:29], s[0:1]
	s_cbranch_execz .LBB62_59
.LBB62_128:
	global_load_dwordx2 v[8:9], v[18:19], off offset:512
	s_or_b64 exec, exec, s[28:29]
                                        ; implicit-def: $vgpr10_vgpr11
	s_and_saveexec_b64 s[0:1], s[2:3]
	s_cbranch_execz .LBB62_60
.LBB62_129:
	global_load_dwordx2 v[10:11], v[18:19], off offset:1024
	s_or_b64 exec, exec, s[0:1]
                                        ; implicit-def: $vgpr12_vgpr13
	s_and_saveexec_b64 s[0:1], s[26:27]
	s_cbranch_execz .LBB62_61
.LBB62_130:
	global_load_dwordx2 v[12:13], v[18:19], off offset:1536
	s_or_b64 exec, exec, s[0:1]
                                        ; implicit-def: $vgpr14_vgpr15
	s_and_saveexec_b64 s[0:1], s[8:9]
	s_cbranch_execz .LBB62_62
.LBB62_131:
	global_load_dwordx2 v[14:15], v[18:19], off offset:2048
	s_or_b64 exec, exec, s[0:1]
                                        ; implicit-def: $vgpr16_vgpr17
	s_and_saveexec_b64 s[0:1], s[10:11]
	s_cbranch_execnz .LBB62_63
	s_branch .LBB62_64
.LBB62_132:
	v_lshlrev_b32_e32 v5, 3, v35
	ds_read_b64 v[8:9], v5
	ds_read_b64 v[10:11], v4 offset:2048
	v_mov_b32_e32 v5, s43
	s_waitcnt lgkmcnt(1)
	v_lshlrev_b64 v[8:9], 3, v[8:9]
	v_add_co_u32_e32 v8, vcc, s42, v8
	v_addc_co_u32_e32 v5, vcc, v5, v9, vcc
	v_add_co_u32_e32 v8, vcc, v8, v4
	v_addc_co_u32_e32 v9, vcc, 0, v5, vcc
	s_waitcnt lgkmcnt(0)
	global_store_dwordx2 v[8:9], v[10:11], off
	s_or_b64 exec, exec, s[0:1]
	s_and_saveexec_b64 s[0:1], s[16:17]
	s_cbranch_execz .LBB62_78
.LBB62_133:
	v_lshlrev_b32_e32 v5, 3, v33
	ds_read_b64 v[8:9], v5
	ds_read_b64 v[10:11], v4 offset:10240
	v_mov_b32_e32 v5, s43
	s_waitcnt lgkmcnt(1)
	v_lshlrev_b64 v[8:9], 3, v[8:9]
	v_add_co_u32_e32 v8, vcc, s42, v8
	v_addc_co_u32_e32 v5, vcc, v5, v9, vcc
	v_lshlrev_b32_e32 v9, 3, v22
	v_add_co_u32_e32 v8, vcc, v8, v9
	v_addc_co_u32_e32 v9, vcc, 0, v5, vcc
	s_waitcnt lgkmcnt(0)
	global_store_dwordx2 v[8:9], v[10:11], off
	s_or_b64 exec, exec, s[0:1]
	s_and_saveexec_b64 s[0:1], s[18:19]
	s_cbranch_execz .LBB62_79
.LBB62_134:
	v_lshlrev_b32_e32 v5, 3, v34
	ds_read_b64 v[8:9], v5
	ds_read_b64 v[10:11], v4 offset:18432
	v_mov_b32_e32 v5, s43
	s_waitcnt lgkmcnt(1)
	v_lshlrev_b64 v[8:9], 3, v[8:9]
	v_add_co_u32_e32 v8, vcc, s42, v8
	v_addc_co_u32_e32 v5, vcc, v5, v9, vcc
	v_lshlrev_b32_e32 v9, 3, v28
	v_add_co_u32_e32 v8, vcc, v8, v9
	v_addc_co_u32_e32 v9, vcc, 0, v5, vcc
	s_waitcnt lgkmcnt(0)
	global_store_dwordx2 v[8:9], v[10:11], off
	s_or_b64 exec, exec, s[0:1]
	s_and_saveexec_b64 s[0:1], s[20:21]
	s_cbranch_execz .LBB62_80
.LBB62_135:
	v_lshlrev_b32_e32 v5, 3, v18
	ds_read_b64 v[8:9], v5
	ds_read_b64 v[10:11], v4 offset:26624
	v_mov_b32_e32 v5, s43
	s_waitcnt lgkmcnt(1)
	v_lshlrev_b64 v[8:9], 3, v[8:9]
	v_add_co_u32_e32 v8, vcc, s42, v8
	v_addc_co_u32_e32 v5, vcc, v5, v9, vcc
	v_lshlrev_b32_e32 v9, 3, v29
	v_add_co_u32_e32 v8, vcc, v8, v9
	v_addc_co_u32_e32 v9, vcc, 0, v5, vcc
	s_waitcnt lgkmcnt(0)
	global_store_dwordx2 v[8:9], v[10:11], off
	s_or_b64 exec, exec, s[0:1]
	s_and_saveexec_b64 s[0:1], s[22:23]
	s_cbranch_execz .LBB62_81
.LBB62_136:
	v_lshlrev_b32_e32 v5, 3, v19
	ds_read_b64 v[8:9], v5
	ds_read_b64 v[10:11], v4 offset:34816
	v_mov_b32_e32 v5, s43
	s_waitcnt lgkmcnt(1)
	v_lshlrev_b64 v[8:9], 3, v[8:9]
	v_add_co_u32_e32 v8, vcc, s42, v8
	v_addc_co_u32_e32 v5, vcc, v5, v9, vcc
	v_lshlrev_b32_e32 v9, 3, v30
	v_add_co_u32_e32 v8, vcc, v8, v9
	v_addc_co_u32_e32 v9, vcc, 0, v5, vcc
	s_waitcnt lgkmcnt(0)
	global_store_dwordx2 v[8:9], v[10:11], off
	s_or_b64 exec, exec, s[0:1]
	s_and_saveexec_b64 s[0:1], s[24:25]
	s_cbranch_execnz .LBB62_82
	s_branch .LBB62_83
	.section	.rodata,"a",@progbits
	.p2align	6, 0x0
	.amdhsa_kernel _ZN7rocprim17ROCPRIM_304000_NS6detail25onesweep_iteration_kernelINS1_34wrapped_radix_sort_onesweep_configINS0_14default_configEsN2at4cuda3cub6detail10OpaqueTypeILi8EEEEELb1EPKsPsPKSA_PSA_mNS0_19identity_decomposerEEEvT1_T2_T3_T4_jPT5_SO_PNS1_23onesweep_lookback_stateET6_jjj
		.amdhsa_group_segment_fixed_size 51200
		.amdhsa_private_segment_fixed_size 0
		.amdhsa_kernarg_size 336
		.amdhsa_user_sgpr_count 6
		.amdhsa_user_sgpr_private_segment_buffer 1
		.amdhsa_user_sgpr_dispatch_ptr 0
		.amdhsa_user_sgpr_queue_ptr 0
		.amdhsa_user_sgpr_kernarg_segment_ptr 1
		.amdhsa_user_sgpr_dispatch_id 0
		.amdhsa_user_sgpr_flat_scratch_init 0
		.amdhsa_user_sgpr_kernarg_preload_length 0
		.amdhsa_user_sgpr_kernarg_preload_offset 0
		.amdhsa_user_sgpr_private_segment_size 0
		.amdhsa_uses_dynamic_stack 0
		.amdhsa_system_sgpr_private_segment_wavefront_offset 0
		.amdhsa_system_sgpr_workgroup_id_x 1
		.amdhsa_system_sgpr_workgroup_id_y 0
		.amdhsa_system_sgpr_workgroup_id_z 0
		.amdhsa_system_sgpr_workgroup_info 0
		.amdhsa_system_vgpr_workitem_id 2
		.amdhsa_next_free_vgpr 44
		.amdhsa_next_free_sgpr 52
		.amdhsa_accum_offset 44
		.amdhsa_reserve_vcc 1
		.amdhsa_reserve_flat_scratch 0
		.amdhsa_float_round_mode_32 0
		.amdhsa_float_round_mode_16_64 0
		.amdhsa_float_denorm_mode_32 3
		.amdhsa_float_denorm_mode_16_64 3
		.amdhsa_dx10_clamp 1
		.amdhsa_ieee_mode 1
		.amdhsa_fp16_overflow 0
		.amdhsa_tg_split 0
		.amdhsa_exception_fp_ieee_invalid_op 0
		.amdhsa_exception_fp_denorm_src 0
		.amdhsa_exception_fp_ieee_div_zero 0
		.amdhsa_exception_fp_ieee_overflow 0
		.amdhsa_exception_fp_ieee_underflow 0
		.amdhsa_exception_fp_ieee_inexact 0
		.amdhsa_exception_int_div_zero 0
	.end_amdhsa_kernel
	.section	.text._ZN7rocprim17ROCPRIM_304000_NS6detail25onesweep_iteration_kernelINS1_34wrapped_radix_sort_onesweep_configINS0_14default_configEsN2at4cuda3cub6detail10OpaqueTypeILi8EEEEELb1EPKsPsPKSA_PSA_mNS0_19identity_decomposerEEEvT1_T2_T3_T4_jPT5_SO_PNS1_23onesweep_lookback_stateET6_jjj,"axG",@progbits,_ZN7rocprim17ROCPRIM_304000_NS6detail25onesweep_iteration_kernelINS1_34wrapped_radix_sort_onesweep_configINS0_14default_configEsN2at4cuda3cub6detail10OpaqueTypeILi8EEEEELb1EPKsPsPKSA_PSA_mNS0_19identity_decomposerEEEvT1_T2_T3_T4_jPT5_SO_PNS1_23onesweep_lookback_stateET6_jjj,comdat
.Lfunc_end62:
	.size	_ZN7rocprim17ROCPRIM_304000_NS6detail25onesweep_iteration_kernelINS1_34wrapped_radix_sort_onesweep_configINS0_14default_configEsN2at4cuda3cub6detail10OpaqueTypeILi8EEEEELb1EPKsPsPKSA_PSA_mNS0_19identity_decomposerEEEvT1_T2_T3_T4_jPT5_SO_PNS1_23onesweep_lookback_stateET6_jjj, .Lfunc_end62-_ZN7rocprim17ROCPRIM_304000_NS6detail25onesweep_iteration_kernelINS1_34wrapped_radix_sort_onesweep_configINS0_14default_configEsN2at4cuda3cub6detail10OpaqueTypeILi8EEEEELb1EPKsPsPKSA_PSA_mNS0_19identity_decomposerEEEvT1_T2_T3_T4_jPT5_SO_PNS1_23onesweep_lookback_stateET6_jjj
                                        ; -- End function
	.section	.AMDGPU.csdata,"",@progbits
; Kernel info:
; codeLenInByte = 11612
; NumSgprs: 56
; NumVgprs: 44
; NumAgprs: 0
; TotalNumVgprs: 44
; ScratchSize: 0
; MemoryBound: 0
; FloatMode: 240
; IeeeMode: 1
; LDSByteSize: 51200 bytes/workgroup (compile time only)
; SGPRBlocks: 6
; VGPRBlocks: 5
; NumSGPRsForWavesPerEU: 56
; NumVGPRsForWavesPerEU: 44
; AccumOffset: 44
; Occupancy: 4
; WaveLimiterHint : 1
; COMPUTE_PGM_RSRC2:SCRATCH_EN: 0
; COMPUTE_PGM_RSRC2:USER_SGPR: 6
; COMPUTE_PGM_RSRC2:TRAP_HANDLER: 0
; COMPUTE_PGM_RSRC2:TGID_X_EN: 1
; COMPUTE_PGM_RSRC2:TGID_Y_EN: 0
; COMPUTE_PGM_RSRC2:TGID_Z_EN: 0
; COMPUTE_PGM_RSRC2:TIDIG_COMP_CNT: 2
; COMPUTE_PGM_RSRC3_GFX90A:ACCUM_OFFSET: 10
; COMPUTE_PGM_RSRC3_GFX90A:TG_SPLIT: 0
	.section	.text._ZN7rocprim17ROCPRIM_304000_NS6detail25onesweep_iteration_kernelINS1_34wrapped_radix_sort_onesweep_configINS0_14default_configEsN2at4cuda3cub6detail10OpaqueTypeILi8EEEEELb1EPsSC_PSA_SD_mNS0_19identity_decomposerEEEvT1_T2_T3_T4_jPT5_SK_PNS1_23onesweep_lookback_stateET6_jjj,"axG",@progbits,_ZN7rocprim17ROCPRIM_304000_NS6detail25onesweep_iteration_kernelINS1_34wrapped_radix_sort_onesweep_configINS0_14default_configEsN2at4cuda3cub6detail10OpaqueTypeILi8EEEEELb1EPsSC_PSA_SD_mNS0_19identity_decomposerEEEvT1_T2_T3_T4_jPT5_SK_PNS1_23onesweep_lookback_stateET6_jjj,comdat
	.protected	_ZN7rocprim17ROCPRIM_304000_NS6detail25onesweep_iteration_kernelINS1_34wrapped_radix_sort_onesweep_configINS0_14default_configEsN2at4cuda3cub6detail10OpaqueTypeILi8EEEEELb1EPsSC_PSA_SD_mNS0_19identity_decomposerEEEvT1_T2_T3_T4_jPT5_SK_PNS1_23onesweep_lookback_stateET6_jjj ; -- Begin function _ZN7rocprim17ROCPRIM_304000_NS6detail25onesweep_iteration_kernelINS1_34wrapped_radix_sort_onesweep_configINS0_14default_configEsN2at4cuda3cub6detail10OpaqueTypeILi8EEEEELb1EPsSC_PSA_SD_mNS0_19identity_decomposerEEEvT1_T2_T3_T4_jPT5_SK_PNS1_23onesweep_lookback_stateET6_jjj
	.globl	_ZN7rocprim17ROCPRIM_304000_NS6detail25onesweep_iteration_kernelINS1_34wrapped_radix_sort_onesweep_configINS0_14default_configEsN2at4cuda3cub6detail10OpaqueTypeILi8EEEEELb1EPsSC_PSA_SD_mNS0_19identity_decomposerEEEvT1_T2_T3_T4_jPT5_SK_PNS1_23onesweep_lookback_stateET6_jjj
	.p2align	8
	.type	_ZN7rocprim17ROCPRIM_304000_NS6detail25onesweep_iteration_kernelINS1_34wrapped_radix_sort_onesweep_configINS0_14default_configEsN2at4cuda3cub6detail10OpaqueTypeILi8EEEEELb1EPsSC_PSA_SD_mNS0_19identity_decomposerEEEvT1_T2_T3_T4_jPT5_SK_PNS1_23onesweep_lookback_stateET6_jjj,@function
_ZN7rocprim17ROCPRIM_304000_NS6detail25onesweep_iteration_kernelINS1_34wrapped_radix_sort_onesweep_configINS0_14default_configEsN2at4cuda3cub6detail10OpaqueTypeILi8EEEEELb1EPsSC_PSA_SD_mNS0_19identity_decomposerEEEvT1_T2_T3_T4_jPT5_SK_PNS1_23onesweep_lookback_stateET6_jjj: ; @_ZN7rocprim17ROCPRIM_304000_NS6detail25onesweep_iteration_kernelINS1_34wrapped_radix_sort_onesweep_configINS0_14default_configEsN2at4cuda3cub6detail10OpaqueTypeILi8EEEEELb1EPsSC_PSA_SD_mNS0_19identity_decomposerEEEvT1_T2_T3_T4_jPT5_SK_PNS1_23onesweep_lookback_stateET6_jjj
; %bb.0:
	s_load_dwordx4 s[48:51], s[4:5], 0x44
	s_load_dwordx8 s[36:43], s[4:5], 0x0
	s_load_dwordx4 s[44:47], s[4:5], 0x28
	s_load_dwordx2 s[34:35], s[4:5], 0x38
	s_mul_i32 s30, s6, 0x1800
	s_waitcnt lgkmcnt(0)
	s_cmp_ge_u32 s6, s50
	v_mbcnt_lo_u32_b32 v1, -1, 0
	s_cbranch_scc0 .LBB63_86
; %bb.1:
	s_load_dword s2, s[4:5], 0x20
	s_mulk_i32 s50, 0xe800
	s_mov_b32 s31, 0
	v_and_b32_e32 v6, 0x3ff, v0
	s_lshl_b64 s[0:1], s[30:31], 1
	s_waitcnt lgkmcnt(0)
	s_add_i32 s50, s50, s2
	s_add_u32 s0, s36, s0
	v_mbcnt_hi_u32_b32 v12, -1, v1
	v_and_b32_e32 v2, 0x3c0, v6
	s_addc_u32 s1, s37, s1
	v_mul_u32_u24_e32 v7, 6, v2
	v_lshlrev_b32_e32 v2, 1, v12
	v_mov_b32_e32 v3, s1
	v_add_co_u32_e32 v2, vcc, s0, v2
	v_addc_co_u32_e32 v3, vcc, 0, v3, vcc
	v_lshlrev_b32_e32 v4, 1, v7
	s_mov_b32 s0, 0x80008000
	v_add_co_u32_e32 v8, vcc, v2, v4
	s_mov_b32 s2, s0
	v_addc_co_u32_e32 v9, vcc, 0, v3, vcc
	v_or_b32_e32 v10, v12, v7
	s_mov_b32 s1, s0
	v_pk_mov_b32 v[4:5], s[2:3], s[2:3] op_sel:[0,1]
	v_cmp_gt_u32_e32 vcc, s50, v10
	v_pk_mov_b32 v[2:3], s[0:1], s[0:1] op_sel:[0,1]
	s_and_saveexec_b64 s[0:1], vcc
	s_cbranch_execz .LBB63_3
; %bb.2:
	global_load_ushort v2, v[8:9], off
	s_movk_i32 s2, 0x8000
	v_mov_b32_e32 v4, 0x5040100
	v_mov_b32_e32 v3, 0x80008000
	s_waitcnt vmcnt(0)
	v_perm_b32 v2, s2, v2, v4
	v_mov_b32_e32 v4, v3
.LBB63_3:
	s_or_b64 exec, exec, s[0:1]
	v_add_u32_e32 v5, 64, v10
	v_cmp_gt_u32_e64 s[0:1], s50, v5
	s_and_saveexec_b64 s[2:3], s[0:1]
	s_cbranch_execz .LBB63_5
; %bb.4:
	global_load_ushort v5, v[8:9], off offset:128
	s_mov_b32 s7, 0x5040100
	s_waitcnt vmcnt(0)
	v_perm_b32 v2, v5, v2, s7
.LBB63_5:
	s_or_b64 exec, exec, s[2:3]
	v_add_u32_e32 v5, 0x80, v10
	v_cmp_gt_u32_e64 s[2:3], s50, v5
	s_and_saveexec_b64 s[8:9], s[2:3]
	s_cbranch_execz .LBB63_7
; %bb.6:
	global_load_ushort v5, v[8:9], off offset:256
	s_mov_b32 s7, 0xffff
	s_waitcnt vmcnt(0)
	v_bfi_b32 v3, s7, v5, v3
.LBB63_7:
	s_or_b64 exec, exec, s[8:9]
	v_add_u32_e32 v5, 0xc0, v10
	v_cmp_gt_u32_e64 s[26:27], s50, v5
	s_and_saveexec_b64 s[8:9], s[26:27]
	s_cbranch_execz .LBB63_9
; %bb.8:
	global_load_ushort v5, v[8:9], off offset:384
	s_mov_b32 s7, 0x5040100
	s_waitcnt vmcnt(0)
	v_perm_b32 v3, v5, v3, s7
.LBB63_9:
	s_or_b64 exec, exec, s[8:9]
	v_add_u32_e32 v5, 0x100, v10
	v_cmp_gt_u32_e64 s[8:9], s50, v5
	s_and_saveexec_b64 s[10:11], s[8:9]
	s_cbranch_execz .LBB63_11
; %bb.10:
	global_load_ushort v5, v[8:9], off offset:512
	s_mov_b32 s7, 0xffff
	s_waitcnt vmcnt(0)
	v_bfi_b32 v4, s7, v5, v4
.LBB63_11:
	s_or_b64 exec, exec, s[10:11]
	v_add_u32_e32 v5, 0x140, v10
	v_cmp_gt_u32_e64 s[10:11], s50, v5
	s_and_saveexec_b64 s[12:13], s[10:11]
	s_cbranch_execz .LBB63_13
; %bb.12:
	global_load_ushort v5, v[8:9], off offset:640
	s_mov_b32 s7, 0x5040100
	s_waitcnt vmcnt(0)
	v_perm_b32 v4, v5, v4, s7
.LBB63_13:
	s_or_b64 exec, exec, s[12:13]
	s_load_dword s12, s[4:5], 0x5c
	s_load_dword s7, s[4:5], 0x50
	s_add_u32 s13, s4, 0x50
	s_addc_u32 s14, s5, 0
	v_mov_b32_e32 v8, 0
	s_waitcnt lgkmcnt(0)
	s_lshr_b32 s15, s12, 16
	s_cmp_lt_u32 s6, s7
	s_cselect_b32 s12, 12, 18
	s_add_u32 s12, s13, s12
	s_addc_u32 s13, s14, 0
	global_load_ushort v5, v8, s[12:13]
	v_xor_b32_e32 v13, 0x7fff, v2
	v_mul_u32_u24_e32 v11, 5, v6
	s_lshl_b32 s12, -1, s49
	v_lshlrev_b32_e32 v14, 2, v11
	v_lshrrev_b32_sdwa v11, s48, v13 dst_sel:DWORD dst_unused:UNUSED_PAD src0_sel:DWORD src1_sel:WORD_0
	s_not_b32 s33, s12
	v_and_b32_e32 v11, s33, v11
	v_and_b32_e32 v16, 1, v11
	v_bfe_u32 v9, v0, 10, 10
	v_bfe_u32 v10, v0, 20, 10
	v_add_co_u32_e64 v17, s[12:13], -1, v16
	v_mad_u32_u24 v10, v10, s15, v9
	v_lshlrev_b32_e32 v9, 30, v11
	v_addc_co_u32_e64 v18, s[12:13], 0, -1, s[12:13]
	v_cmp_ne_u32_e64 s[12:13], 0, v16
	v_cmp_gt_i64_e64 s[14:15], 0, v[8:9]
	v_not_b32_e32 v16, v9
	v_lshlrev_b32_e32 v9, 29, v11
	v_xor_b32_e32 v18, s13, v18
	v_xor_b32_e32 v17, s12, v17
	v_ashrrev_i32_e32 v16, 31, v16
	v_cmp_gt_i64_e64 s[12:13], 0, v[8:9]
	v_not_b32_e32 v19, v9
	v_lshlrev_b32_e32 v9, 28, v11
	v_and_b32_e32 v18, exec_hi, v18
	v_and_b32_e32 v17, exec_lo, v17
	v_xor_b32_e32 v20, s15, v16
	v_xor_b32_e32 v16, s14, v16
	v_ashrrev_i32_e32 v19, 31, v19
	v_cmp_gt_i64_e64 s[14:15], 0, v[8:9]
	v_not_b32_e32 v21, v9
	v_lshlrev_b32_e32 v9, 27, v11
	v_and_b32_e32 v18, v18, v20
	v_and_b32_e32 v16, v17, v16
	v_xor_b32_e32 v17, s13, v19
	v_xor_b32_e32 v19, s12, v19
	v_ashrrev_i32_e32 v20, 31, v21
	v_cmp_gt_i64_e64 s[12:13], 0, v[8:9]
	v_not_b32_e32 v21, v9
	v_lshlrev_b32_e32 v9, 26, v11
	v_and_b32_e32 v17, v18, v17
	v_and_b32_e32 v16, v16, v19
	;; [unrolled: 8-line block ×3, first 2 shown]
	v_xor_b32_e32 v18, s13, v20
	v_xor_b32_e32 v19, s12, v20
	v_ashrrev_i32_e32 v20, 31, v21
	v_not_b32_e32 v21, v9
	v_mul_u32_u24_e32 v15, 17, v11
	v_cmp_gt_i64_e64 s[12:13], 0, v[8:9]
	v_lshlrev_b32_e32 v9, 24, v11
	v_and_b32_e32 v11, v17, v18
	v_and_b32_e32 v16, v16, v19
	v_xor_b32_e32 v17, s15, v20
	v_ashrrev_i32_e32 v19, 31, v21
	v_xor_b32_e32 v18, s14, v20
	v_cmp_gt_i64_e64 s[14:15], 0, v[8:9]
	v_and_b32_e32 v11, v11, v17
	v_xor_b32_e32 v17, s13, v19
	v_not_b32_e32 v9, v9
	v_and_b32_e32 v16, v16, v18
	v_xor_b32_e32 v18, s12, v19
	v_and_b32_e32 v17, v11, v17
	v_ashrrev_i32_e32 v9, 31, v9
	v_and_b32_e32 v16, v16, v18
	s_movk_i32 s16, 0x7fff
	ds_write2_b32 v14, v8, v8 offset0:16 offset1:17
	ds_write2_b32 v14, v8, v8 offset0:18 offset1:19
	ds_write_b32 v14, v8 offset:80
	s_waitcnt lgkmcnt(0)
	s_barrier
	s_waitcnt vmcnt(0)
	v_mad_u64_u32 v[10:11], s[12:13], v10, v5, v[6:7]
	v_lshrrev_b32_e32 v5, 6, v10
	v_xor_b32_e32 v10, s15, v9
	v_xor_b32_e32 v9, s14, v9
	v_and_b32_e32 v11, v17, v10
	v_and_b32_e32 v10, v16, v9
	v_mbcnt_lo_u32_b32 v9, v10, 0
	v_add_lshl_u32 v18, v5, v15, 2
	v_mbcnt_hi_u32_b32 v15, v11, v9
	v_cmp_eq_u32_e64 s[12:13], 0, v15
	v_cmp_ne_u64_e64 s[14:15], 0, v[10:11]
	s_and_b64 s[14:15], s[14:15], s[12:13]
	; wave barrier
	s_and_saveexec_b64 s[12:13], s[14:15]
	s_cbranch_execz .LBB63_15
; %bb.14:
	v_bcnt_u32_b32 v9, v10, 0
	v_bcnt_u32_b32 v9, v11, v9
	ds_write_b32 v18, v9 offset:64
.LBB63_15:
	s_or_b64 exec, exec, s[12:13]
	v_xor_b32_sdwa v16, v2, s16 dst_sel:DWORD dst_unused:UNUSED_PAD src0_sel:WORD_1 src1_sel:DWORD
	v_lshrrev_b32_sdwa v2, s48, v16 dst_sel:DWORD dst_unused:UNUSED_PAD src0_sel:DWORD src1_sel:WORD_0
	v_and_b32_e32 v2, s33, v2
	v_mul_u32_u24_e32 v9, 17, v2
	v_add_lshl_u32 v19, v5, v9, 2
	v_and_b32_e32 v9, 1, v2
	v_add_co_u32_e64 v10, s[12:13], -1, v9
	v_addc_co_u32_e64 v11, s[12:13], 0, -1, s[12:13]
	v_cmp_ne_u32_e64 s[12:13], 0, v9
	v_xor_b32_e32 v9, s13, v11
	v_and_b32_e32 v11, exec_hi, v9
	v_lshlrev_b32_e32 v9, 30, v2
	v_xor_b32_e32 v10, s12, v10
	v_cmp_gt_i64_e64 s[12:13], 0, v[8:9]
	v_not_b32_e32 v9, v9
	v_ashrrev_i32_e32 v9, 31, v9
	v_and_b32_e32 v10, exec_lo, v10
	v_xor_b32_e32 v20, s13, v9
	v_xor_b32_e32 v9, s12, v9
	v_and_b32_e32 v10, v10, v9
	v_lshlrev_b32_e32 v9, 29, v2
	v_cmp_gt_i64_e64 s[12:13], 0, v[8:9]
	v_not_b32_e32 v9, v9
	v_ashrrev_i32_e32 v9, 31, v9
	v_and_b32_e32 v11, v11, v20
	v_xor_b32_e32 v20, s13, v9
	v_xor_b32_e32 v9, s12, v9
	v_and_b32_e32 v10, v10, v9
	v_lshlrev_b32_e32 v9, 28, v2
	v_cmp_gt_i64_e64 s[12:13], 0, v[8:9]
	v_not_b32_e32 v9, v9
	v_ashrrev_i32_e32 v9, 31, v9
	v_and_b32_e32 v11, v11, v20
	;; [unrolled: 8-line block ×5, first 2 shown]
	v_xor_b32_e32 v20, s13, v9
	v_xor_b32_e32 v9, s12, v9
	v_and_b32_e32 v10, v10, v9
	v_lshlrev_b32_e32 v9, 24, v2
	v_not_b32_e32 v2, v9
	v_cmp_gt_i64_e64 s[12:13], 0, v[8:9]
	v_ashrrev_i32_e32 v2, 31, v2
	v_and_b32_e32 v11, v11, v20
	v_xor_b32_e32 v8, s13, v2
	v_xor_b32_e32 v2, s12, v2
	; wave barrier
	ds_read_b32 v17, v19 offset:64
	v_and_b32_e32 v9, v11, v8
	v_and_b32_e32 v8, v10, v2
	v_mbcnt_lo_u32_b32 v2, v8, 0
	v_mbcnt_hi_u32_b32 v21, v9, v2
	v_cmp_eq_u32_e64 s[12:13], 0, v21
	v_cmp_ne_u64_e64 s[14:15], 0, v[8:9]
	s_and_b64 s[14:15], s[14:15], s[12:13]
	; wave barrier
	s_and_saveexec_b64 s[12:13], s[14:15]
	s_cbranch_execz .LBB63_17
; %bb.16:
	v_bcnt_u32_b32 v2, v8, 0
	v_bcnt_u32_b32 v2, v9, v2
	s_waitcnt lgkmcnt(0)
	v_add_u32_e32 v2, v17, v2
	ds_write_b32 v19, v2 offset:64
.LBB63_17:
	s_or_b64 exec, exec, s[12:13]
	v_xor_b32_e32 v22, 0x7fff, v3
	v_lshrrev_b32_sdwa v2, s48, v22 dst_sel:DWORD dst_unused:UNUSED_PAD src0_sel:DWORD src1_sel:WORD_0
	v_and_b32_e32 v2, s33, v2
	v_and_b32_e32 v9, 1, v2
	v_add_co_u32_e64 v10, s[12:13], -1, v9
	v_addc_co_u32_e64 v11, s[12:13], 0, -1, s[12:13]
	v_cmp_ne_u32_e64 s[12:13], 0, v9
	v_mul_u32_u24_e32 v8, 17, v2
	v_xor_b32_e32 v9, s13, v11
	v_add_lshl_u32 v20, v5, v8, 2
	v_mov_b32_e32 v8, 0
	v_and_b32_e32 v11, exec_hi, v9
	v_lshlrev_b32_e32 v9, 30, v2
	v_xor_b32_e32 v10, s12, v10
	v_cmp_gt_i64_e64 s[12:13], 0, v[8:9]
	v_not_b32_e32 v9, v9
	v_ashrrev_i32_e32 v9, 31, v9
	v_and_b32_e32 v10, exec_lo, v10
	v_xor_b32_e32 v24, s13, v9
	v_xor_b32_e32 v9, s12, v9
	v_and_b32_e32 v10, v10, v9
	v_lshlrev_b32_e32 v9, 29, v2
	v_cmp_gt_i64_e64 s[12:13], 0, v[8:9]
	v_not_b32_e32 v9, v9
	v_ashrrev_i32_e32 v9, 31, v9
	v_and_b32_e32 v11, v11, v24
	v_xor_b32_e32 v24, s13, v9
	v_xor_b32_e32 v9, s12, v9
	v_and_b32_e32 v10, v10, v9
	v_lshlrev_b32_e32 v9, 28, v2
	v_cmp_gt_i64_e64 s[12:13], 0, v[8:9]
	v_not_b32_e32 v9, v9
	v_ashrrev_i32_e32 v9, 31, v9
	v_and_b32_e32 v11, v11, v24
	;; [unrolled: 8-line block ×5, first 2 shown]
	v_xor_b32_e32 v24, s13, v9
	v_xor_b32_e32 v9, s12, v9
	v_and_b32_e32 v10, v10, v9
	v_lshlrev_b32_e32 v9, 24, v2
	v_not_b32_e32 v2, v9
	v_cmp_gt_i64_e64 s[12:13], 0, v[8:9]
	v_ashrrev_i32_e32 v2, 31, v2
	v_xor_b32_e32 v9, s13, v2
	v_xor_b32_e32 v2, s12, v2
	; wave barrier
	ds_read_b32 v23, v20 offset:64
	v_and_b32_e32 v11, v11, v24
	v_and_b32_e32 v10, v10, v2
	;; [unrolled: 1-line block ×3, first 2 shown]
	v_mbcnt_lo_u32_b32 v2, v10, 0
	v_mbcnt_hi_u32_b32 v24, v11, v2
	v_cmp_eq_u32_e64 s[12:13], 0, v24
	v_cmp_ne_u64_e64 s[14:15], 0, v[10:11]
	s_and_b64 s[14:15], s[14:15], s[12:13]
	; wave barrier
	s_and_saveexec_b64 s[12:13], s[14:15]
	s_cbranch_execz .LBB63_19
; %bb.18:
	v_bcnt_u32_b32 v2, v10, 0
	v_bcnt_u32_b32 v2, v11, v2
	s_waitcnt lgkmcnt(0)
	v_add_u32_e32 v2, v23, v2
	ds_write_b32 v20, v2 offset:64
.LBB63_19:
	s_or_b64 exec, exec, s[12:13]
	v_xor_b32_sdwa v10, v3, s16 dst_sel:DWORD dst_unused:UNUSED_PAD src0_sel:WORD_1 src1_sel:DWORD
	v_lshrrev_b32_sdwa v2, s48, v10 dst_sel:DWORD dst_unused:UNUSED_PAD src0_sel:DWORD src1_sel:WORD_0
	v_and_b32_e32 v2, s33, v2
	v_mul_u32_u24_e32 v3, 17, v2
	v_add_lshl_u32 v25, v5, v3, 2
	v_and_b32_e32 v3, 1, v2
	v_add_co_u32_e64 v9, s[12:13], -1, v3
	v_addc_co_u32_e64 v26, s[12:13], 0, -1, s[12:13]
	v_cmp_ne_u32_e64 s[12:13], 0, v3
	v_xor_b32_e32 v9, s12, v9
	v_xor_b32_e32 v3, s13, v26
	v_and_b32_e32 v26, exec_lo, v9
	v_lshlrev_b32_e32 v9, 30, v2
	v_cmp_gt_i64_e64 s[12:13], 0, v[8:9]
	v_not_b32_e32 v9, v9
	v_ashrrev_i32_e32 v9, 31, v9
	v_xor_b32_e32 v27, s13, v9
	v_xor_b32_e32 v9, s12, v9
	v_and_b32_e32 v26, v26, v9
	v_lshlrev_b32_e32 v9, 29, v2
	v_cmp_gt_i64_e64 s[12:13], 0, v[8:9]
	v_not_b32_e32 v9, v9
	v_and_b32_e32 v3, exec_hi, v3
	v_ashrrev_i32_e32 v9, 31, v9
	v_and_b32_e32 v3, v3, v27
	v_xor_b32_e32 v27, s13, v9
	v_xor_b32_e32 v9, s12, v9
	v_and_b32_e32 v26, v26, v9
	v_lshlrev_b32_e32 v9, 28, v2
	v_cmp_gt_i64_e64 s[12:13], 0, v[8:9]
	v_not_b32_e32 v9, v9
	v_ashrrev_i32_e32 v9, 31, v9
	v_and_b32_e32 v3, v3, v27
	v_xor_b32_e32 v27, s13, v9
	v_xor_b32_e32 v9, s12, v9
	v_and_b32_e32 v26, v26, v9
	v_lshlrev_b32_e32 v9, 27, v2
	v_cmp_gt_i64_e64 s[12:13], 0, v[8:9]
	v_not_b32_e32 v9, v9
	;; [unrolled: 8-line block ×4, first 2 shown]
	v_ashrrev_i32_e32 v9, 31, v9
	v_and_b32_e32 v3, v3, v27
	v_xor_b32_e32 v27, s13, v9
	v_xor_b32_e32 v9, s12, v9
	v_and_b32_e32 v26, v26, v9
	v_lshlrev_b32_e32 v9, 24, v2
	v_not_b32_e32 v2, v9
	v_cmp_gt_i64_e64 s[12:13], 0, v[8:9]
	v_ashrrev_i32_e32 v2, 31, v2
	v_xor_b32_e32 v8, s13, v2
	v_xor_b32_e32 v2, s12, v2
	; wave barrier
	ds_read_b32 v11, v25 offset:64
	v_and_b32_e32 v3, v3, v27
	v_and_b32_e32 v2, v26, v2
	v_and_b32_e32 v3, v3, v8
	v_mbcnt_lo_u32_b32 v8, v2, 0
	v_mbcnt_hi_u32_b32 v28, v3, v8
	v_cmp_eq_u32_e64 s[12:13], 0, v28
	v_cmp_ne_u64_e64 s[14:15], 0, v[2:3]
	s_and_b64 s[14:15], s[14:15], s[12:13]
	; wave barrier
	s_and_saveexec_b64 s[12:13], s[14:15]
	s_cbranch_execz .LBB63_21
; %bb.20:
	v_bcnt_u32_b32 v2, v2, 0
	v_bcnt_u32_b32 v2, v3, v2
	s_waitcnt lgkmcnt(0)
	v_add_u32_e32 v2, v11, v2
	ds_write_b32 v25, v2 offset:64
.LBB63_21:
	s_or_b64 exec, exec, s[12:13]
	v_xor_b32_e32 v29, 0x7fff, v4
	v_lshrrev_b32_sdwa v2, s48, v29 dst_sel:DWORD dst_unused:UNUSED_PAD src0_sel:DWORD src1_sel:WORD_0
	v_and_b32_e32 v8, s33, v2
	v_and_b32_e32 v3, 1, v8
	v_add_co_u32_e64 v9, s[12:13], -1, v3
	v_addc_co_u32_e64 v27, s[12:13], 0, -1, s[12:13]
	v_cmp_ne_u32_e64 s[12:13], 0, v3
	v_mul_u32_u24_e32 v2, 17, v8
	v_xor_b32_e32 v3, s13, v27
	v_add_lshl_u32 v26, v5, v2, 2
	v_mov_b32_e32 v2, 0
	v_and_b32_e32 v27, exec_hi, v3
	v_lshlrev_b32_e32 v3, 30, v8
	v_xor_b32_e32 v9, s12, v9
	v_cmp_gt_i64_e64 s[12:13], 0, v[2:3]
	v_not_b32_e32 v3, v3
	v_ashrrev_i32_e32 v3, 31, v3
	v_and_b32_e32 v9, exec_lo, v9
	v_xor_b32_e32 v31, s13, v3
	v_xor_b32_e32 v3, s12, v3
	v_and_b32_e32 v9, v9, v3
	v_lshlrev_b32_e32 v3, 29, v8
	v_cmp_gt_i64_e64 s[12:13], 0, v[2:3]
	v_not_b32_e32 v3, v3
	v_ashrrev_i32_e32 v3, 31, v3
	v_and_b32_e32 v27, v27, v31
	v_xor_b32_e32 v31, s13, v3
	v_xor_b32_e32 v3, s12, v3
	v_and_b32_e32 v9, v9, v3
	v_lshlrev_b32_e32 v3, 28, v8
	v_cmp_gt_i64_e64 s[12:13], 0, v[2:3]
	v_not_b32_e32 v3, v3
	v_ashrrev_i32_e32 v3, 31, v3
	v_and_b32_e32 v27, v27, v31
	;; [unrolled: 8-line block ×5, first 2 shown]
	v_xor_b32_e32 v31, s13, v3
	v_xor_b32_e32 v3, s12, v3
	v_and_b32_e32 v27, v27, v31
	v_and_b32_e32 v31, v9, v3
	v_lshlrev_b32_e32 v3, 24, v8
	v_cmp_gt_i64_e64 s[12:13], 0, v[2:3]
	v_not_b32_e32 v3, v3
	v_ashrrev_i32_e32 v3, 31, v3
	v_xor_b32_e32 v8, s13, v3
	v_xor_b32_e32 v3, s12, v3
	; wave barrier
	ds_read_b32 v30, v26 offset:64
	v_and_b32_e32 v9, v27, v8
	v_and_b32_e32 v8, v31, v3
	v_mbcnt_lo_u32_b32 v3, v8, 0
	v_mbcnt_hi_u32_b32 v31, v9, v3
	v_cmp_eq_u32_e64 s[12:13], 0, v31
	v_cmp_ne_u64_e64 s[14:15], 0, v[8:9]
	s_and_b64 s[14:15], s[14:15], s[12:13]
	; wave barrier
	s_and_saveexec_b64 s[12:13], s[14:15]
	s_cbranch_execz .LBB63_23
; %bb.22:
	v_bcnt_u32_b32 v3, v8, 0
	v_bcnt_u32_b32 v3, v9, v3
	s_waitcnt lgkmcnt(0)
	v_add_u32_e32 v3, v30, v3
	ds_write_b32 v26, v3 offset:64
.LBB63_23:
	s_or_b64 exec, exec, s[12:13]
	v_xor_b32_sdwa v8, v4, s16 dst_sel:DWORD dst_unused:UNUSED_PAD src0_sel:WORD_1 src1_sel:DWORD
	v_lshrrev_b32_sdwa v3, s48, v8 dst_sel:DWORD dst_unused:UNUSED_PAD src0_sel:DWORD src1_sel:WORD_0
	v_and_b32_e32 v4, s33, v3
	v_mul_u32_u24_e32 v3, 17, v4
	v_add_lshl_u32 v27, v5, v3, 2
	v_and_b32_e32 v3, 1, v4
	v_add_co_u32_e64 v5, s[12:13], -1, v3
	v_addc_co_u32_e64 v33, s[12:13], 0, -1, s[12:13]
	v_cmp_ne_u32_e64 s[12:13], 0, v3
	v_xor_b32_e32 v3, s13, v33
	v_and_b32_e32 v33, exec_hi, v3
	v_lshlrev_b32_e32 v3, 30, v4
	v_xor_b32_e32 v5, s12, v5
	v_cmp_gt_i64_e64 s[12:13], 0, v[2:3]
	v_not_b32_e32 v3, v3
	v_ashrrev_i32_e32 v3, 31, v3
	v_and_b32_e32 v5, exec_lo, v5
	v_xor_b32_e32 v34, s13, v3
	v_xor_b32_e32 v3, s12, v3
	v_and_b32_e32 v5, v5, v3
	v_lshlrev_b32_e32 v3, 29, v4
	v_cmp_gt_i64_e64 s[12:13], 0, v[2:3]
	v_not_b32_e32 v3, v3
	v_ashrrev_i32_e32 v3, 31, v3
	v_and_b32_e32 v33, v33, v34
	v_xor_b32_e32 v34, s13, v3
	v_xor_b32_e32 v3, s12, v3
	v_and_b32_e32 v5, v5, v3
	v_lshlrev_b32_e32 v3, 28, v4
	v_cmp_gt_i64_e64 s[12:13], 0, v[2:3]
	v_not_b32_e32 v3, v3
	v_ashrrev_i32_e32 v3, 31, v3
	v_and_b32_e32 v33, v33, v34
	;; [unrolled: 8-line block ×5, first 2 shown]
	v_xor_b32_e32 v34, s13, v3
	v_xor_b32_e32 v3, s12, v3
	v_and_b32_e32 v5, v5, v3
	v_lshlrev_b32_e32 v3, 24, v4
	v_cmp_gt_i64_e64 s[12:13], 0, v[2:3]
	v_not_b32_e32 v2, v3
	v_ashrrev_i32_e32 v2, 31, v2
	v_xor_b32_e32 v3, s13, v2
	v_xor_b32_e32 v2, s12, v2
	; wave barrier
	ds_read_b32 v9, v27 offset:64
	v_and_b32_e32 v33, v33, v34
	v_and_b32_e32 v2, v5, v2
	;; [unrolled: 1-line block ×3, first 2 shown]
	v_mbcnt_lo_u32_b32 v4, v2, 0
	v_mbcnt_hi_u32_b32 v33, v3, v4
	v_cmp_eq_u32_e64 s[12:13], 0, v33
	v_cmp_ne_u64_e64 s[14:15], 0, v[2:3]
	v_add_u32_e32 v32, 64, v14
	s_and_b64 s[14:15], s[14:15], s[12:13]
	; wave barrier
	s_and_saveexec_b64 s[12:13], s[14:15]
	s_cbranch_execz .LBB63_25
; %bb.24:
	v_bcnt_u32_b32 v2, v2, 0
	v_bcnt_u32_b32 v2, v3, v2
	s_waitcnt lgkmcnt(0)
	v_add_u32_e32 v2, v9, v2
	ds_write_b32 v27, v2 offset:64
.LBB63_25:
	s_or_b64 exec, exec, s[12:13]
	; wave barrier
	s_waitcnt lgkmcnt(0)
	s_barrier
	ds_read2_b32 v[4:5], v14 offset0:16 offset1:17
	ds_read2_b32 v[2:3], v32 offset0:2 offset1:3
	ds_read_b32 v34, v32 offset:16
	v_cmp_lt_u32_e64 s[20:21], 31, v12
	s_waitcnt lgkmcnt(1)
	v_add3_u32 v35, v5, v4, v2
	s_waitcnt lgkmcnt(0)
	v_add3_u32 v34, v35, v3, v34
	v_and_b32_e32 v35, 15, v12
	v_cmp_eq_u32_e64 s[12:13], 0, v35
	v_mov_b32_dpp v36, v34 row_shr:1 row_mask:0xf bank_mask:0xf
	v_cndmask_b32_e64 v36, v36, 0, s[12:13]
	v_add_u32_e32 v34, v36, v34
	v_cmp_lt_u32_e64 s[14:15], 1, v35
	v_cmp_lt_u32_e64 s[16:17], 3, v35
	v_mov_b32_dpp v36, v34 row_shr:2 row_mask:0xf bank_mask:0xf
	v_cndmask_b32_e64 v36, 0, v36, s[14:15]
	v_add_u32_e32 v34, v34, v36
	v_cmp_lt_u32_e64 s[18:19], 7, v35
	s_nop 0
	v_mov_b32_dpp v36, v34 row_shr:4 row_mask:0xf bank_mask:0xf
	v_cndmask_b32_e64 v36, 0, v36, s[16:17]
	v_add_u32_e32 v34, v34, v36
	s_nop 1
	v_mov_b32_dpp v36, v34 row_shr:8 row_mask:0xf bank_mask:0xf
	v_cndmask_b32_e64 v35, 0, v36, s[18:19]
	v_add_u32_e32 v34, v34, v35
	v_bfe_i32 v36, v12, 4, 1
	s_nop 0
	v_mov_b32_dpp v35, v34 row_bcast:15 row_mask:0xf bank_mask:0xf
	v_and_b32_e32 v35, v36, v35
	v_add_u32_e32 v34, v34, v35
	v_and_b32_e32 v36, 63, v6
	s_nop 0
	v_mov_b32_dpp v35, v34 row_bcast:31 row_mask:0xf bank_mask:0xf
	v_cndmask_b32_e64 v35, 0, v35, s[20:21]
	v_add_u32_e32 v34, v34, v35
	v_lshrrev_b32_e32 v35, 6, v6
	v_cmp_eq_u32_e64 s[20:21], 63, v36
	s_and_saveexec_b64 s[22:23], s[20:21]
	s_cbranch_execz .LBB63_27
; %bb.26:
	v_lshlrev_b32_e32 v36, 2, v35
	ds_write_b32 v36, v34
.LBB63_27:
	s_or_b64 exec, exec, s[22:23]
	v_cmp_gt_u32_e64 s[20:21], 16, v6
	s_waitcnt lgkmcnt(0)
	s_barrier
	s_and_saveexec_b64 s[22:23], s[20:21]
	s_cbranch_execz .LBB63_29
; %bb.28:
	v_lshlrev_b32_e32 v36, 2, v6
	ds_read_b32 v37, v36
	s_waitcnt lgkmcnt(0)
	s_nop 0
	v_mov_b32_dpp v38, v37 row_shr:1 row_mask:0xf bank_mask:0xf
	v_cndmask_b32_e64 v38, v38, 0, s[12:13]
	v_add_u32_e32 v37, v38, v37
	s_nop 1
	v_mov_b32_dpp v38, v37 row_shr:2 row_mask:0xf bank_mask:0xf
	v_cndmask_b32_e64 v38, 0, v38, s[14:15]
	v_add_u32_e32 v37, v37, v38
	s_nop 1
	v_mov_b32_dpp v38, v37 row_shr:4 row_mask:0xf bank_mask:0xf
	v_cndmask_b32_e64 v38, 0, v38, s[16:17]
	v_add_u32_e32 v37, v37, v38
	s_nop 1
	v_mov_b32_dpp v38, v37 row_shr:8 row_mask:0xf bank_mask:0xf
	v_cndmask_b32_e64 v38, 0, v38, s[18:19]
	v_add_u32_e32 v37, v37, v38
	ds_write_b32 v36, v37
.LBB63_29:
	s_or_b64 exec, exec, s[22:23]
	v_cmp_lt_u32_e64 s[12:13], 63, v6
	v_mov_b32_e32 v36, 0
	s_waitcnt lgkmcnt(0)
	s_barrier
	s_and_saveexec_b64 s[14:15], s[12:13]
	s_cbranch_execz .LBB63_31
; %bb.30:
	v_lshl_add_u32 v35, v35, 2, -4
	ds_read_b32 v36, v35
.LBB63_31:
	s_or_b64 exec, exec, s[14:15]
	v_add_u32_e32 v35, -1, v12
	v_and_b32_e32 v37, 64, v12
	v_cmp_lt_i32_e64 s[12:13], v35, v37
	v_cndmask_b32_e64 v35, v35, v12, s[12:13]
	s_waitcnt lgkmcnt(0)
	v_add_u32_e32 v34, v36, v34
	v_lshlrev_b32_e32 v35, 2, v35
	ds_bpermute_b32 v34, v35, v34
	v_cmp_eq_u32_e64 s[12:13], 0, v12
	s_waitcnt lgkmcnt(0)
	v_cndmask_b32_e64 v34, v34, v36, s[12:13]
	v_cmp_ne_u32_e64 s[12:13], 0, v6
	v_cndmask_b32_e64 v34, 0, v34, s[12:13]
	v_add_u32_e32 v4, v34, v4
	v_add_u32_e32 v5, v4, v5
	;; [unrolled: 1-line block ×4, first 2 shown]
	ds_write2_b32 v14, v34, v4 offset0:16 offset1:17
	ds_write2_b32 v32, v5, v2 offset0:2 offset1:3
	ds_write_b32 v32, v3 offset:16
	s_waitcnt lgkmcnt(0)
	s_barrier
	ds_read_b32 v4, v18 offset:64
	ds_read_b32 v5, v19 offset:64
	;; [unrolled: 1-line block ×6, first 2 shown]
	s_movk_i32 s12, 0x100
	v_cmp_gt_u32_e64 s[12:13], s12, v6
	v_pk_mov_b32 v[2:3], 0, 0
                                        ; implicit-def: $vgpr20
	s_and_saveexec_b64 s[16:17], s[12:13]
	s_cbranch_execz .LBB63_35
; %bb.32:
	v_mul_u32_u24_e32 v2, 17, v6
	v_lshlrev_b32_e32 v20, 2, v2
	ds_read_b32 v2, v20 offset:64
	s_movk_i32 s14, 0xff
	v_cmp_ne_u32_e64 s[14:15], s14, v6
	v_mov_b32_e32 v3, 0x1800
	s_and_saveexec_b64 s[18:19], s[14:15]
	s_cbranch_execz .LBB63_34
; %bb.33:
	ds_read_b32 v3, v20 offset:132
.LBB63_34:
	s_or_b64 exec, exec, s[18:19]
	s_waitcnt lgkmcnt(0)
	v_sub_u32_e32 v20, v3, v2
	v_mov_b32_e32 v3, 0
.LBB63_35:
	s_or_b64 exec, exec, s[16:17]
	s_waitcnt lgkmcnt(5)
	v_add_u32_e32 v27, v4, v15
	s_waitcnt lgkmcnt(4)
	v_add3_u32 v26, v21, v17, v5
	v_lshlrev_b32_e32 v4, 1, v27
	s_waitcnt lgkmcnt(3)
	v_add3_u32 v25, v24, v23, v14
	s_waitcnt lgkmcnt(0)
	s_barrier
	ds_write_b16 v4, v13 offset:2048
	v_lshlrev_b32_e32 v4, 1, v26
	v_add3_u32 v24, v28, v11, v18
	ds_write_b16 v4, v16 offset:2048
	v_lshlrev_b32_e32 v4, 1, v25
	v_add3_u32 v23, v31, v30, v19
	;; [unrolled: 3-line block ×3, first 2 shown]
	ds_write_b16 v4, v10 offset:2048
	v_lshlrev_b32_e32 v4, 1, v23
	ds_write_b16 v4, v29 offset:2048
	v_lshlrev_b32_e32 v4, 1, v21
	ds_write_b16 v4, v8 offset:2048
	s_waitcnt lgkmcnt(0)
	s_barrier
	s_and_saveexec_b64 s[16:17], s[12:13]
	s_cbranch_execz .LBB63_45
; %bb.36:
	v_lshl_or_b32 v4, s6, 8, v6
	v_mov_b32_e32 v5, 0
	v_lshlrev_b64 v[8:9], 2, v[4:5]
	v_mov_b32_e32 v13, s35
	v_add_co_u32_e64 v8, s[14:15], s34, v8
	v_addc_co_u32_e64 v9, s[14:15], v13, v9, s[14:15]
	v_or_b32_e32 v4, 2.0, v20
	s_mov_b64 s[18:19], 0
	s_brev_b32 s24, 1
	s_mov_b32 s25, s6
	v_mov_b32_e32 v14, 0
	global_store_dword v[8:9], v4, off
                                        ; implicit-def: $sgpr14_sgpr15
	s_branch .LBB63_38
.LBB63_37:                              ;   in Loop: Header=BB63_38 Depth=1
	s_or_b64 exec, exec, s[20:21]
	v_and_b32_e32 v10, 0x3fffffff, v15
	v_add_u32_e32 v14, v10, v14
	v_cmp_eq_u32_e64 s[14:15], s24, v4
	s_and_b64 s[20:21], exec, s[14:15]
	s_or_b64 s[18:19], s[20:21], s[18:19]
	s_andn2_b64 exec, exec, s[18:19]
	s_cbranch_execz .LBB63_44
.LBB63_38:                              ; =>This Loop Header: Depth=1
                                        ;     Child Loop BB63_41 Depth 2
	s_or_b64 s[14:15], s[14:15], exec
	s_cmp_eq_u32 s25, 0
	s_cbranch_scc1 .LBB63_43
; %bb.39:                               ;   in Loop: Header=BB63_38 Depth=1
	s_add_i32 s25, s25, -1
	v_lshl_or_b32 v4, s25, 8, v6
	v_lshlrev_b64 v[10:11], 2, v[4:5]
	v_add_co_u32_e64 v10, s[14:15], s34, v10
	v_addc_co_u32_e64 v11, s[14:15], v13, v11, s[14:15]
	global_load_dword v15, v[10:11], off glc
	s_waitcnt vmcnt(0)
	v_and_b32_e32 v4, -2.0, v15
	v_cmp_eq_u32_e64 s[14:15], 0, v4
	s_and_saveexec_b64 s[20:21], s[14:15]
	s_cbranch_execz .LBB63_37
; %bb.40:                               ;   in Loop: Header=BB63_38 Depth=1
	s_mov_b64 s[22:23], 0
.LBB63_41:                              ;   Parent Loop BB63_38 Depth=1
                                        ; =>  This Inner Loop Header: Depth=2
	global_load_dword v15, v[10:11], off glc
	s_waitcnt vmcnt(0)
	v_and_b32_e32 v4, -2.0, v15
	v_cmp_ne_u32_e64 s[14:15], 0, v4
	s_or_b64 s[22:23], s[14:15], s[22:23]
	s_andn2_b64 exec, exec, s[22:23]
	s_cbranch_execnz .LBB63_41
; %bb.42:                               ;   in Loop: Header=BB63_38 Depth=1
	s_or_b64 exec, exec, s[22:23]
	s_branch .LBB63_37
.LBB63_43:                              ;   in Loop: Header=BB63_38 Depth=1
                                        ; implicit-def: $sgpr25
	s_and_b64 s[20:21], exec, s[14:15]
	s_or_b64 s[18:19], s[20:21], s[18:19]
	s_andn2_b64 exec, exec, s[18:19]
	s_cbranch_execnz .LBB63_38
.LBB63_44:
	s_or_b64 exec, exec, s[18:19]
	v_add_u32_e32 v4, v14, v20
	v_or_b32_e32 v4, 0x80000000, v4
	global_store_dword v[8:9], v4, off
	v_lshlrev_b32_e32 v8, 3, v6
	global_load_dwordx2 v[4:5], v8, s[44:45]
	v_sub_co_u32_e64 v9, s[14:15], v14, v2
	v_subb_co_u32_e64 v10, s[14:15], 0, v3, s[14:15]
	s_waitcnt vmcnt(0)
	v_add_co_u32_e64 v4, s[14:15], v9, v4
	v_addc_co_u32_e64 v5, s[14:15], v10, v5, s[14:15]
	ds_write_b64 v8, v[4:5]
.LBB63_45:
	s_or_b64 exec, exec, s[16:17]
	v_cmp_gt_u32_e64 s[14:15], s50, v6
	v_lshlrev_b32_e32 v32, 1, v6
	s_waitcnt lgkmcnt(0)
	s_barrier
	s_and_saveexec_b64 s[18:19], s[14:15]
	s_cbranch_execz .LBB63_47
; %bb.46:
	ds_read_u16 v8, v32 offset:2048
	v_mov_b32_e32 v9, s39
	s_waitcnt lgkmcnt(0)
	v_lshrrev_b32_sdwa v4, s48, v8 dst_sel:DWORD dst_unused:UNUSED_PAD src0_sel:DWORD src1_sel:WORD_0
	v_and_b32_e32 v4, s33, v4
	v_lshlrev_b32_e32 v4, 3, v4
	ds_read_b64 v[4:5], v4
	v_xor_b32_e32 v8, 0x7fff, v8
	s_waitcnt lgkmcnt(0)
	v_lshlrev_b64 v[4:5], 1, v[4:5]
	v_add_co_u32_e64 v4, s[16:17], s38, v4
	v_addc_co_u32_e64 v5, s[16:17], v9, v5, s[16:17]
	v_add_co_u32_e64 v4, s[16:17], v4, v32
	v_addc_co_u32_e64 v5, s[16:17], 0, v5, s[16:17]
	global_store_short v[4:5], v8, off
.LBB63_47:
	s_or_b64 exec, exec, s[18:19]
	v_or_b32_e32 v22, 0x400, v6
	v_cmp_gt_u32_e64 s[16:17], s50, v22
	s_and_saveexec_b64 s[20:21], s[16:17]
	s_cbranch_execz .LBB63_49
; %bb.48:
	ds_read_u16 v8, v32 offset:4096
	v_mov_b32_e32 v9, s39
	s_waitcnt lgkmcnt(0)
	v_lshrrev_b32_sdwa v4, s48, v8 dst_sel:DWORD dst_unused:UNUSED_PAD src0_sel:DWORD src1_sel:WORD_0
	v_and_b32_e32 v4, s33, v4
	v_lshlrev_b32_e32 v4, 3, v4
	ds_read_b64 v[4:5], v4
	v_xor_b32_e32 v8, 0x7fff, v8
	s_waitcnt lgkmcnt(0)
	v_lshlrev_b64 v[4:5], 1, v[4:5]
	v_add_co_u32_e64 v4, s[18:19], s38, v4
	v_addc_co_u32_e64 v5, s[18:19], v9, v5, s[18:19]
	v_add_co_u32_e64 v4, s[18:19], v4, v32
	v_addc_co_u32_e64 v5, s[18:19], 0, v5, s[18:19]
	global_store_short v[4:5], v8, off offset:2048
.LBB63_49:
	s_or_b64 exec, exec, s[20:21]
	v_or_b32_e32 v28, 0x800, v6
	v_cmp_gt_u32_e64 s[18:19], s50, v28
	s_and_saveexec_b64 s[22:23], s[18:19]
	s_cbranch_execz .LBB63_51
; %bb.50:
	ds_read_u16 v8, v32 offset:6144
	v_mov_b32_e32 v9, s39
	v_lshlrev_b32_e32 v10, 1, v28
	s_waitcnt lgkmcnt(0)
	v_lshrrev_b32_sdwa v4, s48, v8 dst_sel:DWORD dst_unused:UNUSED_PAD src0_sel:DWORD src1_sel:WORD_0
	v_and_b32_e32 v4, s33, v4
	v_lshlrev_b32_e32 v4, 3, v4
	ds_read_b64 v[4:5], v4
	v_xor_b32_e32 v8, 0x7fff, v8
	s_waitcnt lgkmcnt(0)
	v_lshlrev_b64 v[4:5], 1, v[4:5]
	v_add_co_u32_e64 v4, s[20:21], s38, v4
	v_addc_co_u32_e64 v5, s[20:21], v9, v5, s[20:21]
	v_add_co_u32_e64 v4, s[20:21], v4, v10
	v_addc_co_u32_e64 v5, s[20:21], 0, v5, s[20:21]
	global_store_short v[4:5], v8, off
.LBB63_51:
	s_or_b64 exec, exec, s[22:23]
	v_or_b32_e32 v29, 0xc00, v6
	v_cmp_gt_u32_e64 s[20:21], s50, v29
	s_and_saveexec_b64 s[24:25], s[20:21]
	s_cbranch_execz .LBB63_53
; %bb.52:
	ds_read_u16 v8, v32 offset:8192
	v_mov_b32_e32 v9, s39
	v_lshlrev_b32_e32 v10, 1, v29
	s_waitcnt lgkmcnt(0)
	v_lshrrev_b32_sdwa v4, s48, v8 dst_sel:DWORD dst_unused:UNUSED_PAD src0_sel:DWORD src1_sel:WORD_0
	v_and_b32_e32 v4, s33, v4
	v_lshlrev_b32_e32 v4, 3, v4
	ds_read_b64 v[4:5], v4
	v_xor_b32_e32 v8, 0x7fff, v8
	s_waitcnt lgkmcnt(0)
	v_lshlrev_b64 v[4:5], 1, v[4:5]
	v_add_co_u32_e64 v4, s[22:23], s38, v4
	v_addc_co_u32_e64 v5, s[22:23], v9, v5, s[22:23]
	v_add_co_u32_e64 v4, s[22:23], v4, v10
	v_addc_co_u32_e64 v5, s[22:23], 0, v5, s[22:23]
	global_store_short v[4:5], v8, off
.LBB63_53:
	;; [unrolled: 23-line block ×4, first 2 shown]
	s_or_b64 exec, exec, s[50:51]
	s_lshl_b64 s[28:29], s[30:31], 3
	s_add_u32 s28, s40, s28
	s_addc_u32 s29, s41, s29
	v_lshlrev_b32_e32 v4, 3, v12
	v_mov_b32_e32 v5, s29
	v_add_co_u32_e64 v4, s[28:29], s28, v4
	v_addc_co_u32_e64 v5, s[28:29], 0, v5, s[28:29]
	v_lshlrev_b32_e32 v7, 3, v7
	v_add_co_u32_e64 v18, s[28:29], v4, v7
	v_addc_co_u32_e64 v19, s[28:29], 0, v5, s[28:29]
                                        ; implicit-def: $vgpr4_vgpr5
	s_and_saveexec_b64 s[28:29], vcc
	s_xor_b64 s[28:29], exec, s[28:29]
	s_cbranch_execnz .LBB63_127
; %bb.58:
	s_or_b64 exec, exec, s[28:29]
                                        ; implicit-def: $vgpr8_vgpr9
	s_and_saveexec_b64 s[28:29], s[0:1]
	s_cbranch_execnz .LBB63_128
.LBB63_59:
	s_or_b64 exec, exec, s[28:29]
                                        ; implicit-def: $vgpr10_vgpr11
	s_and_saveexec_b64 s[0:1], s[2:3]
	s_cbranch_execnz .LBB63_129
.LBB63_60:
	s_or_b64 exec, exec, s[0:1]
                                        ; implicit-def: $vgpr12_vgpr13
	s_and_saveexec_b64 s[0:1], s[26:27]
	s_cbranch_execnz .LBB63_130
.LBB63_61:
	s_or_b64 exec, exec, s[0:1]
                                        ; implicit-def: $vgpr14_vgpr15
	s_and_saveexec_b64 s[0:1], s[8:9]
	s_cbranch_execnz .LBB63_131
.LBB63_62:
	s_or_b64 exec, exec, s[0:1]
                                        ; implicit-def: $vgpr16_vgpr17
	s_and_saveexec_b64 s[0:1], s[10:11]
	s_cbranch_execz .LBB63_64
.LBB63_63:
	global_load_dwordx2 v[16:17], v[18:19], off offset:2560
.LBB63_64:
	s_or_b64 exec, exec, s[0:1]
	v_mov_b32_e32 v33, 0
	v_mov_b32_e32 v35, 0
	s_and_saveexec_b64 s[0:1], s[14:15]
	s_cbranch_execz .LBB63_66
; %bb.65:
	ds_read_u16 v7, v32 offset:2048
	s_waitcnt lgkmcnt(0)
	v_lshrrev_b32_e32 v7, s48, v7
	v_and_b32_e32 v35, s33, v7
.LBB63_66:
	s_or_b64 exec, exec, s[0:1]
	s_and_saveexec_b64 s[0:1], s[16:17]
	s_cbranch_execz .LBB63_68
; %bb.67:
	ds_read_u16 v7, v32 offset:4096
	s_waitcnt lgkmcnt(0)
	v_lshrrev_b32_e32 v7, s48, v7
	v_and_b32_e32 v33, s33, v7
.LBB63_68:
	s_or_b64 exec, exec, s[0:1]
	v_mov_b32_e32 v18, 0
	v_mov_b32_e32 v34, 0
	s_and_saveexec_b64 s[0:1], s[18:19]
	s_cbranch_execz .LBB63_70
; %bb.69:
	ds_read_u16 v7, v32 offset:6144
	s_waitcnt lgkmcnt(0)
	v_lshrrev_b32_e32 v7, s48, v7
	v_and_b32_e32 v34, s33, v7
.LBB63_70:
	s_or_b64 exec, exec, s[0:1]
	s_and_saveexec_b64 s[0:1], s[20:21]
	s_cbranch_execz .LBB63_72
; %bb.71:
	ds_read_u16 v7, v32 offset:8192
	s_waitcnt lgkmcnt(0)
	v_lshrrev_b32_e32 v7, s48, v7
	v_and_b32_e32 v18, s33, v7
.LBB63_72:
	;; [unrolled: 20-line block ×3, first 2 shown]
	s_or_b64 exec, exec, s[0:1]
	v_lshlrev_b32_e32 v27, 3, v27
	s_barrier
	s_waitcnt vmcnt(0)
	ds_write_b64 v27, v[4:5] offset:2048
	v_lshlrev_b32_e32 v4, 3, v26
	ds_write_b64 v4, v[8:9] offset:2048
	v_lshlrev_b32_e32 v4, 3, v25
	;; [unrolled: 2-line block ×6, first 2 shown]
	s_waitcnt lgkmcnt(0)
	s_barrier
	s_and_saveexec_b64 s[0:1], s[14:15]
	s_cbranch_execnz .LBB63_132
; %bb.77:
	s_or_b64 exec, exec, s[0:1]
	s_and_saveexec_b64 s[0:1], s[16:17]
	s_cbranch_execnz .LBB63_133
.LBB63_78:
	s_or_b64 exec, exec, s[0:1]
	s_and_saveexec_b64 s[0:1], s[18:19]
	s_cbranch_execnz .LBB63_134
.LBB63_79:
	s_or_b64 exec, exec, s[0:1]
	s_and_saveexec_b64 s[0:1], s[20:21]
	s_cbranch_execnz .LBB63_135
.LBB63_80:
	s_or_b64 exec, exec, s[0:1]
	s_and_saveexec_b64 s[0:1], s[22:23]
	s_cbranch_execnz .LBB63_136
.LBB63_81:
	s_or_b64 exec, exec, s[0:1]
	s_and_saveexec_b64 s[0:1], s[24:25]
	s_cbranch_execz .LBB63_83
.LBB63_82:
	v_lshlrev_b32_e32 v5, 3, v7
	ds_read_b64 v[8:9], v5
	ds_read_b64 v[4:5], v4 offset:43008
	v_mov_b32_e32 v7, s43
	s_waitcnt lgkmcnt(1)
	v_lshlrev_b64 v[8:9], 3, v[8:9]
	v_add_co_u32_e32 v8, vcc, s42, v8
	v_addc_co_u32_e32 v7, vcc, v7, v9, vcc
	v_lshlrev_b32_e32 v9, 3, v31
	v_add_co_u32_e32 v8, vcc, v8, v9
	v_addc_co_u32_e32 v9, vcc, 0, v7, vcc
	s_waitcnt lgkmcnt(0)
	global_store_dwordx2 v[8:9], v[4:5], off
.LBB63_83:
	s_or_b64 exec, exec, s[0:1]
	s_add_i32 s7, s7, -1
	s_cmp_eq_u32 s6, s7
	s_cselect_b64 s[0:1], -1, 0
	s_and_b64 s[2:3], s[12:13], s[0:1]
	s_mov_b64 s[0:1], 0
	s_mov_b64 s[10:11], 0
                                        ; implicit-def: $vgpr4_vgpr5
	s_and_saveexec_b64 s[8:9], s[2:3]
	s_xor_b64 s[2:3], exec, s[8:9]
; %bb.84:
	v_add_co_u32_e32 v4, vcc, v2, v20
	s_mov_b64 s[10:11], exec
	v_mov_b32_e32 v7, 0
	v_addc_co_u32_e32 v5, vcc, 0, v3, vcc
; %bb.85:
	s_or_b64 exec, exec, s[2:3]
	s_and_b64 vcc, exec, s[0:1]
	s_cbranch_vccnz .LBB63_87
	s_branch .LBB63_124
.LBB63_86:
	s_mov_b64 s[10:11], 0
                                        ; implicit-def: $vgpr4_vgpr5
                                        ; implicit-def: $vgpr6_vgpr7
	s_cbranch_execz .LBB63_124
.LBB63_87:
	v_and_b32_e32 v6, 0x3ff, v0
	s_mov_b32 s31, 0
	s_lshl_b64 s[0:1], s[30:31], 1
	v_mbcnt_hi_u32_b32 v11, -1, v1
	v_and_b32_e32 v1, 0x3c0, v6
	s_add_u32 s0, s36, s0
	v_mul_u32_u24_e32 v10, 6, v1
	v_lshlrev_b32_e32 v1, 1, v11
	v_add_co_u32_e32 v1, vcc, s0, v1
	s_load_dword s7, s[4:5], 0x50
	s_load_dword s0, s[4:5], 0x5c
	s_addc_u32 s1, s37, s1
	v_mov_b32_e32 v3, s1
	v_addc_co_u32_e32 v3, vcc, 0, v3, vcc
	v_lshlrev_b32_e32 v4, 1, v10
	s_add_u32 s1, s4, 0x50
	v_add_co_u32_e32 v12, vcc, v1, v4
	s_addc_u32 s2, s5, 0
	s_waitcnt lgkmcnt(0)
	s_lshr_b32 s3, s0, 16
	v_addc_co_u32_e32 v13, vcc, 0, v3, vcc
	s_cmp_lt_u32 s6, s7
	global_load_ushort v1, v[12:13], off
	s_cselect_b32 s0, 12, 18
	s_add_u32 s0, s1, s0
	v_mov_b32_e32 v2, 0
	s_addc_u32 s1, s2, 0
	global_load_ushort v3, v2, s[0:1]
	v_mul_u32_u24_e32 v5, 5, v6
	v_lshlrev_b32_e32 v5, 2, v5
	ds_write2_b32 v5, v2, v2 offset0:16 offset1:17
	ds_write2_b32 v5, v2, v2 offset0:18 offset1:19
	ds_write_b32 v5, v2 offset:80
	global_load_ushort v9, v[12:13], off offset:128
	global_load_ushort v15, v[12:13], off offset:256
	;; [unrolled: 1-line block ×5, first 2 shown]
	v_bfe_u32 v4, v0, 10, 10
	v_bfe_u32 v0, v0, 20, 10
	v_mad_u32_u24 v0, v0, s3, v4
	s_lshl_b32 s0, -1, s49
	s_not_b32 s14, s0
	s_waitcnt lgkmcnt(0)
	s_barrier
	s_waitcnt lgkmcnt(0)
	; wave barrier
	s_waitcnt vmcnt(6)
	v_xor_b32_e32 v4, 0x7fff, v1
	v_lshrrev_b32_sdwa v1, s48, v4 dst_sel:DWORD dst_unused:UNUSED_PAD src0_sel:DWORD src1_sel:WORD_0
	v_and_b32_e32 v8, s14, v1
	s_waitcnt vmcnt(5)
	v_mad_u64_u32 v[0:1], s[0:1], v0, v3, v[6:7]
	v_and_b32_e32 v7, 1, v8
	v_lshrrev_b32_e32 v18, 6, v0
	v_add_co_u32_e32 v0, vcc, -1, v7
	v_lshlrev_b32_e32 v3, 30, v8
	v_addc_co_u32_e64 v12, s[0:1], 0, -1, vcc
	v_mul_u32_u24_e32 v1, 17, v8
	v_cmp_ne_u32_e32 vcc, 0, v7
	v_cmp_gt_i64_e64 s[0:1], 0, v[2:3]
	v_not_b32_e32 v13, v3
	v_lshlrev_b32_e32 v3, 29, v8
	v_add_lshl_u32 v7, v18, v1, 2
	v_xor_b32_e32 v1, vcc_hi, v12
	v_xor_b32_e32 v0, vcc_lo, v0
	v_ashrrev_i32_e32 v12, 31, v13
	v_cmp_gt_i64_e32 vcc, 0, v[2:3]
	v_not_b32_e32 v13, v3
	v_lshlrev_b32_e32 v3, 28, v8
	v_and_b32_e32 v1, exec_hi, v1
	v_and_b32_e32 v0, exec_lo, v0
	v_xor_b32_e32 v14, s1, v12
	v_xor_b32_e32 v12, s0, v12
	v_ashrrev_i32_e32 v13, 31, v13
	v_cmp_gt_i64_e64 s[0:1], 0, v[2:3]
	v_not_b32_e32 v16, v3
	v_lshlrev_b32_e32 v3, 27, v8
	v_and_b32_e32 v1, v1, v14
	v_and_b32_e32 v0, v0, v12
	v_xor_b32_e32 v12, vcc_hi, v13
	v_xor_b32_e32 v13, vcc_lo, v13
	v_ashrrev_i32_e32 v14, 31, v16
	v_cmp_gt_i64_e32 vcc, 0, v[2:3]
	v_not_b32_e32 v3, v3
	v_and_b32_e32 v1, v1, v12
	v_and_b32_e32 v0, v0, v13
	v_xor_b32_e32 v12, s1, v14
	v_xor_b32_e32 v13, s0, v14
	v_ashrrev_i32_e32 v3, 31, v3
	v_and_b32_e32 v1, v1, v12
	v_and_b32_e32 v0, v0, v13
	v_xor_b32_e32 v12, vcc_hi, v3
	v_xor_b32_e32 v3, vcc_lo, v3
	v_and_b32_e32 v0, v0, v3
	v_lshlrev_b32_e32 v3, 26, v8
	v_cmp_gt_i64_e32 vcc, 0, v[2:3]
	v_not_b32_e32 v3, v3
	v_ashrrev_i32_e32 v3, 31, v3
	v_and_b32_e32 v1, v1, v12
	v_xor_b32_e32 v12, vcc_hi, v3
	v_xor_b32_e32 v3, vcc_lo, v3
	v_and_b32_e32 v0, v0, v3
	v_lshlrev_b32_e32 v3, 25, v8
	v_cmp_gt_i64_e32 vcc, 0, v[2:3]
	v_not_b32_e32 v3, v3
	v_ashrrev_i32_e32 v3, 31, v3
	;; [unrolled: 8-line block ×3, first 2 shown]
	v_xor_b32_e32 v8, vcc_hi, v3
	v_xor_b32_e32 v3, vcc_lo, v3
	v_and_b32_e32 v1, v1, v12
	v_and_b32_e32 v0, v0, v3
	;; [unrolled: 1-line block ×3, first 2 shown]
	v_mbcnt_lo_u32_b32 v3, v0, 0
	v_mbcnt_hi_u32_b32 v8, v1, v3
	v_cmp_eq_u32_e32 vcc, 0, v8
	v_cmp_ne_u64_e64 s[0:1], 0, v[0:1]
	s_and_b64 s[2:3], s[0:1], vcc
	s_and_saveexec_b64 s[0:1], s[2:3]
	s_cbranch_execz .LBB63_89
; %bb.88:
	v_bcnt_u32_b32 v0, v0, 0
	v_bcnt_u32_b32 v0, v1, v0
	ds_write_b32 v7, v0 offset:64
.LBB63_89:
	s_or_b64 exec, exec, s[0:1]
	s_waitcnt vmcnt(4)
	v_xor_b32_e32 v9, 0x7fff, v9
	v_lshrrev_b32_sdwa v0, s48, v9 dst_sel:DWORD dst_unused:UNUSED_PAD src0_sel:DWORD src1_sel:WORD_0
	v_and_b32_e32 v0, s14, v0
	v_mul_u32_u24_e32 v1, 17, v0
	v_add_lshl_u32 v13, v18, v1, 2
	v_and_b32_e32 v1, 1, v0
	v_add_co_u32_e32 v3, vcc, -1, v1
	v_addc_co_u32_e64 v14, s[0:1], 0, -1, vcc
	v_cmp_ne_u32_e32 vcc, 0, v1
	v_xor_b32_e32 v3, vcc_lo, v3
	v_xor_b32_e32 v1, vcc_hi, v14
	v_and_b32_e32 v14, exec_lo, v3
	v_lshlrev_b32_e32 v3, 30, v0
	v_cmp_gt_i64_e32 vcc, 0, v[2:3]
	v_not_b32_e32 v3, v3
	v_ashrrev_i32_e32 v3, 31, v3
	v_xor_b32_e32 v16, vcc_hi, v3
	v_xor_b32_e32 v3, vcc_lo, v3
	v_and_b32_e32 v14, v14, v3
	v_lshlrev_b32_e32 v3, 29, v0
	v_cmp_gt_i64_e32 vcc, 0, v[2:3]
	v_not_b32_e32 v3, v3
	v_and_b32_e32 v1, exec_hi, v1
	v_ashrrev_i32_e32 v3, 31, v3
	v_and_b32_e32 v1, v1, v16
	v_xor_b32_e32 v16, vcc_hi, v3
	v_xor_b32_e32 v3, vcc_lo, v3
	v_and_b32_e32 v14, v14, v3
	v_lshlrev_b32_e32 v3, 28, v0
	v_cmp_gt_i64_e32 vcc, 0, v[2:3]
	v_not_b32_e32 v3, v3
	v_ashrrev_i32_e32 v3, 31, v3
	v_and_b32_e32 v1, v1, v16
	v_xor_b32_e32 v16, vcc_hi, v3
	v_xor_b32_e32 v3, vcc_lo, v3
	v_and_b32_e32 v14, v14, v3
	v_lshlrev_b32_e32 v3, 27, v0
	v_cmp_gt_i64_e32 vcc, 0, v[2:3]
	v_not_b32_e32 v3, v3
	;; [unrolled: 8-line block ×4, first 2 shown]
	v_ashrrev_i32_e32 v3, 31, v3
	v_and_b32_e32 v1, v1, v16
	v_xor_b32_e32 v16, vcc_hi, v3
	v_xor_b32_e32 v3, vcc_lo, v3
	v_and_b32_e32 v14, v14, v3
	v_lshlrev_b32_e32 v3, 24, v0
	v_not_b32_e32 v0, v3
	v_cmp_gt_i64_e32 vcc, 0, v[2:3]
	v_ashrrev_i32_e32 v0, 31, v0
	v_xor_b32_e32 v2, vcc_hi, v0
	v_xor_b32_e32 v0, vcc_lo, v0
	; wave barrier
	ds_read_b32 v12, v13 offset:64
	v_and_b32_e32 v1, v1, v16
	v_and_b32_e32 v0, v14, v0
	;; [unrolled: 1-line block ×3, first 2 shown]
	v_mbcnt_lo_u32_b32 v2, v0, 0
	v_mbcnt_hi_u32_b32 v14, v1, v2
	v_cmp_eq_u32_e32 vcc, 0, v14
	v_cmp_ne_u64_e64 s[0:1], 0, v[0:1]
	s_and_b64 s[2:3], s[0:1], vcc
	; wave barrier
	s_and_saveexec_b64 s[0:1], s[2:3]
	s_cbranch_execz .LBB63_91
; %bb.90:
	v_bcnt_u32_b32 v0, v0, 0
	v_bcnt_u32_b32 v0, v1, v0
	s_waitcnt lgkmcnt(0)
	v_add_u32_e32 v0, v12, v0
	ds_write_b32 v13, v0 offset:64
.LBB63_91:
	s_or_b64 exec, exec, s[0:1]
	s_waitcnt vmcnt(3)
	v_xor_b32_e32 v15, 0x7fff, v15
	v_lshrrev_b32_sdwa v0, s48, v15 dst_sel:DWORD dst_unused:UNUSED_PAD src0_sel:DWORD src1_sel:WORD_0
	v_and_b32_e32 v2, s14, v0
	v_and_b32_e32 v1, 1, v2
	v_add_co_u32_e32 v3, vcc, -1, v1
	v_addc_co_u32_e64 v20, s[0:1], 0, -1, vcc
	v_cmp_ne_u32_e32 vcc, 0, v1
	v_mul_u32_u24_e32 v0, 17, v2
	v_xor_b32_e32 v1, vcc_hi, v20
	v_add_lshl_u32 v19, v18, v0, 2
	v_mov_b32_e32 v0, 0
	v_and_b32_e32 v20, exec_hi, v1
	v_lshlrev_b32_e32 v1, 30, v2
	v_xor_b32_e32 v3, vcc_lo, v3
	v_cmp_gt_i64_e32 vcc, 0, v[0:1]
	v_not_b32_e32 v1, v1
	v_ashrrev_i32_e32 v1, 31, v1
	v_and_b32_e32 v3, exec_lo, v3
	v_xor_b32_e32 v22, vcc_hi, v1
	v_xor_b32_e32 v1, vcc_lo, v1
	v_and_b32_e32 v3, v3, v1
	v_lshlrev_b32_e32 v1, 29, v2
	v_cmp_gt_i64_e32 vcc, 0, v[0:1]
	v_not_b32_e32 v1, v1
	v_ashrrev_i32_e32 v1, 31, v1
	v_and_b32_e32 v20, v20, v22
	v_xor_b32_e32 v22, vcc_hi, v1
	v_xor_b32_e32 v1, vcc_lo, v1
	v_and_b32_e32 v3, v3, v1
	v_lshlrev_b32_e32 v1, 28, v2
	v_cmp_gt_i64_e32 vcc, 0, v[0:1]
	v_not_b32_e32 v1, v1
	v_ashrrev_i32_e32 v1, 31, v1
	v_and_b32_e32 v20, v20, v22
	;; [unrolled: 8-line block ×5, first 2 shown]
	v_xor_b32_e32 v22, vcc_hi, v1
	v_xor_b32_e32 v1, vcc_lo, v1
	v_and_b32_e32 v20, v20, v22
	v_and_b32_e32 v22, v3, v1
	v_lshlrev_b32_e32 v1, 24, v2
	v_cmp_gt_i64_e32 vcc, 0, v[0:1]
	v_not_b32_e32 v1, v1
	v_ashrrev_i32_e32 v1, 31, v1
	v_xor_b32_e32 v2, vcc_hi, v1
	v_xor_b32_e32 v1, vcc_lo, v1
	; wave barrier
	ds_read_b32 v16, v19 offset:64
	v_and_b32_e32 v3, v20, v2
	v_and_b32_e32 v2, v22, v1
	v_mbcnt_lo_u32_b32 v1, v2, 0
	v_mbcnt_hi_u32_b32 v20, v3, v1
	v_cmp_eq_u32_e32 vcc, 0, v20
	v_cmp_ne_u64_e64 s[0:1], 0, v[2:3]
	s_and_b64 s[2:3], s[0:1], vcc
	; wave barrier
	s_and_saveexec_b64 s[0:1], s[2:3]
	s_cbranch_execz .LBB63_93
; %bb.92:
	v_bcnt_u32_b32 v1, v2, 0
	v_bcnt_u32_b32 v1, v3, v1
	s_waitcnt lgkmcnt(0)
	v_add_u32_e32 v1, v16, v1
	ds_write_b32 v19, v1 offset:64
.LBB63_93:
	s_or_b64 exec, exec, s[0:1]
	s_waitcnt vmcnt(2)
	v_xor_b32_e32 v21, 0x7fff, v21
	v_lshrrev_b32_sdwa v1, s48, v21 dst_sel:DWORD dst_unused:UNUSED_PAD src0_sel:DWORD src1_sel:WORD_0
	v_and_b32_e32 v2, s14, v1
	v_mul_u32_u24_e32 v1, 17, v2
	v_add_lshl_u32 v24, v18, v1, 2
	v_and_b32_e32 v1, 1, v2
	v_add_co_u32_e32 v3, vcc, -1, v1
	v_addc_co_u32_e64 v25, s[0:1], 0, -1, vcc
	v_cmp_ne_u32_e32 vcc, 0, v1
	v_xor_b32_e32 v1, vcc_hi, v25
	v_and_b32_e32 v25, exec_hi, v1
	v_lshlrev_b32_e32 v1, 30, v2
	v_xor_b32_e32 v3, vcc_lo, v3
	v_cmp_gt_i64_e32 vcc, 0, v[0:1]
	v_not_b32_e32 v1, v1
	v_ashrrev_i32_e32 v1, 31, v1
	v_and_b32_e32 v3, exec_lo, v3
	v_xor_b32_e32 v26, vcc_hi, v1
	v_xor_b32_e32 v1, vcc_lo, v1
	v_and_b32_e32 v3, v3, v1
	v_lshlrev_b32_e32 v1, 29, v2
	v_cmp_gt_i64_e32 vcc, 0, v[0:1]
	v_not_b32_e32 v1, v1
	v_ashrrev_i32_e32 v1, 31, v1
	v_and_b32_e32 v25, v25, v26
	v_xor_b32_e32 v26, vcc_hi, v1
	v_xor_b32_e32 v1, vcc_lo, v1
	v_and_b32_e32 v3, v3, v1
	v_lshlrev_b32_e32 v1, 28, v2
	v_cmp_gt_i64_e32 vcc, 0, v[0:1]
	v_not_b32_e32 v1, v1
	v_ashrrev_i32_e32 v1, 31, v1
	v_and_b32_e32 v25, v25, v26
	;; [unrolled: 8-line block ×5, first 2 shown]
	v_xor_b32_e32 v26, vcc_hi, v1
	v_xor_b32_e32 v1, vcc_lo, v1
	v_and_b32_e32 v3, v3, v1
	v_lshlrev_b32_e32 v1, 24, v2
	v_cmp_gt_i64_e32 vcc, 0, v[0:1]
	v_not_b32_e32 v0, v1
	v_ashrrev_i32_e32 v0, 31, v0
	v_xor_b32_e32 v1, vcc_hi, v0
	v_xor_b32_e32 v0, vcc_lo, v0
	; wave barrier
	ds_read_b32 v22, v24 offset:64
	v_and_b32_e32 v25, v25, v26
	v_and_b32_e32 v0, v3, v0
	;; [unrolled: 1-line block ×3, first 2 shown]
	v_mbcnt_lo_u32_b32 v2, v0, 0
	v_mbcnt_hi_u32_b32 v25, v1, v2
	v_cmp_eq_u32_e32 vcc, 0, v25
	v_cmp_ne_u64_e64 s[0:1], 0, v[0:1]
	s_and_b64 s[2:3], s[0:1], vcc
	; wave barrier
	s_and_saveexec_b64 s[0:1], s[2:3]
	s_cbranch_execz .LBB63_95
; %bb.94:
	v_bcnt_u32_b32 v0, v0, 0
	v_bcnt_u32_b32 v0, v1, v0
	s_waitcnt lgkmcnt(0)
	v_add_u32_e32 v0, v22, v0
	ds_write_b32 v24, v0 offset:64
.LBB63_95:
	s_or_b64 exec, exec, s[0:1]
	s_waitcnt vmcnt(1)
	v_xor_b32_e32 v23, 0x7fff, v23
	v_lshrrev_b32_sdwa v0, s48, v23 dst_sel:DWORD dst_unused:UNUSED_PAD src0_sel:DWORD src1_sel:WORD_0
	v_and_b32_e32 v2, s14, v0
	v_and_b32_e32 v1, 1, v2
	v_add_co_u32_e32 v3, vcc, -1, v1
	v_addc_co_u32_e64 v28, s[0:1], 0, -1, vcc
	v_cmp_ne_u32_e32 vcc, 0, v1
	v_mul_u32_u24_e32 v0, 17, v2
	v_xor_b32_e32 v1, vcc_hi, v28
	v_add_lshl_u32 v27, v18, v0, 2
	v_mov_b32_e32 v0, 0
	v_and_b32_e32 v28, exec_hi, v1
	v_lshlrev_b32_e32 v1, 30, v2
	v_xor_b32_e32 v3, vcc_lo, v3
	v_cmp_gt_i64_e32 vcc, 0, v[0:1]
	v_not_b32_e32 v1, v1
	v_ashrrev_i32_e32 v1, 31, v1
	v_and_b32_e32 v3, exec_lo, v3
	v_xor_b32_e32 v29, vcc_hi, v1
	v_xor_b32_e32 v1, vcc_lo, v1
	v_and_b32_e32 v3, v3, v1
	v_lshlrev_b32_e32 v1, 29, v2
	v_cmp_gt_i64_e32 vcc, 0, v[0:1]
	v_not_b32_e32 v1, v1
	v_ashrrev_i32_e32 v1, 31, v1
	v_and_b32_e32 v28, v28, v29
	v_xor_b32_e32 v29, vcc_hi, v1
	v_xor_b32_e32 v1, vcc_lo, v1
	v_and_b32_e32 v3, v3, v1
	v_lshlrev_b32_e32 v1, 28, v2
	v_cmp_gt_i64_e32 vcc, 0, v[0:1]
	v_not_b32_e32 v1, v1
	v_ashrrev_i32_e32 v1, 31, v1
	v_and_b32_e32 v28, v28, v29
	;; [unrolled: 8-line block ×5, first 2 shown]
	v_xor_b32_e32 v29, vcc_hi, v1
	v_xor_b32_e32 v1, vcc_lo, v1
	v_and_b32_e32 v28, v28, v29
	v_and_b32_e32 v29, v3, v1
	v_lshlrev_b32_e32 v1, 24, v2
	v_cmp_gt_i64_e32 vcc, 0, v[0:1]
	v_not_b32_e32 v1, v1
	v_ashrrev_i32_e32 v1, 31, v1
	v_xor_b32_e32 v2, vcc_hi, v1
	v_xor_b32_e32 v1, vcc_lo, v1
	; wave barrier
	ds_read_b32 v26, v27 offset:64
	v_and_b32_e32 v3, v28, v2
	v_and_b32_e32 v2, v29, v1
	v_mbcnt_lo_u32_b32 v1, v2, 0
	v_mbcnt_hi_u32_b32 v28, v3, v1
	v_cmp_eq_u32_e32 vcc, 0, v28
	v_cmp_ne_u64_e64 s[0:1], 0, v[2:3]
	s_and_b64 s[2:3], s[0:1], vcc
	; wave barrier
	s_and_saveexec_b64 s[0:1], s[2:3]
	s_cbranch_execz .LBB63_97
; %bb.96:
	v_bcnt_u32_b32 v1, v2, 0
	v_bcnt_u32_b32 v1, v3, v1
	s_waitcnt lgkmcnt(0)
	v_add_u32_e32 v1, v26, v1
	ds_write_b32 v27, v1 offset:64
.LBB63_97:
	s_or_b64 exec, exec, s[0:1]
	s_waitcnt vmcnt(0)
	v_xor_b32_e32 v29, 0x7fff, v17
	v_lshrrev_b32_sdwa v1, s48, v29 dst_sel:DWORD dst_unused:UNUSED_PAD src0_sel:DWORD src1_sel:WORD_0
	v_and_b32_e32 v2, s14, v1
	v_mul_u32_u24_e32 v1, 17, v2
	v_add_lshl_u32 v17, v18, v1, 2
	v_and_b32_e32 v1, 1, v2
	v_add_co_u32_e32 v3, vcc, -1, v1
	v_addc_co_u32_e64 v18, s[0:1], 0, -1, vcc
	v_cmp_ne_u32_e32 vcc, 0, v1
	v_xor_b32_e32 v1, vcc_hi, v18
	v_and_b32_e32 v18, exec_hi, v1
	v_lshlrev_b32_e32 v1, 30, v2
	v_xor_b32_e32 v3, vcc_lo, v3
	v_cmp_gt_i64_e32 vcc, 0, v[0:1]
	v_not_b32_e32 v1, v1
	v_ashrrev_i32_e32 v1, 31, v1
	v_and_b32_e32 v3, exec_lo, v3
	v_xor_b32_e32 v32, vcc_hi, v1
	v_xor_b32_e32 v1, vcc_lo, v1
	v_and_b32_e32 v3, v3, v1
	v_lshlrev_b32_e32 v1, 29, v2
	v_cmp_gt_i64_e32 vcc, 0, v[0:1]
	v_not_b32_e32 v1, v1
	v_ashrrev_i32_e32 v1, 31, v1
	v_and_b32_e32 v18, v18, v32
	v_xor_b32_e32 v32, vcc_hi, v1
	v_xor_b32_e32 v1, vcc_lo, v1
	v_and_b32_e32 v3, v3, v1
	v_lshlrev_b32_e32 v1, 28, v2
	v_cmp_gt_i64_e32 vcc, 0, v[0:1]
	v_not_b32_e32 v1, v1
	v_ashrrev_i32_e32 v1, 31, v1
	v_and_b32_e32 v18, v18, v32
	;; [unrolled: 8-line block ×5, first 2 shown]
	v_xor_b32_e32 v32, vcc_hi, v1
	v_xor_b32_e32 v1, vcc_lo, v1
	v_and_b32_e32 v3, v3, v1
	v_lshlrev_b32_e32 v1, 24, v2
	v_cmp_gt_i64_e32 vcc, 0, v[0:1]
	v_not_b32_e32 v0, v1
	v_ashrrev_i32_e32 v0, 31, v0
	v_xor_b32_e32 v1, vcc_hi, v0
	v_xor_b32_e32 v0, vcc_lo, v0
	; wave barrier
	ds_read_b32 v30, v17 offset:64
	v_and_b32_e32 v18, v18, v32
	v_and_b32_e32 v0, v3, v0
	;; [unrolled: 1-line block ×3, first 2 shown]
	v_mbcnt_lo_u32_b32 v2, v0, 0
	v_mbcnt_hi_u32_b32 v32, v1, v2
	v_cmp_eq_u32_e32 vcc, 0, v32
	v_cmp_ne_u64_e64 s[0:1], 0, v[0:1]
	v_add_u32_e32 v31, 64, v5
	s_and_b64 s[2:3], s[0:1], vcc
	; wave barrier
	s_and_saveexec_b64 s[0:1], s[2:3]
	s_cbranch_execz .LBB63_99
; %bb.98:
	v_bcnt_u32_b32 v0, v0, 0
	v_bcnt_u32_b32 v0, v1, v0
	s_waitcnt lgkmcnt(0)
	v_add_u32_e32 v0, v30, v0
	ds_write_b32 v17, v0 offset:64
.LBB63_99:
	s_or_b64 exec, exec, s[0:1]
	; wave barrier
	s_waitcnt lgkmcnt(0)
	s_barrier
	ds_read2_b32 v[2:3], v5 offset0:16 offset1:17
	ds_read2_b32 v[0:1], v31 offset0:2 offset1:3
	ds_read_b32 v18, v31 offset:16
	v_cmp_lt_u32_e64 s[8:9], 31, v11
	s_waitcnt lgkmcnt(1)
	v_add3_u32 v33, v3, v2, v0
	s_waitcnt lgkmcnt(0)
	v_add3_u32 v18, v33, v1, v18
	v_and_b32_e32 v33, 15, v11
	v_cmp_eq_u32_e32 vcc, 0, v33
	v_mov_b32_dpp v34, v18 row_shr:1 row_mask:0xf bank_mask:0xf
	v_cndmask_b32_e64 v34, v34, 0, vcc
	v_add_u32_e32 v18, v34, v18
	v_cmp_lt_u32_e64 s[0:1], 1, v33
	v_cmp_lt_u32_e64 s[2:3], 3, v33
	v_mov_b32_dpp v34, v18 row_shr:2 row_mask:0xf bank_mask:0xf
	v_cndmask_b32_e64 v34, 0, v34, s[0:1]
	v_add_u32_e32 v18, v18, v34
	v_cmp_lt_u32_e64 s[4:5], 7, v33
	s_nop 0
	v_mov_b32_dpp v34, v18 row_shr:4 row_mask:0xf bank_mask:0xf
	v_cndmask_b32_e64 v34, 0, v34, s[2:3]
	v_add_u32_e32 v18, v18, v34
	s_nop 1
	v_mov_b32_dpp v34, v18 row_shr:8 row_mask:0xf bank_mask:0xf
	v_cndmask_b32_e64 v33, 0, v34, s[4:5]
	v_add_u32_e32 v18, v18, v33
	v_bfe_i32 v34, v11, 4, 1
	s_nop 0
	v_mov_b32_dpp v33, v18 row_bcast:15 row_mask:0xf bank_mask:0xf
	v_and_b32_e32 v33, v34, v33
	v_add_u32_e32 v18, v18, v33
	v_and_b32_e32 v34, 63, v6
	s_nop 0
	v_mov_b32_dpp v33, v18 row_bcast:31 row_mask:0xf bank_mask:0xf
	v_cndmask_b32_e64 v33, 0, v33, s[8:9]
	v_add_u32_e32 v18, v18, v33
	v_lshrrev_b32_e32 v33, 6, v6
	v_cmp_eq_u32_e64 s[8:9], 63, v34
	s_and_saveexec_b64 s[12:13], s[8:9]
	s_cbranch_execz .LBB63_101
; %bb.100:
	v_lshlrev_b32_e32 v34, 2, v33
	ds_write_b32 v34, v18
.LBB63_101:
	s_or_b64 exec, exec, s[12:13]
	v_cmp_gt_u32_e64 s[8:9], 16, v6
	s_waitcnt lgkmcnt(0)
	s_barrier
	s_and_saveexec_b64 s[12:13], s[8:9]
	s_cbranch_execz .LBB63_103
; %bb.102:
	v_lshlrev_b32_e32 v34, 2, v6
	ds_read_b32 v35, v34
	s_waitcnt lgkmcnt(0)
	s_nop 0
	v_mov_b32_dpp v36, v35 row_shr:1 row_mask:0xf bank_mask:0xf
	v_cndmask_b32_e64 v36, v36, 0, vcc
	v_add_u32_e32 v35, v36, v35
	s_nop 1
	v_mov_b32_dpp v36, v35 row_shr:2 row_mask:0xf bank_mask:0xf
	v_cndmask_b32_e64 v36, 0, v36, s[0:1]
	v_add_u32_e32 v35, v35, v36
	s_nop 1
	v_mov_b32_dpp v36, v35 row_shr:4 row_mask:0xf bank_mask:0xf
	v_cndmask_b32_e64 v36, 0, v36, s[2:3]
	;; [unrolled: 4-line block ×3, first 2 shown]
	v_add_u32_e32 v35, v35, v36
	ds_write_b32 v34, v35
.LBB63_103:
	s_or_b64 exec, exec, s[12:13]
	v_cmp_lt_u32_e32 vcc, 63, v6
	v_mov_b32_e32 v34, 0
	s_waitcnt lgkmcnt(0)
	s_barrier
	s_and_saveexec_b64 s[0:1], vcc
	s_cbranch_execz .LBB63_105
; %bb.104:
	v_lshl_add_u32 v33, v33, 2, -4
	ds_read_b32 v34, v33
.LBB63_105:
	s_or_b64 exec, exec, s[0:1]
	v_add_u32_e32 v33, -1, v11
	v_and_b32_e32 v35, 64, v11
	v_cmp_lt_i32_e32 vcc, v33, v35
	v_cndmask_b32_e32 v33, v33, v11, vcc
	s_waitcnt lgkmcnt(0)
	v_add_u32_e32 v18, v34, v18
	v_lshlrev_b32_e32 v33, 2, v33
	ds_bpermute_b32 v18, v33, v18
	v_cmp_eq_u32_e32 vcc, 0, v11
	s_movk_i32 s2, 0xff
	s_movk_i32 s3, 0x100
	v_cmp_lt_u32_e64 s[0:1], s2, v6
	s_waitcnt lgkmcnt(0)
	v_cndmask_b32_e32 v18, v18, v34, vcc
	v_cmp_ne_u32_e32 vcc, 0, v6
	v_cndmask_b32_e32 v18, 0, v18, vcc
	v_add_u32_e32 v2, v18, v2
	v_add_u32_e32 v3, v2, v3
	;; [unrolled: 1-line block ×4, first 2 shown]
	ds_write2_b32 v5, v18, v2 offset0:16 offset1:17
	ds_write2_b32 v31, v3, v0 offset0:2 offset1:3
	ds_write_b32 v31, v1 offset:16
	s_waitcnt lgkmcnt(0)
	s_barrier
	ds_read_b32 v2, v7 offset:64
	ds_read_b32 v3, v13 offset:64
	;; [unrolled: 1-line block ×6, first 2 shown]
	v_cmp_gt_u32_e32 vcc, s3, v6
	v_pk_mov_b32 v[0:1], 0, 0
                                        ; implicit-def: $vgpr13
	s_and_saveexec_b64 s[4:5], vcc
	s_cbranch_execz .LBB63_109
; %bb.106:
	v_mul_u32_u24_e32 v0, 17, v6
	v_lshlrev_b32_e32 v13, 2, v0
	ds_read_b32 v0, v13 offset:64
	v_cmp_ne_u32_e64 s[2:3], s2, v6
	v_mov_b32_e32 v1, 0x1800
	s_and_saveexec_b64 s[8:9], s[2:3]
	s_cbranch_execz .LBB63_108
; %bb.107:
	ds_read_b32 v1, v13 offset:132
.LBB63_108:
	s_or_b64 exec, exec, s[8:9]
	s_waitcnt lgkmcnt(0)
	v_sub_u32_e32 v13, v1, v0
	v_mov_b32_e32 v1, 0
.LBB63_109:
	s_or_b64 exec, exec, s[4:5]
	s_waitcnt lgkmcnt(5)
	v_add_u32_e32 v19, v2, v8
	s_waitcnt lgkmcnt(4)
	v_add3_u32 v18, v14, v12, v3
	v_lshlrev_b32_e32 v2, 1, v19
	s_waitcnt lgkmcnt(3)
	v_add3_u32 v17, v20, v16, v5
	s_waitcnt lgkmcnt(0)
	s_barrier
	ds_write_b16 v2, v4 offset:2048
	v_lshlrev_b32_e32 v2, 1, v18
	v_add3_u32 v16, v25, v22, v7
	ds_write_b16 v2, v9 offset:2048
	v_lshlrev_b32_e32 v2, 1, v17
	v_add3_u32 v14, v28, v26, v24
	;; [unrolled: 3-line block ×3, first 2 shown]
	ds_write_b16 v2, v21 offset:2048
	v_lshlrev_b32_e32 v2, 1, v14
	ds_write_b16 v2, v23 offset:2048
	v_lshlrev_b32_e32 v2, 1, v12
	ds_write_b16 v2, v29 offset:2048
	s_waitcnt lgkmcnt(0)
	s_barrier
	s_and_saveexec_b64 s[2:3], s[0:1]
	s_xor_b64 s[0:1], exec, s[2:3]
; %bb.110:
	v_mov_b32_e32 v7, 0
; %bb.111:
	s_andn2_saveexec_b64 s[2:3], s[0:1]
	s_cbranch_execz .LBB63_121
; %bb.112:
	v_lshl_or_b32 v2, s6, 8, v6
	v_mov_b32_e32 v3, 0
	v_lshlrev_b64 v[4:5], 2, v[2:3]
	v_mov_b32_e32 v7, s35
	v_add_co_u32_e64 v4, s[0:1], s34, v4
	v_addc_co_u32_e64 v5, s[0:1], v7, v5, s[0:1]
	v_or_b32_e32 v2, 2.0, v13
	s_mov_b64 s[4:5], 0
	s_brev_b32 s15, 1
	s_mov_b32 s16, s6
	v_mov_b32_e32 v15, 0
	global_store_dword v[4:5], v2, off
                                        ; implicit-def: $sgpr0_sgpr1
	s_branch .LBB63_115
.LBB63_113:                             ;   in Loop: Header=BB63_115 Depth=1
	s_or_b64 exec, exec, s[12:13]
.LBB63_114:                             ;   in Loop: Header=BB63_115 Depth=1
	s_or_b64 exec, exec, s[8:9]
	v_and_b32_e32 v8, 0x3fffffff, v20
	v_add_u32_e32 v15, v8, v15
	v_cmp_eq_u32_e64 s[0:1], s15, v2
	s_and_b64 s[8:9], exec, s[0:1]
	s_or_b64 s[4:5], s[8:9], s[4:5]
	s_andn2_b64 exec, exec, s[4:5]
	s_cbranch_execz .LBB63_120
.LBB63_115:                             ; =>This Loop Header: Depth=1
                                        ;     Child Loop BB63_118 Depth 2
	s_or_b64 s[0:1], s[0:1], exec
	s_cmp_eq_u32 s16, 0
	s_cbranch_scc1 .LBB63_119
; %bb.116:                              ;   in Loop: Header=BB63_115 Depth=1
	s_add_i32 s16, s16, -1
	v_lshl_or_b32 v2, s16, 8, v6
	v_lshlrev_b64 v[8:9], 2, v[2:3]
	v_add_co_u32_e64 v8, s[0:1], s34, v8
	v_addc_co_u32_e64 v9, s[0:1], v7, v9, s[0:1]
	global_load_dword v20, v[8:9], off glc
	s_waitcnt vmcnt(0)
	v_and_b32_e32 v2, -2.0, v20
	v_cmp_eq_u32_e64 s[0:1], 0, v2
	s_and_saveexec_b64 s[8:9], s[0:1]
	s_cbranch_execz .LBB63_114
; %bb.117:                              ;   in Loop: Header=BB63_115 Depth=1
	s_mov_b64 s[12:13], 0
.LBB63_118:                             ;   Parent Loop BB63_115 Depth=1
                                        ; =>  This Inner Loop Header: Depth=2
	global_load_dword v20, v[8:9], off glc
	s_waitcnt vmcnt(0)
	v_and_b32_e32 v2, -2.0, v20
	v_cmp_ne_u32_e64 s[0:1], 0, v2
	s_or_b64 s[12:13], s[0:1], s[12:13]
	s_andn2_b64 exec, exec, s[12:13]
	s_cbranch_execnz .LBB63_118
	s_branch .LBB63_113
.LBB63_119:                             ;   in Loop: Header=BB63_115 Depth=1
                                        ; implicit-def: $sgpr16
	s_and_b64 s[8:9], exec, s[0:1]
	s_or_b64 s[4:5], s[8:9], s[4:5]
	s_andn2_b64 exec, exec, s[4:5]
	s_cbranch_execnz .LBB63_115
.LBB63_120:
	s_or_b64 exec, exec, s[4:5]
	v_add_u32_e32 v2, v15, v13
	v_or_b32_e32 v2, 0x80000000, v2
	global_store_dword v[4:5], v2, off
	v_lshlrev_b32_e32 v4, 3, v6
	global_load_dwordx2 v[2:3], v4, s[44:45]
	v_sub_co_u32_e64 v5, s[0:1], v15, v0
	v_subb_co_u32_e64 v8, s[0:1], 0, v1, s[0:1]
	v_mov_b32_e32 v7, 0
	s_waitcnt vmcnt(0)
	v_add_co_u32_e64 v2, s[0:1], v5, v2
	v_addc_co_u32_e64 v3, s[0:1], v8, v3, s[0:1]
	ds_write_b64 v4, v[2:3]
.LBB63_121:
	s_or_b64 exec, exec, s[2:3]
	v_lshlrev_b32_e32 v2, 1, v6
	s_waitcnt lgkmcnt(0)
	s_barrier
	ds_read_u16 v2, v2 offset:2048
	v_lshlrev_b32_e32 v15, 1, v6
	ds_read_u16 v20, v15 offset:4096
	ds_read_u16 v32, v15 offset:8192
	;; [unrolled: 1-line block ×3, first 2 shown]
	v_mov_b32_e32 v8, s39
	v_or_b32_e32 v37, 0x800, v15
	s_waitcnt lgkmcnt(3)
	v_lshrrev_b32_sdwa v3, s48, v2 dst_sel:DWORD dst_unused:UNUSED_PAD src0_sel:DWORD src1_sel:WORD_0
	v_and_b32_e32 v3, s14, v3
	v_xor_b32_e32 v21, 0x7fff, v2
	v_lshlrev_b32_e32 v34, 3, v3
	s_waitcnt lgkmcnt(2)
	v_lshrrev_b32_sdwa v2, s48, v20 dst_sel:DWORD dst_unused:UNUSED_PAD src0_sel:DWORD src1_sel:WORD_0
	v_and_b32_e32 v4, s14, v2
	ds_read_b64 v[2:3], v34
	v_lshlrev_b32_e32 v35, 3, v4
	ds_read_u16 v22, v15 offset:6144
	ds_read_b64 v[4:5], v35
	ds_read_u16 v36, v15 offset:10240
	s_waitcnt lgkmcnt(5)
	v_lshrrev_b32_sdwa v24, s48, v32 dst_sel:DWORD dst_unused:UNUSED_PAD src0_sel:DWORD src1_sel:WORD_0
	v_and_b32_e32 v24, s14, v24
	s_waitcnt lgkmcnt(3)
	v_lshlrev_b64 v[2:3], 1, v[2:3]
	v_add_co_u32_e64 v9, s[0:1], s38, v2
	v_addc_co_u32_e64 v23, s[0:1], v8, v3, s[0:1]
	v_lshlrev_b64 v[2:3], 1, v[6:7]
	v_add_co_u32_e64 v8, s[0:1], v9, v2
	v_addc_co_u32_e64 v9, s[0:1], v23, v3, s[0:1]
	s_waitcnt lgkmcnt(1)
	v_lshlrev_b64 v[4:5], 1, v[4:5]
	global_store_short v[8:9], v21, off
	v_mov_b32_e32 v9, s39
	v_add_co_u32_e64 v4, s[0:1], s38, v4
	v_addc_co_u32_e64 v5, s[0:1], v9, v5, s[0:1]
	v_add_co_u32_e64 v2, s[0:1], v4, v2
	v_addc_co_u32_e64 v3, s[0:1], v5, v3, s[0:1]
	s_lshl_b64 s[0:1], s[30:31], 3
	v_xor_b32_e32 v8, 0x7fff, v20
	s_add_u32 s0, s40, s0
	global_store_short v[2:3], v8, off offset:2048
	s_addc_u32 s1, s41, s1
	v_lshlrev_b32_e32 v2, 3, v11
	v_mov_b32_e32 v3, s1
	v_add_co_u32_e64 v2, s[0:1], s0, v2
	v_addc_co_u32_e64 v3, s[0:1], 0, v3, s[0:1]
	v_lshlrev_b32_e32 v4, 3, v10
	v_add_co_u32_e64 v2, s[0:1], v2, v4
	v_addc_co_u32_e64 v3, s[0:1], 0, v3, s[0:1]
	v_lshrrev_b32_sdwa v8, s48, v22 dst_sel:DWORD dst_unused:UNUSED_PAD src0_sel:DWORD src1_sel:WORD_0
	global_load_dwordx2 v[4:5], v[2:3], off
	v_and_b32_e32 v15, s14, v8
	global_load_dwordx2 v[8:9], v[2:3], off offset:512
	global_load_dwordx2 v[10:11], v[2:3], off offset:1024
	;; [unrolled: 1-line block ×3, first 2 shown]
	v_xor_b32_e32 v39, 0x7fff, v22
	global_load_dwordx2 v[22:23], v[2:3], off offset:2048
	v_lshlrev_b32_e32 v40, 3, v24
	global_load_dwordx2 v[2:3], v[2:3], off offset:2560
	s_waitcnt lgkmcnt(0)
	v_lshrrev_b32_sdwa v24, s48, v36 dst_sel:DWORD dst_unused:UNUSED_PAD src0_sel:DWORD src1_sel:WORD_0
	v_and_b32_e32 v24, s14, v24
	v_lshlrev_b32_e32 v15, 3, v15
	v_lshlrev_b32_e32 v41, 3, v24
	v_lshrrev_b32_sdwa v24, s48, v33 dst_sel:DWORD dst_unused:UNUSED_PAD src0_sel:DWORD src1_sel:WORD_0
	v_and_b32_e32 v26, s14, v24
	ds_read_b64 v[24:25], v15
	v_or_b32_e32 v38, 0x800, v6
	v_mov_b32_e32 v43, s39
	v_lshlrev_b32_e32 v42, 3, v26
	ds_read_b64 v[26:27], v40
	ds_read_b64 v[28:29], v41
	;; [unrolled: 1-line block ×3, first 2 shown]
	s_waitcnt lgkmcnt(3)
	v_lshlrev_b64 v[24:25], 1, v[24:25]
	v_add_co_u32_e64 v24, s[0:1], s38, v24
	v_addc_co_u32_e64 v25, s[0:1], v43, v25, s[0:1]
	v_lshlrev_b32_e32 v43, 1, v38
	v_add_co_u32_e64 v24, s[0:1], v24, v43
	v_addc_co_u32_e64 v25, s[0:1], 0, v25, s[0:1]
	global_store_short v[24:25], v39, off
	s_waitcnt lgkmcnt(2)
	v_lshlrev_b64 v[24:25], 1, v[26:27]
	v_or_b32_e32 v39, 0xc00, v6
	v_mov_b32_e32 v26, s39
	v_add_co_u32_e64 v24, s[0:1], s38, v24
	v_addc_co_u32_e64 v25, s[0:1], v26, v25, s[0:1]
	v_lshlrev_b32_e32 v26, 1, v39
	v_add_co_u32_e64 v24, s[0:1], v24, v26
	v_xor_b32_e32 v32, 0x7fff, v32
	v_addc_co_u32_e64 v25, s[0:1], 0, v25, s[0:1]
	global_store_short v[24:25], v32, off
	s_waitcnt lgkmcnt(1)
	v_lshlrev_b64 v[24:25], 1, v[28:29]
	v_or_b32_e32 v26, 0x1000, v6
	v_mov_b32_e32 v28, s39
	v_add_co_u32_e64 v24, s[0:1], s38, v24
	v_addc_co_u32_e64 v25, s[0:1], v28, v25, s[0:1]
	v_lshlrev_b32_e32 v28, 1, v26
	v_add_co_u32_e64 v24, s[0:1], v24, v28
	v_xor_b32_e32 v27, 0x7fff, v36
	;; [unrolled: 11-line block ×3, first 2 shown]
	v_addc_co_u32_e64 v25, s[0:1], 0, v25, s[0:1]
	v_lshlrev_b32_e32 v19, 3, v19
	global_store_short v[24:25], v28, off
	s_barrier
	s_add_i32 s7, s7, -1
	s_cmp_eq_u32 s6, s7
	s_waitcnt vmcnt(9)
	ds_write_b64 v19, v[4:5] offset:2048
	v_lshlrev_b32_e32 v4, 3, v18
	s_waitcnt vmcnt(8)
	ds_write_b64 v4, v[8:9] offset:2048
	v_lshlrev_b32_e32 v4, 3, v17
	;; [unrolled: 3-line block ×5, first 2 shown]
	s_waitcnt vmcnt(4)
	ds_write_b64 v4, v[2:3] offset:2048
	s_waitcnt lgkmcnt(0)
	s_barrier
	ds_read_b64 v[2:3], v34
	v_mov_b32_e32 v5, s43
	v_lshlrev_b32_e32 v4, 3, v6
	ds_read_b64 v[8:9], v35
	ds_read_b64 v[10:11], v15
	;; [unrolled: 1-line block ×3, first 2 shown]
	v_mov_b32_e32 v22, s43
	s_waitcnt lgkmcnt(3)
	v_lshlrev_b64 v[2:3], 3, v[2:3]
	v_add_co_u32_e64 v12, s[0:1], s42, v2
	v_addc_co_u32_e64 v5, s[0:1], v5, v3, s[0:1]
	v_lshlrev_b64 v[2:3], 3, v[6:7]
	v_add_co_u32_e64 v2, s[0:1], v12, v2
	v_addc_co_u32_e64 v3, s[0:1], v5, v3, s[0:1]
	ds_read_b64 v[4:5], v4 offset:2048
	v_mad_u32_u24 v12, v6, 6, v37
	s_waitcnt lgkmcnt(3)
	v_lshlrev_b64 v[8:9], 3, v[8:9]
	ds_read_b64 v[16:17], v41
	ds_read_b64 v[18:19], v12 offset:40960
	ds_read_b64 v[20:21], v42
	v_add_co_u32_e64 v8, s[0:1], s42, v8
	s_waitcnt lgkmcnt(3)
	global_store_dwordx2 v[2:3], v[4:5], off
	ds_read2st64_b64 v[2:5], v12 offset0:16 offset1:32
	v_addc_co_u32_e64 v9, s[0:1], v22, v9, s[0:1]
	v_mov_b32_e32 v22, 0x2000
	v_lshl_or_b32 v22, v6, 3, v22
	v_add_co_u32_e64 v8, s[0:1], v8, v22
	v_addc_co_u32_e64 v9, s[0:1], 0, v9, s[0:1]
	s_waitcnt lgkmcnt(0)
	global_store_dwordx2 v[8:9], v[2:3], off
	v_lshlrev_b64 v[2:3], 3, v[10:11]
	v_mov_b32_e32 v8, s43
	v_add_co_u32_e64 v2, s[0:1], s42, v2
	v_addc_co_u32_e64 v3, s[0:1], v8, v3, s[0:1]
	v_lshlrev_b32_e32 v8, 3, v38
	v_add_co_u32_e64 v2, s[0:1], v2, v8
	v_addc_co_u32_e64 v3, s[0:1], 0, v3, s[0:1]
	global_store_dwordx2 v[2:3], v[4:5], off
	ds_read2st64_b64 v[2:5], v12 offset0:48 offset1:64
	v_lshlrev_b64 v[8:9], 3, v[14:15]
	v_mov_b32_e32 v10, s43
	v_add_co_u32_e64 v8, s[0:1], s42, v8
	v_addc_co_u32_e64 v9, s[0:1], v10, v9, s[0:1]
	v_lshlrev_b32_e32 v10, 3, v39
	v_add_co_u32_e64 v8, s[0:1], v8, v10
	v_addc_co_u32_e64 v9, s[0:1], 0, v9, s[0:1]
	s_waitcnt lgkmcnt(0)
	global_store_dwordx2 v[8:9], v[2:3], off
	v_lshlrev_b64 v[2:3], 3, v[16:17]
	v_mov_b32_e32 v8, s43
	v_add_co_u32_e64 v2, s[0:1], s42, v2
	v_addc_co_u32_e64 v3, s[0:1], v8, v3, s[0:1]
	v_lshlrev_b32_e32 v8, 3, v26
	v_add_co_u32_e64 v2, s[0:1], v2, v8
	v_addc_co_u32_e64 v3, s[0:1], 0, v3, s[0:1]
	global_store_dwordx2 v[2:3], v[4:5], off
	v_lshlrev_b64 v[2:3], 3, v[20:21]
	v_mov_b32_e32 v4, s43
	v_add_co_u32_e64 v2, s[0:1], s42, v2
	v_addc_co_u32_e64 v3, s[0:1], v4, v3, s[0:1]
	v_lshlrev_b32_e32 v4, 3, v27
	v_add_co_u32_e64 v2, s[0:1], v2, v4
	v_addc_co_u32_e64 v3, s[0:1], 0, v3, s[0:1]
	s_cselect_b64 s[0:1], -1, 0
	s_and_b64 s[2:3], vcc, s[0:1]
	global_store_dwordx2 v[2:3], v[18:19], off
                                        ; implicit-def: $vgpr4_vgpr5
	s_and_saveexec_b64 s[0:1], s[2:3]
; %bb.122:
	v_add_co_u32_e32 v4, vcc, v0, v13
	v_addc_co_u32_e32 v5, vcc, 0, v1, vcc
	s_or_b64 s[10:11], s[10:11], exec
; %bb.123:
	s_or_b64 exec, exec, s[0:1]
.LBB63_124:
	s_and_saveexec_b64 s[0:1], s[10:11]
	s_cbranch_execnz .LBB63_126
; %bb.125:
	s_endpgm
.LBB63_126:
	v_lshlrev_b32_e32 v2, 3, v6
	ds_read_b64 v[2:3], v2
	v_lshlrev_b64 v[0:1], 3, v[6:7]
	v_mov_b32_e32 v6, s47
	v_add_co_u32_e32 v0, vcc, s46, v0
	v_addc_co_u32_e32 v1, vcc, v6, v1, vcc
	s_waitcnt lgkmcnt(0)
	v_add_co_u32_e32 v2, vcc, v2, v4
	v_addc_co_u32_e32 v3, vcc, v3, v5, vcc
	global_store_dwordx2 v[0:1], v[2:3], off
	s_endpgm
.LBB63_127:
	global_load_dwordx2 v[4:5], v[18:19], off
	s_or_b64 exec, exec, s[28:29]
                                        ; implicit-def: $vgpr8_vgpr9
	s_and_saveexec_b64 s[28:29], s[0:1]
	s_cbranch_execz .LBB63_59
.LBB63_128:
	global_load_dwordx2 v[8:9], v[18:19], off offset:512
	s_or_b64 exec, exec, s[28:29]
                                        ; implicit-def: $vgpr10_vgpr11
	s_and_saveexec_b64 s[0:1], s[2:3]
	s_cbranch_execz .LBB63_60
.LBB63_129:
	global_load_dwordx2 v[10:11], v[18:19], off offset:1024
	s_or_b64 exec, exec, s[0:1]
                                        ; implicit-def: $vgpr12_vgpr13
	s_and_saveexec_b64 s[0:1], s[26:27]
	s_cbranch_execz .LBB63_61
.LBB63_130:
	global_load_dwordx2 v[12:13], v[18:19], off offset:1536
	s_or_b64 exec, exec, s[0:1]
                                        ; implicit-def: $vgpr14_vgpr15
	s_and_saveexec_b64 s[0:1], s[8:9]
	s_cbranch_execz .LBB63_62
.LBB63_131:
	global_load_dwordx2 v[14:15], v[18:19], off offset:2048
	s_or_b64 exec, exec, s[0:1]
                                        ; implicit-def: $vgpr16_vgpr17
	s_and_saveexec_b64 s[0:1], s[10:11]
	s_cbranch_execnz .LBB63_63
	s_branch .LBB63_64
.LBB63_132:
	v_lshlrev_b32_e32 v5, 3, v35
	ds_read_b64 v[8:9], v5
	ds_read_b64 v[10:11], v4 offset:2048
	v_mov_b32_e32 v5, s43
	s_waitcnt lgkmcnt(1)
	v_lshlrev_b64 v[8:9], 3, v[8:9]
	v_add_co_u32_e32 v8, vcc, s42, v8
	v_addc_co_u32_e32 v5, vcc, v5, v9, vcc
	v_add_co_u32_e32 v8, vcc, v8, v4
	v_addc_co_u32_e32 v9, vcc, 0, v5, vcc
	s_waitcnt lgkmcnt(0)
	global_store_dwordx2 v[8:9], v[10:11], off
	s_or_b64 exec, exec, s[0:1]
	s_and_saveexec_b64 s[0:1], s[16:17]
	s_cbranch_execz .LBB63_78
.LBB63_133:
	v_lshlrev_b32_e32 v5, 3, v33
	ds_read_b64 v[8:9], v5
	ds_read_b64 v[10:11], v4 offset:10240
	v_mov_b32_e32 v5, s43
	s_waitcnt lgkmcnt(1)
	v_lshlrev_b64 v[8:9], 3, v[8:9]
	v_add_co_u32_e32 v8, vcc, s42, v8
	v_addc_co_u32_e32 v5, vcc, v5, v9, vcc
	v_lshlrev_b32_e32 v9, 3, v22
	v_add_co_u32_e32 v8, vcc, v8, v9
	v_addc_co_u32_e32 v9, vcc, 0, v5, vcc
	s_waitcnt lgkmcnt(0)
	global_store_dwordx2 v[8:9], v[10:11], off
	s_or_b64 exec, exec, s[0:1]
	s_and_saveexec_b64 s[0:1], s[18:19]
	s_cbranch_execz .LBB63_79
.LBB63_134:
	v_lshlrev_b32_e32 v5, 3, v34
	ds_read_b64 v[8:9], v5
	ds_read_b64 v[10:11], v4 offset:18432
	v_mov_b32_e32 v5, s43
	s_waitcnt lgkmcnt(1)
	v_lshlrev_b64 v[8:9], 3, v[8:9]
	v_add_co_u32_e32 v8, vcc, s42, v8
	v_addc_co_u32_e32 v5, vcc, v5, v9, vcc
	v_lshlrev_b32_e32 v9, 3, v28
	v_add_co_u32_e32 v8, vcc, v8, v9
	v_addc_co_u32_e32 v9, vcc, 0, v5, vcc
	s_waitcnt lgkmcnt(0)
	global_store_dwordx2 v[8:9], v[10:11], off
	s_or_b64 exec, exec, s[0:1]
	s_and_saveexec_b64 s[0:1], s[20:21]
	s_cbranch_execz .LBB63_80
.LBB63_135:
	v_lshlrev_b32_e32 v5, 3, v18
	ds_read_b64 v[8:9], v5
	ds_read_b64 v[10:11], v4 offset:26624
	v_mov_b32_e32 v5, s43
	s_waitcnt lgkmcnt(1)
	v_lshlrev_b64 v[8:9], 3, v[8:9]
	v_add_co_u32_e32 v8, vcc, s42, v8
	v_addc_co_u32_e32 v5, vcc, v5, v9, vcc
	v_lshlrev_b32_e32 v9, 3, v29
	v_add_co_u32_e32 v8, vcc, v8, v9
	v_addc_co_u32_e32 v9, vcc, 0, v5, vcc
	s_waitcnt lgkmcnt(0)
	global_store_dwordx2 v[8:9], v[10:11], off
	s_or_b64 exec, exec, s[0:1]
	s_and_saveexec_b64 s[0:1], s[22:23]
	s_cbranch_execz .LBB63_81
.LBB63_136:
	v_lshlrev_b32_e32 v5, 3, v19
	ds_read_b64 v[8:9], v5
	ds_read_b64 v[10:11], v4 offset:34816
	v_mov_b32_e32 v5, s43
	s_waitcnt lgkmcnt(1)
	v_lshlrev_b64 v[8:9], 3, v[8:9]
	v_add_co_u32_e32 v8, vcc, s42, v8
	v_addc_co_u32_e32 v5, vcc, v5, v9, vcc
	v_lshlrev_b32_e32 v9, 3, v30
	v_add_co_u32_e32 v8, vcc, v8, v9
	v_addc_co_u32_e32 v9, vcc, 0, v5, vcc
	s_waitcnt lgkmcnt(0)
	global_store_dwordx2 v[8:9], v[10:11], off
	s_or_b64 exec, exec, s[0:1]
	s_and_saveexec_b64 s[0:1], s[24:25]
	s_cbranch_execnz .LBB63_82
	s_branch .LBB63_83
	.section	.rodata,"a",@progbits
	.p2align	6, 0x0
	.amdhsa_kernel _ZN7rocprim17ROCPRIM_304000_NS6detail25onesweep_iteration_kernelINS1_34wrapped_radix_sort_onesweep_configINS0_14default_configEsN2at4cuda3cub6detail10OpaqueTypeILi8EEEEELb1EPsSC_PSA_SD_mNS0_19identity_decomposerEEEvT1_T2_T3_T4_jPT5_SK_PNS1_23onesweep_lookback_stateET6_jjj
		.amdhsa_group_segment_fixed_size 51200
		.amdhsa_private_segment_fixed_size 0
		.amdhsa_kernarg_size 336
		.amdhsa_user_sgpr_count 6
		.amdhsa_user_sgpr_private_segment_buffer 1
		.amdhsa_user_sgpr_dispatch_ptr 0
		.amdhsa_user_sgpr_queue_ptr 0
		.amdhsa_user_sgpr_kernarg_segment_ptr 1
		.amdhsa_user_sgpr_dispatch_id 0
		.amdhsa_user_sgpr_flat_scratch_init 0
		.amdhsa_user_sgpr_kernarg_preload_length 0
		.amdhsa_user_sgpr_kernarg_preload_offset 0
		.amdhsa_user_sgpr_private_segment_size 0
		.amdhsa_uses_dynamic_stack 0
		.amdhsa_system_sgpr_private_segment_wavefront_offset 0
		.amdhsa_system_sgpr_workgroup_id_x 1
		.amdhsa_system_sgpr_workgroup_id_y 0
		.amdhsa_system_sgpr_workgroup_id_z 0
		.amdhsa_system_sgpr_workgroup_info 0
		.amdhsa_system_vgpr_workitem_id 2
		.amdhsa_next_free_vgpr 44
		.amdhsa_next_free_sgpr 52
		.amdhsa_accum_offset 44
		.amdhsa_reserve_vcc 1
		.amdhsa_reserve_flat_scratch 0
		.amdhsa_float_round_mode_32 0
		.amdhsa_float_round_mode_16_64 0
		.amdhsa_float_denorm_mode_32 3
		.amdhsa_float_denorm_mode_16_64 3
		.amdhsa_dx10_clamp 1
		.amdhsa_ieee_mode 1
		.amdhsa_fp16_overflow 0
		.amdhsa_tg_split 0
		.amdhsa_exception_fp_ieee_invalid_op 0
		.amdhsa_exception_fp_denorm_src 0
		.amdhsa_exception_fp_ieee_div_zero 0
		.amdhsa_exception_fp_ieee_overflow 0
		.amdhsa_exception_fp_ieee_underflow 0
		.amdhsa_exception_fp_ieee_inexact 0
		.amdhsa_exception_int_div_zero 0
	.end_amdhsa_kernel
	.section	.text._ZN7rocprim17ROCPRIM_304000_NS6detail25onesweep_iteration_kernelINS1_34wrapped_radix_sort_onesweep_configINS0_14default_configEsN2at4cuda3cub6detail10OpaqueTypeILi8EEEEELb1EPsSC_PSA_SD_mNS0_19identity_decomposerEEEvT1_T2_T3_T4_jPT5_SK_PNS1_23onesweep_lookback_stateET6_jjj,"axG",@progbits,_ZN7rocprim17ROCPRIM_304000_NS6detail25onesweep_iteration_kernelINS1_34wrapped_radix_sort_onesweep_configINS0_14default_configEsN2at4cuda3cub6detail10OpaqueTypeILi8EEEEELb1EPsSC_PSA_SD_mNS0_19identity_decomposerEEEvT1_T2_T3_T4_jPT5_SK_PNS1_23onesweep_lookback_stateET6_jjj,comdat
.Lfunc_end63:
	.size	_ZN7rocprim17ROCPRIM_304000_NS6detail25onesweep_iteration_kernelINS1_34wrapped_radix_sort_onesweep_configINS0_14default_configEsN2at4cuda3cub6detail10OpaqueTypeILi8EEEEELb1EPsSC_PSA_SD_mNS0_19identity_decomposerEEEvT1_T2_T3_T4_jPT5_SK_PNS1_23onesweep_lookback_stateET6_jjj, .Lfunc_end63-_ZN7rocprim17ROCPRIM_304000_NS6detail25onesweep_iteration_kernelINS1_34wrapped_radix_sort_onesweep_configINS0_14default_configEsN2at4cuda3cub6detail10OpaqueTypeILi8EEEEELb1EPsSC_PSA_SD_mNS0_19identity_decomposerEEEvT1_T2_T3_T4_jPT5_SK_PNS1_23onesweep_lookback_stateET6_jjj
                                        ; -- End function
	.section	.AMDGPU.csdata,"",@progbits
; Kernel info:
; codeLenInByte = 11612
; NumSgprs: 56
; NumVgprs: 44
; NumAgprs: 0
; TotalNumVgprs: 44
; ScratchSize: 0
; MemoryBound: 0
; FloatMode: 240
; IeeeMode: 1
; LDSByteSize: 51200 bytes/workgroup (compile time only)
; SGPRBlocks: 6
; VGPRBlocks: 5
; NumSGPRsForWavesPerEU: 56
; NumVGPRsForWavesPerEU: 44
; AccumOffset: 44
; Occupancy: 4
; WaveLimiterHint : 1
; COMPUTE_PGM_RSRC2:SCRATCH_EN: 0
; COMPUTE_PGM_RSRC2:USER_SGPR: 6
; COMPUTE_PGM_RSRC2:TRAP_HANDLER: 0
; COMPUTE_PGM_RSRC2:TGID_X_EN: 1
; COMPUTE_PGM_RSRC2:TGID_Y_EN: 0
; COMPUTE_PGM_RSRC2:TGID_Z_EN: 0
; COMPUTE_PGM_RSRC2:TIDIG_COMP_CNT: 2
; COMPUTE_PGM_RSRC3_GFX90A:ACCUM_OFFSET: 10
; COMPUTE_PGM_RSRC3_GFX90A:TG_SPLIT: 0
	.section	.text._ZN7rocprim17ROCPRIM_304000_NS6detail28radix_sort_block_sort_kernelINS1_36wrapped_radix_sort_block_sort_configINS0_13kernel_configILj256ELj4ELj4294967295EEEsN2at4cuda3cub6detail10OpaqueTypeILi8EEEEELb0EPKsPsPKSB_PSB_NS0_19identity_decomposerEEEvT1_T2_T3_T4_jT5_jj,"axG",@progbits,_ZN7rocprim17ROCPRIM_304000_NS6detail28radix_sort_block_sort_kernelINS1_36wrapped_radix_sort_block_sort_configINS0_13kernel_configILj256ELj4ELj4294967295EEEsN2at4cuda3cub6detail10OpaqueTypeILi8EEEEELb0EPKsPsPKSB_PSB_NS0_19identity_decomposerEEEvT1_T2_T3_T4_jT5_jj,comdat
	.protected	_ZN7rocprim17ROCPRIM_304000_NS6detail28radix_sort_block_sort_kernelINS1_36wrapped_radix_sort_block_sort_configINS0_13kernel_configILj256ELj4ELj4294967295EEEsN2at4cuda3cub6detail10OpaqueTypeILi8EEEEELb0EPKsPsPKSB_PSB_NS0_19identity_decomposerEEEvT1_T2_T3_T4_jT5_jj ; -- Begin function _ZN7rocprim17ROCPRIM_304000_NS6detail28radix_sort_block_sort_kernelINS1_36wrapped_radix_sort_block_sort_configINS0_13kernel_configILj256ELj4ELj4294967295EEEsN2at4cuda3cub6detail10OpaqueTypeILi8EEEEELb0EPKsPsPKSB_PSB_NS0_19identity_decomposerEEEvT1_T2_T3_T4_jT5_jj
	.globl	_ZN7rocprim17ROCPRIM_304000_NS6detail28radix_sort_block_sort_kernelINS1_36wrapped_radix_sort_block_sort_configINS0_13kernel_configILj256ELj4ELj4294967295EEEsN2at4cuda3cub6detail10OpaqueTypeILi8EEEEELb0EPKsPsPKSB_PSB_NS0_19identity_decomposerEEEvT1_T2_T3_T4_jT5_jj
	.p2align	8
	.type	_ZN7rocprim17ROCPRIM_304000_NS6detail28radix_sort_block_sort_kernelINS1_36wrapped_radix_sort_block_sort_configINS0_13kernel_configILj256ELj4ELj4294967295EEEsN2at4cuda3cub6detail10OpaqueTypeILi8EEEEELb0EPKsPsPKSB_PSB_NS0_19identity_decomposerEEEvT1_T2_T3_T4_jT5_jj,@function
_ZN7rocprim17ROCPRIM_304000_NS6detail28radix_sort_block_sort_kernelINS1_36wrapped_radix_sort_block_sort_configINS0_13kernel_configILj256ELj4ELj4294967295EEEsN2at4cuda3cub6detail10OpaqueTypeILi8EEEEELb0EPKsPsPKSB_PSB_NS0_19identity_decomposerEEEvT1_T2_T3_T4_jT5_jj: ; @_ZN7rocprim17ROCPRIM_304000_NS6detail28radix_sort_block_sort_kernelINS1_36wrapped_radix_sort_block_sort_configINS0_13kernel_configILj256ELj4ELj4294967295EEEsN2at4cuda3cub6detail10OpaqueTypeILi8EEEEELb0EPKsPsPKSB_PSB_NS0_19identity_decomposerEEEvT1_T2_T3_T4_jT5_jj
; %bb.0:
	s_load_dword s2, s[4:5], 0x20
	s_load_dwordx8 s[36:43], s[4:5], 0x0
	s_lshl_b32 s28, s6, 10
	s_mov_b32 s29, 0
	v_mbcnt_lo_u32_b32 v1, -1, 0
	s_waitcnt lgkmcnt(0)
	s_lshr_b32 s0, s2, 10
	s_cmp_lg_u32 s6, s0
	s_cselect_b64 s[30:31], -1, 0
	s_lshl_b64 s[34:35], s[28:29], 1
	v_and_b32_e32 v8, 0x3ff, v0
	s_add_u32 s1, s36, s34
	v_mbcnt_hi_u32_b32 v1, -1, v1
	s_addc_u32 s3, s37, s35
	v_lshlrev_b32_e32 v6, 2, v8
	v_lshlrev_b32_e32 v2, 1, v1
	v_and_b32_e32 v7, 0x300, v6
	v_mov_b32_e32 v3, s3
	v_add_co_u32_e32 v2, vcc, s1, v2
	v_addc_co_u32_e32 v3, vcc, 0, v3, vcc
	v_lshlrev_b32_e32 v4, 1, v7
	v_add_co_u32_e32 v4, vcc, v2, v4
	s_cmp_eq_u32 s6, s0
	v_addc_co_u32_e32 v5, vcc, 0, v3, vcc
	v_lshlrev_b32_e32 v13, 3, v1
	v_lshlrev_b32_e32 v12, 3, v7
	v_add_u32_e32 v9, v1, v7
	s_cbranch_scc1 .LBB64_2
; %bb.1:
	s_lshl_b64 s[0:1], s[28:29], 3
	s_add_u32 s0, s40, s0
	s_addc_u32 s1, s41, s1
	v_mov_b32_e32 v2, s1
	v_add_co_u32_e32 v3, vcc, s0, v13
	v_addc_co_u32_e32 v16, vcc, 0, v2, vcc
	v_add_co_u32_e32 v2, vcc, v3, v12
	v_addc_co_u32_e32 v3, vcc, 0, v16, vcc
	global_load_ushort v10, v[4:5], off
	global_load_ushort v11, v[4:5], off offset:128
	global_load_ushort v14, v[4:5], off offset:256
	;; [unrolled: 1-line block ×3, first 2 shown]
	global_load_dwordx2 v[20:21], v[2:3], off
	global_load_dwordx2 v[22:23], v[2:3], off offset:512
	global_load_dwordx2 v[24:25], v[2:3], off offset:1024
	;; [unrolled: 1-line block ×3, first 2 shown]
	s_mov_b32 s0, 0x5040100
	s_waitcnt vmcnt(6)
	v_perm_b32 v2, v11, v10, s0
	s_waitcnt vmcnt(4)
	v_perm_b32 v3, v15, v14, s0
	v_add_u32_e32 v14, v1, v7
	v_add_u32_e32 v7, 64, v14
	v_add_u32_e32 v10, 0x80, v14
	v_add_u32_e32 v11, 0xc0, v14
	s_sub_i32 s33, s2, s28
	s_cbranch_execz .LBB64_3
	s_branch .LBB64_17
.LBB64_2:
                                        ; implicit-def: $vgpr2_vgpr3
                                        ; implicit-def: $vgpr20_vgpr21
                                        ; implicit-def: $vgpr22_vgpr23
                                        ; implicit-def: $vgpr24_vgpr25
                                        ; implicit-def: $vgpr26_vgpr27
                                        ; implicit-def: $vgpr14
                                        ; implicit-def: $vgpr7
                                        ; implicit-def: $vgpr10
                                        ; implicit-def: $vgpr11
	s_sub_i32 s33, s2, s28
.LBB64_3:
	s_mov_b32 s0, 0x7fff7fff
	s_mov_b32 s1, s0
	v_cmp_gt_u32_e32 vcc, s33, v9
	v_pk_mov_b32 v[2:3], s[0:1], s[0:1] op_sel:[0,1]
	s_and_saveexec_b64 s[0:1], vcc
	s_cbranch_execz .LBB64_5
; %bb.4:
	global_load_ushort v2, v[4:5], off
	s_movk_i32 s2, 0x7fff
	v_mov_b32_e32 v3, 0x5040100
	s_waitcnt vmcnt(0)
	v_perm_b32 v2, s2, v2, v3
	v_mov_b32_e32 v3, 0x7fff7fff
.LBB64_5:
	s_or_b64 exec, exec, s[0:1]
	v_add_u32_e32 v7, 64, v9
	v_cmp_gt_u32_e64 s[0:1], s33, v7
	s_and_saveexec_b64 s[2:3], s[0:1]
	s_cbranch_execz .LBB64_7
; %bb.6:
	global_load_ushort v10, v[4:5], off offset:128
	s_mov_b32 s6, 0x5040100
	s_waitcnt vmcnt(0)
	v_perm_b32 v2, v10, v2, s6
.LBB64_7:
	s_or_b64 exec, exec, s[2:3]
	v_add_u32_e32 v10, 0x80, v9
	v_cmp_gt_u32_e64 s[2:3], s33, v10
	s_and_saveexec_b64 s[6:7], s[2:3]
	s_cbranch_execz .LBB64_9
; %bb.8:
	global_load_ushort v11, v[4:5], off offset:256
	s_mov_b32 s8, 0xffff
	s_waitcnt vmcnt(0)
	v_bfi_b32 v3, s8, v11, v3
.LBB64_9:
	s_or_b64 exec, exec, s[6:7]
	v_add_u32_e32 v11, 0xc0, v9
	v_cmp_gt_u32_e64 s[6:7], s33, v11
	s_and_saveexec_b64 s[8:9], s[6:7]
	s_cbranch_execz .LBB64_11
; %bb.10:
	global_load_ushort v4, v[4:5], off offset:384
	s_mov_b32 s10, 0x5040100
	s_waitcnt vmcnt(0)
	v_perm_b32 v3, v4, v3, s10
.LBB64_11:
	s_or_b64 exec, exec, s[8:9]
	s_lshl_b64 s[8:9], s[28:29], 3
	s_add_u32 s8, s40, s8
	s_addc_u32 s9, s41, s9
	v_mov_b32_e32 v4, s9
	v_add_co_u32_e64 v5, s[8:9], s8, v13
	v_addc_co_u32_e64 v13, s[8:9], 0, v4, s[8:9]
	v_add_co_u32_e64 v4, s[8:9], v5, v12
	v_addc_co_u32_e64 v5, s[8:9], 0, v13, s[8:9]
                                        ; implicit-def: $vgpr20_vgpr21
	s_and_saveexec_b64 s[8:9], vcc
	s_cbranch_execnz .LBB64_54
; %bb.12:
	s_or_b64 exec, exec, s[8:9]
                                        ; implicit-def: $vgpr22_vgpr23
	s_and_saveexec_b64 s[8:9], s[0:1]
	s_cbranch_execnz .LBB64_55
.LBB64_13:
	s_or_b64 exec, exec, s[8:9]
                                        ; implicit-def: $vgpr24_vgpr25
	s_and_saveexec_b64 s[0:1], s[2:3]
	s_cbranch_execnz .LBB64_56
.LBB64_14:
	s_or_b64 exec, exec, s[0:1]
                                        ; implicit-def: $vgpr26_vgpr27
	s_and_saveexec_b64 s[0:1], s[6:7]
	s_cbranch_execz .LBB64_16
.LBB64_15:
	global_load_dwordx2 v[26:27], v[4:5], off offset:1536
.LBB64_16:
	s_or_b64 exec, exec, s[0:1]
	v_mov_b32_e32 v14, v9
.LBB64_17:
	s_load_dwordx2 s[36:37], s[4:5], 0x28
	s_load_dword s0, s[4:5], 0x3c
	v_xor_b32_e32 v48, 0x80008000, v3
	v_bfe_u32 v3, v0, 10, 10
	v_bfe_u32 v0, v0, 20, 10
	s_mov_b32 s26, 0
	s_waitcnt lgkmcnt(0)
	s_lshr_b32 s1, s0, 16
	s_and_b32 s0, s0, 0xffff
	v_mad_u32_u24 v0, v0, s1, v3
	v_mad_u64_u32 v[4:5], s[0:1], v0, s0, v[8:9]
	v_and_b32_e32 v0, 15, v1
	v_cmp_eq_u32_e64 s[0:1], 0, v0
	v_cmp_lt_u32_e64 s[2:3], 1, v0
	v_cmp_lt_u32_e64 s[4:5], 3, v0
	;; [unrolled: 1-line block ×3, first 2 shown]
	v_and_b32_e32 v0, 16, v1
	v_cmp_eq_u32_e64 s[8:9], 0, v0
	v_and_b32_e32 v0, 0x3c0, v8
	v_min_u32_e32 v0, 0xc0, v0
	v_or_b32_e32 v0, 63, v0
	v_cmp_eq_u32_e64 s[12:13], v0, v8
	v_add_u32_e32 v0, -1, v1
	v_and_b32_e32 v3, 64, v1
	v_cmp_lt_i32_e32 vcc, v0, v3
	v_cndmask_b32_e32 v0, v0, v1, vcc
	v_cmp_lt_u32_e64 s[10:11], 31, v1
	v_lshlrev_b32_e32 v31, 2, v0
	v_cmp_eq_u32_e64 s[18:19], 0, v1
	v_lshrrev_b32_e32 v0, 4, v8
	v_and_b32_e32 v1, 3, v1
	v_lshlrev_b32_e32 v9, 2, v6
	v_lshrrev_b32_e32 v29, 6, v4
	v_and_b32_e32 v32, 60, v0
	v_mul_i32_i24_e32 v0, -12, v8
	v_cmp_eq_u32_e64 s[22:23], 0, v1
	v_cmp_lt_u32_e64 s[24:25], 1, v1
	v_lshlrev_b32_e32 v34, 1, v14
	v_lshlrev_b32_e32 v35, 1, v7
	;; [unrolled: 1-line block ×4, first 2 shown]
	v_mul_lo_u32 v1, v14, 6
	v_mul_lo_u32 v3, v7, 6
	v_mul_lo_u32 v4, v10, 6
	v_mul_lo_u32 v5, v11, 6
	s_mov_b32 s27, s26
	s_mov_b32 s44, s26
	;; [unrolled: 1-line block ×3, first 2 shown]
	s_add_i32 s40, s37, s36
	v_cmp_gt_u32_e64 s[14:15], 4, v8
	v_cmp_lt_u32_e64 s[16:17], 63, v8
	v_cmp_eq_u32_e64 s[20:21], 0, v8
	v_add_u32_e32 v33, -4, v32
	v_xor_b32_e32 v44, 0x80008000, v2
	v_pk_mov_b32 v[12:13], s[26:27], s[26:27] op_sel:[0,1]
	v_pk_mov_b32 v[16:17], s[44:45], s[44:45] op_sel:[0,1]
	v_add_u32_e32 v38, v9, v0
	v_add_u32_e32 v39, v34, v1
	;; [unrolled: 1-line block ×5, first 2 shown]
	s_mov_b32 s41, 0x5040100
	v_mov_b32_e32 v18, 0
	s_branch .LBB64_19
.LBB64_18:                              ;   in Loop: Header=BB64_19 Depth=1
	v_mad_u64_u32 v[20:21], s[26:27], v47, 6, v[30:31]
	s_barrier
	ds_write_b16 v30, v44
	ds_write_b16 v28, v45
	;; [unrolled: 1-line block ×4, first 2 shown]
	s_waitcnt lgkmcnt(0)
	s_barrier
	ds_read_u16 v44, v34
	ds_read_u16 v48, v35
	;; [unrolled: 1-line block ×4, first 2 shown]
	s_waitcnt lgkmcnt(0)
	s_barrier
	ds_write_b64 v20, v[14:15]
	v_mad_u64_u32 v[20:21], s[26:27], v19, 6, v[28:29]
	ds_write_b64 v20, v[10:11]
	v_mad_u64_u32 v[20:21], s[26:27], v3, 6, v[2:3]
	;; [unrolled: 2-line block ×3, first 2 shown]
	ds_write_b64 v20, v[4:5]
	s_waitcnt lgkmcnt(0)
	s_barrier
	ds_read_b64 v[20:21], v39
	ds_read_b64 v[22:23], v40
	;; [unrolled: 1-line block ×4, first 2 shown]
	v_perm_b32 v44, v48, v44, s41
	v_perm_b32 v48, v51, v50, s41
	s_add_i32 s37, s37, -8
	s_waitcnt lgkmcnt(0)
	s_barrier
	s_cbranch_execz .LBB64_35
.LBB64_19:                              ; =>This Inner Loop Header: Depth=1
	s_min_u32 s26, s37, 8
	s_lshl_b32 s26, -1, s26
	s_not_b32 s44, s26
	v_lshrrev_b32_sdwa v0, s36, v44 dst_sel:DWORD dst_unused:UNUSED_PAD src0_sel:DWORD src1_sel:WORD_0
	v_and_b32_e32 v0, s44, v0
	v_lshl_add_u32 v1, v0, 2, v29
	s_waitcnt vmcnt(0)
	v_pk_mov_b32 v[14:15], v[20:21], v[20:21] op_sel:[0,1]
	v_lshl_add_u32 v20, v1, 2, 16
	v_and_b32_e32 v1, 1, v0
	v_add_co_u32_e32 v2, vcc, -1, v1
	v_addc_co_u32_e64 v3, s[26:27], 0, -1, vcc
	v_cmp_ne_u32_e32 vcc, 0, v1
	v_lshlrev_b32_e32 v19, 30, v0
	v_xor_b32_e32 v1, vcc_hi, v3
	v_not_b32_e32 v3, v19
	v_xor_b32_e32 v2, vcc_lo, v2
	v_cmp_gt_i64_e32 vcc, 0, v[18:19]
	v_ashrrev_i32_e32 v3, 31, v3
	v_and_b32_e32 v1, exec_hi, v1
	v_xor_b32_e32 v19, vcc_hi, v3
	v_and_b32_e32 v2, exec_lo, v2
	v_xor_b32_e32 v3, vcc_lo, v3
	v_and_b32_e32 v1, v1, v19
	v_lshlrev_b32_e32 v19, 29, v0
	v_and_b32_e32 v2, v2, v3
	v_not_b32_e32 v3, v19
	v_cmp_gt_i64_e32 vcc, 0, v[18:19]
	v_ashrrev_i32_e32 v3, 31, v3
	v_xor_b32_e32 v19, vcc_hi, v3
	v_xor_b32_e32 v3, vcc_lo, v3
	v_and_b32_e32 v1, v1, v19
	v_lshlrev_b32_e32 v19, 28, v0
	v_and_b32_e32 v2, v2, v3
	v_not_b32_e32 v3, v19
	v_cmp_gt_i64_e32 vcc, 0, v[18:19]
	v_ashrrev_i32_e32 v3, 31, v3
	v_xor_b32_e32 v19, vcc_hi, v3
	;; [unrolled: 8-line block ×5, first 2 shown]
	v_and_b32_e32 v1, v1, v19
	v_lshlrev_b32_e32 v19, 24, v0
	v_not_b32_e32 v0, v19
	v_xor_b32_e32 v3, vcc_lo, v3
	v_cmp_gt_i64_e32 vcc, 0, v[18:19]
	v_ashrrev_i32_e32 v0, 31, v0
	v_and_b32_e32 v2, v2, v3
	v_xor_b32_e32 v3, vcc_hi, v0
	v_xor_b32_e32 v0, vcc_lo, v0
	v_and_b32_e32 v0, v2, v0
	v_and_b32_e32 v1, v1, v3
	v_mbcnt_lo_u32_b32 v2, v0, 0
	v_mbcnt_hi_u32_b32 v21, v1, v2
	v_cmp_eq_u32_e32 vcc, 0, v21
	v_cmp_ne_u64_e64 s[26:27], 0, v[0:1]
	v_mov_b32_e32 v43, v48
	v_pk_mov_b32 v[10:11], v[22:23], v[22:23] op_sel:[0,1]
	v_pk_mov_b32 v[6:7], v[24:25], v[24:25] op_sel:[0,1]
	v_pk_mov_b32 v[4:5], v[26:27], v[26:27] op_sel:[0,1]
	s_and_b64 s[46:47], s[26:27], vcc
	ds_write2_b64 v9, v[12:13], v[16:17] offset0:2 offset1:3
	s_waitcnt lgkmcnt(0)
	s_barrier
	s_waitcnt lgkmcnt(0)
	; wave barrier
	s_and_saveexec_b64 s[26:27], s[46:47]
	s_cbranch_execz .LBB64_21
; %bb.20:                               ;   in Loop: Header=BB64_19 Depth=1
	v_bcnt_u32_b32 v0, v0, 0
	v_bcnt_u32_b32 v0, v1, v0
	ds_write_b32 v20, v0
.LBB64_21:                              ;   in Loop: Header=BB64_19 Depth=1
	s_or_b64 exec, exec, s[26:27]
	v_lshrrev_b32_e32 v45, 16, v44
	v_lshrrev_b32_e32 v0, s36, v45
	v_and_b32_e32 v0, s44, v0
	v_lshlrev_b32_e32 v1, 2, v0
	v_add_lshl_u32 v1, v1, v29, 2
	; wave barrier
	v_add_u32_e32 v23, 16, v1
	ds_read_b32 v22, v1 offset:16
	v_and_b32_e32 v1, 1, v0
	v_add_co_u32_e32 v2, vcc, -1, v1
	v_addc_co_u32_e64 v3, s[26:27], 0, -1, vcc
	v_cmp_ne_u32_e32 vcc, 0, v1
	v_lshlrev_b32_e32 v19, 30, v0
	v_xor_b32_e32 v1, vcc_hi, v3
	v_not_b32_e32 v3, v19
	v_xor_b32_e32 v2, vcc_lo, v2
	v_cmp_gt_i64_e32 vcc, 0, v[18:19]
	v_ashrrev_i32_e32 v3, 31, v3
	v_and_b32_e32 v1, exec_hi, v1
	v_xor_b32_e32 v19, vcc_hi, v3
	v_and_b32_e32 v2, exec_lo, v2
	v_xor_b32_e32 v3, vcc_lo, v3
	v_and_b32_e32 v1, v1, v19
	v_lshlrev_b32_e32 v19, 29, v0
	v_and_b32_e32 v2, v2, v3
	v_not_b32_e32 v3, v19
	v_cmp_gt_i64_e32 vcc, 0, v[18:19]
	v_ashrrev_i32_e32 v3, 31, v3
	v_xor_b32_e32 v19, vcc_hi, v3
	v_xor_b32_e32 v3, vcc_lo, v3
	v_and_b32_e32 v1, v1, v19
	v_lshlrev_b32_e32 v19, 28, v0
	v_and_b32_e32 v2, v2, v3
	v_not_b32_e32 v3, v19
	v_cmp_gt_i64_e32 vcc, 0, v[18:19]
	v_ashrrev_i32_e32 v3, 31, v3
	v_xor_b32_e32 v19, vcc_hi, v3
	;; [unrolled: 8-line block ×5, first 2 shown]
	v_and_b32_e32 v1, v1, v19
	v_lshlrev_b32_e32 v19, 24, v0
	v_not_b32_e32 v0, v19
	v_xor_b32_e32 v3, vcc_lo, v3
	v_cmp_gt_i64_e32 vcc, 0, v[18:19]
	v_ashrrev_i32_e32 v0, 31, v0
	v_and_b32_e32 v2, v2, v3
	v_xor_b32_e32 v3, vcc_hi, v0
	v_xor_b32_e32 v0, vcc_lo, v0
	v_and_b32_e32 v0, v2, v0
	v_and_b32_e32 v1, v1, v3
	v_mbcnt_lo_u32_b32 v2, v0, 0
	v_mbcnt_hi_u32_b32 v24, v1, v2
	v_cmp_eq_u32_e32 vcc, 0, v24
	v_cmp_ne_u64_e64 s[26:27], 0, v[0:1]
	s_and_b64 s[46:47], s[26:27], vcc
	; wave barrier
	s_and_saveexec_b64 s[26:27], s[46:47]
	s_cbranch_execz .LBB64_23
; %bb.22:                               ;   in Loop: Header=BB64_19 Depth=1
	v_bcnt_u32_b32 v0, v0, 0
	v_bcnt_u32_b32 v0, v1, v0
	s_waitcnt lgkmcnt(0)
	v_add_u32_e32 v0, v22, v0
	ds_write_b32 v23, v0
.LBB64_23:                              ;   in Loop: Header=BB64_19 Depth=1
	s_or_b64 exec, exec, s[26:27]
	v_lshrrev_b32_sdwa v0, s36, v43 dst_sel:DWORD dst_unused:UNUSED_PAD src0_sel:DWORD src1_sel:WORD_0
	v_and_b32_e32 v0, s44, v0
	v_lshlrev_b32_e32 v1, 2, v0
	v_add_lshl_u32 v1, v1, v29, 2
	; wave barrier
	v_add_u32_e32 v26, 16, v1
	ds_read_b32 v25, v1 offset:16
	v_and_b32_e32 v1, 1, v0
	v_add_co_u32_e32 v2, vcc, -1, v1
	v_addc_co_u32_e64 v3, s[26:27], 0, -1, vcc
	v_cmp_ne_u32_e32 vcc, 0, v1
	v_lshlrev_b32_e32 v19, 30, v0
	v_xor_b32_e32 v1, vcc_hi, v3
	v_not_b32_e32 v3, v19
	v_xor_b32_e32 v2, vcc_lo, v2
	v_cmp_gt_i64_e32 vcc, 0, v[18:19]
	v_ashrrev_i32_e32 v3, 31, v3
	v_and_b32_e32 v1, exec_hi, v1
	v_xor_b32_e32 v19, vcc_hi, v3
	v_and_b32_e32 v2, exec_lo, v2
	v_xor_b32_e32 v3, vcc_lo, v3
	v_and_b32_e32 v1, v1, v19
	v_lshlrev_b32_e32 v19, 29, v0
	v_and_b32_e32 v2, v2, v3
	v_not_b32_e32 v3, v19
	v_cmp_gt_i64_e32 vcc, 0, v[18:19]
	v_ashrrev_i32_e32 v3, 31, v3
	v_xor_b32_e32 v19, vcc_hi, v3
	v_xor_b32_e32 v3, vcc_lo, v3
	v_and_b32_e32 v1, v1, v19
	v_lshlrev_b32_e32 v19, 28, v0
	v_and_b32_e32 v2, v2, v3
	v_not_b32_e32 v3, v19
	v_cmp_gt_i64_e32 vcc, 0, v[18:19]
	v_ashrrev_i32_e32 v3, 31, v3
	v_xor_b32_e32 v19, vcc_hi, v3
	;; [unrolled: 8-line block ×5, first 2 shown]
	v_and_b32_e32 v1, v1, v19
	v_lshlrev_b32_e32 v19, 24, v0
	v_not_b32_e32 v0, v19
	v_xor_b32_e32 v3, vcc_lo, v3
	v_cmp_gt_i64_e32 vcc, 0, v[18:19]
	v_ashrrev_i32_e32 v0, 31, v0
	v_and_b32_e32 v2, v2, v3
	v_xor_b32_e32 v3, vcc_hi, v0
	v_xor_b32_e32 v0, vcc_lo, v0
	v_and_b32_e32 v0, v2, v0
	v_and_b32_e32 v1, v1, v3
	v_mbcnt_lo_u32_b32 v2, v0, 0
	v_mbcnt_hi_u32_b32 v27, v1, v2
	v_cmp_eq_u32_e32 vcc, 0, v27
	v_cmp_ne_u64_e64 s[26:27], 0, v[0:1]
	s_and_b64 s[46:47], s[26:27], vcc
	; wave barrier
	s_and_saveexec_b64 s[26:27], s[46:47]
	s_cbranch_execz .LBB64_25
; %bb.24:                               ;   in Loop: Header=BB64_19 Depth=1
	v_bcnt_u32_b32 v0, v0, 0
	v_bcnt_u32_b32 v0, v1, v0
	s_waitcnt lgkmcnt(0)
	v_add_u32_e32 v0, v25, v0
	ds_write_b32 v26, v0
.LBB64_25:                              ;   in Loop: Header=BB64_19 Depth=1
	s_or_b64 exec, exec, s[26:27]
	v_lshrrev_b32_e32 v46, 16, v43
	v_lshrrev_b32_e32 v0, s36, v46
	v_and_b32_e32 v0, s44, v0
	v_lshlrev_b32_e32 v1, 2, v0
	v_add_lshl_u32 v1, v1, v29, 2
	; wave barrier
	v_add_u32_e32 v30, 16, v1
	ds_read_b32 v28, v1 offset:16
	v_and_b32_e32 v1, 1, v0
	v_add_co_u32_e32 v2, vcc, -1, v1
	v_addc_co_u32_e64 v3, s[26:27], 0, -1, vcc
	v_cmp_ne_u32_e32 vcc, 0, v1
	v_lshlrev_b32_e32 v19, 30, v0
	v_xor_b32_e32 v1, vcc_hi, v3
	v_not_b32_e32 v3, v19
	v_xor_b32_e32 v2, vcc_lo, v2
	v_cmp_gt_i64_e32 vcc, 0, v[18:19]
	v_ashrrev_i32_e32 v3, 31, v3
	v_and_b32_e32 v1, exec_hi, v1
	v_xor_b32_e32 v19, vcc_hi, v3
	v_and_b32_e32 v2, exec_lo, v2
	v_xor_b32_e32 v3, vcc_lo, v3
	v_and_b32_e32 v1, v1, v19
	v_lshlrev_b32_e32 v19, 29, v0
	v_and_b32_e32 v2, v2, v3
	v_not_b32_e32 v3, v19
	v_cmp_gt_i64_e32 vcc, 0, v[18:19]
	v_ashrrev_i32_e32 v3, 31, v3
	v_xor_b32_e32 v19, vcc_hi, v3
	v_xor_b32_e32 v3, vcc_lo, v3
	v_and_b32_e32 v1, v1, v19
	v_lshlrev_b32_e32 v19, 28, v0
	v_and_b32_e32 v2, v2, v3
	v_not_b32_e32 v3, v19
	v_cmp_gt_i64_e32 vcc, 0, v[18:19]
	v_ashrrev_i32_e32 v3, 31, v3
	v_xor_b32_e32 v19, vcc_hi, v3
	;; [unrolled: 8-line block ×5, first 2 shown]
	v_and_b32_e32 v1, v1, v19
	v_lshlrev_b32_e32 v19, 24, v0
	v_not_b32_e32 v0, v19
	v_xor_b32_e32 v3, vcc_lo, v3
	v_cmp_gt_i64_e32 vcc, 0, v[18:19]
	v_ashrrev_i32_e32 v0, 31, v0
	v_and_b32_e32 v2, v2, v3
	v_xor_b32_e32 v3, vcc_hi, v0
	v_xor_b32_e32 v0, vcc_lo, v0
	v_and_b32_e32 v0, v2, v0
	v_and_b32_e32 v1, v1, v3
	v_mbcnt_lo_u32_b32 v2, v0, 0
	v_mbcnt_hi_u32_b32 v48, v1, v2
	v_cmp_eq_u32_e32 vcc, 0, v48
	v_cmp_ne_u64_e64 s[26:27], 0, v[0:1]
	s_and_b64 s[44:45], s[26:27], vcc
	; wave barrier
	s_and_saveexec_b64 s[26:27], s[44:45]
	s_cbranch_execz .LBB64_27
; %bb.26:                               ;   in Loop: Header=BB64_19 Depth=1
	v_bcnt_u32_b32 v0, v0, 0
	v_bcnt_u32_b32 v0, v1, v0
	s_waitcnt lgkmcnt(0)
	v_add_u32_e32 v0, v28, v0
	ds_write_b32 v30, v0
.LBB64_27:                              ;   in Loop: Header=BB64_19 Depth=1
	s_or_b64 exec, exec, s[26:27]
	; wave barrier
	s_waitcnt lgkmcnt(0)
	s_barrier
	ds_read2_b64 v[0:3], v9 offset0:2 offset1:3
	s_waitcnt lgkmcnt(0)
	v_add_u32_e32 v19, v1, v0
	v_add3_u32 v3, v19, v2, v3
	s_nop 1
	v_mov_b32_dpp v19, v3 row_shr:1 row_mask:0xf bank_mask:0xf
	v_cndmask_b32_e64 v19, v19, 0, s[0:1]
	v_add_u32_e32 v3, v19, v3
	s_nop 1
	v_mov_b32_dpp v19, v3 row_shr:2 row_mask:0xf bank_mask:0xf
	v_cndmask_b32_e64 v19, 0, v19, s[2:3]
	v_add_u32_e32 v3, v3, v19
	;; [unrolled: 4-line block ×4, first 2 shown]
	s_nop 1
	v_mov_b32_dpp v19, v3 row_bcast:15 row_mask:0xf bank_mask:0xf
	v_cndmask_b32_e64 v19, v19, 0, s[8:9]
	v_add_u32_e32 v3, v3, v19
	s_nop 1
	v_mov_b32_dpp v19, v3 row_bcast:31 row_mask:0xf bank_mask:0xf
	v_cndmask_b32_e64 v19, 0, v19, s[10:11]
	v_add_u32_e32 v3, v3, v19
	s_and_saveexec_b64 s[26:27], s[12:13]
	s_cbranch_execz .LBB64_29
; %bb.28:                               ;   in Loop: Header=BB64_19 Depth=1
	ds_write_b32 v32, v3
.LBB64_29:                              ;   in Loop: Header=BB64_19 Depth=1
	s_or_b64 exec, exec, s[26:27]
	s_waitcnt lgkmcnt(0)
	s_barrier
	s_and_saveexec_b64 s[26:27], s[14:15]
	s_cbranch_execz .LBB64_31
; %bb.30:                               ;   in Loop: Header=BB64_19 Depth=1
	ds_read_b32 v19, v38
	s_waitcnt lgkmcnt(0)
	s_nop 0
	v_mov_b32_dpp v47, v19 row_shr:1 row_mask:0xf bank_mask:0xf
	v_cndmask_b32_e64 v47, v47, 0, s[22:23]
	v_add_u32_e32 v19, v47, v19
	s_nop 1
	v_mov_b32_dpp v47, v19 row_shr:2 row_mask:0xf bank_mask:0xf
	v_cndmask_b32_e64 v47, 0, v47, s[24:25]
	v_add_u32_e32 v19, v19, v47
	ds_write_b32 v38, v19
.LBB64_31:                              ;   in Loop: Header=BB64_19 Depth=1
	s_or_b64 exec, exec, s[26:27]
	v_mov_b32_e32 v19, 0
	s_waitcnt lgkmcnt(0)
	s_barrier
	s_and_saveexec_b64 s[26:27], s[16:17]
	s_cbranch_execz .LBB64_33
; %bb.32:                               ;   in Loop: Header=BB64_19 Depth=1
	ds_read_b32 v19, v33
.LBB64_33:                              ;   in Loop: Header=BB64_19 Depth=1
	s_or_b64 exec, exec, s[26:27]
	s_waitcnt lgkmcnt(0)
	v_add_u32_e32 v3, v19, v3
	ds_bpermute_b32 v3, v31, v3
	s_add_i32 s36, s36, 8
	v_mov_b32_e32 v49, v44
	s_cmp_ge_u32 s36, s40
	s_waitcnt lgkmcnt(0)
	v_cndmask_b32_e64 v3, v3, v19, s[18:19]
	v_cndmask_b32_e64 v50, v3, 0, s[20:21]
	v_add_u32_e32 v51, v50, v0
	v_add_u32_e32 v0, v51, v1
	;; [unrolled: 1-line block ×3, first 2 shown]
	ds_write2_b64 v9, v[50:51], v[0:1] offset0:2 offset1:3
	s_waitcnt lgkmcnt(0)
	s_barrier
	ds_read_b32 v0, v20
	ds_read_b32 v1, v23
	;; [unrolled: 1-line block ×4, first 2 shown]
	s_waitcnt lgkmcnt(0)
	v_add_u32_e32 v47, v0, v21
	v_add3_u32 v19, v24, v22, v1
	v_add3_u32 v3, v27, v25, v2
	;; [unrolled: 1-line block ×3, first 2 shown]
	v_lshlrev_b32_e32 v30, 1, v47
	v_lshlrev_b32_e32 v28, 1, v19
	;; [unrolled: 1-line block ×4, first 2 shown]
	s_cbranch_scc0 .LBB64_18
; %bb.34:
                                        ; implicit-def: $vgpr48
                                        ; implicit-def: $vgpr44
                                        ; implicit-def: $sgpr36
                                        ; implicit-def: $vgpr20_vgpr21
                                        ; implicit-def: $vgpr22_vgpr23
                                        ; implicit-def: $vgpr24_vgpr25
                                        ; implicit-def: $vgpr26_vgpr27
.LBB64_35:
	v_lshlrev_b32_e32 v16, 1, v8
	v_mad_u64_u32 v[12:13], s[0:1], v47, 6, v[30:31]
	s_barrier
	ds_write_b16 v30, v49
	ds_write_b16 v28, v45
	;; [unrolled: 1-line block ×4, first 2 shown]
	s_waitcnt lgkmcnt(0)
	s_barrier
	ds_read_u16 v9, v16
	ds_read_u16 v17, v16 offset:512
	ds_read_u16 v18, v16 offset:1024
	;; [unrolled: 1-line block ×3, first 2 shown]
	s_waitcnt lgkmcnt(0)
	s_barrier
	ds_write_b64 v12, v[14:15]
	v_mad_u64_u32 v[12:13], s[0:1], v19, 6, v[28:29]
	v_mad_u64_u32 v[2:3], s[0:1], v3, 6, v[2:3]
	;; [unrolled: 1-line block ×3, first 2 shown]
	ds_write_b64 v12, v[10:11]
	ds_write_b64 v2, v[6:7]
	ds_write_b64 v0, v[4:5]
	v_mad_u32_u24 v0, v8, 6, v16
	s_waitcnt lgkmcnt(0)
	s_barrier
	ds_read2st64_b64 v[4:7], v0 offset1:4
	ds_read2st64_b64 v[0:3], v0 offset0:8 offset1:12
	s_add_u32 s0, s38, s34
	s_addc_u32 s1, s39, s35
	v_mov_b32_e32 v11, s1
	v_add_co_u32_e32 v10, vcc, s0, v16
	v_addc_co_u32_e32 v11, vcc, 0, v11, vcc
	v_xor_b32_e32 v15, 0xffff8000, v9
	v_xor_b32_e32 v14, 0xffff8000, v17
	;; [unrolled: 1-line block ×4, first 2 shown]
	s_andn2_b64 vcc, exec, s[30:31]
	v_lshlrev_b32_e32 v12, 3, v8
	s_cbranch_vccnz .LBB64_37
; %bb.36:
	s_lshl_b64 s[0:1], s[28:29], 3
	s_add_u32 s0, s42, s0
	s_addc_u32 s1, s43, s1
	v_mov_b32_e32 v16, s1
	v_add_co_u32_e32 v17, vcc, s0, v12
	v_addc_co_u32_e32 v18, vcc, 0, v16, vcc
	v_add_co_u32_e32 v16, vcc, 0x1000, v17
	global_store_short v[10:11], v15, off
	global_store_short v[10:11], v14, off offset:512
	global_store_short v[10:11], v13, off offset:1024
	;; [unrolled: 1-line block ×3, first 2 shown]
	s_waitcnt lgkmcnt(1)
	global_store_dwordx2 v12, v[4:5], s[0:1]
	global_store_dwordx2 v12, v[6:7], s[0:1] offset:2048
	v_addc_co_u32_e32 v17, vcc, 0, v18, vcc
	s_mov_b64 s[6:7], -1
	s_waitcnt lgkmcnt(0)
	global_store_dwordx2 v[16:17], v[0:1], off
	s_cbranch_execz .LBB64_38
	s_branch .LBB64_51
.LBB64_37:
	s_mov_b64 s[6:7], 0
.LBB64_38:
	v_cmp_gt_u32_e32 vcc, s33, v8
	s_and_saveexec_b64 s[0:1], vcc
	s_cbranch_execz .LBB64_40
; %bb.39:
	global_store_short v[10:11], v15, off
.LBB64_40:
	s_or_b64 exec, exec, s[0:1]
	v_add_u32_e32 v15, 0x100, v8
	v_cmp_gt_u32_e64 s[0:1], s33, v15
	s_and_saveexec_b64 s[2:3], s[0:1]
	s_cbranch_execz .LBB64_42
; %bb.41:
	global_store_short v[10:11], v14, off offset:512
.LBB64_42:
	s_or_b64 exec, exec, s[2:3]
	v_add_u32_e32 v14, 0x200, v8
	v_cmp_gt_u32_e64 s[2:3], s33, v14
	s_and_saveexec_b64 s[4:5], s[2:3]
	s_cbranch_execz .LBB64_44
; %bb.43:
	global_store_short v[10:11], v13, off offset:1024
.LBB64_44:
	;; [unrolled: 8-line block ×3, first 2 shown]
	s_or_b64 exec, exec, s[4:5]
	s_lshl_b64 s[4:5], s[28:29], 3
	s_add_u32 s4, s42, s4
	s_addc_u32 s5, s43, s5
	v_mov_b32_e32 v9, s5
	v_add_co_u32_e64 v8, s[4:5], s4, v12
	v_addc_co_u32_e64 v9, s[4:5], 0, v9, s[4:5]
	s_and_saveexec_b64 s[4:5], vcc
	s_cbranch_execnz .LBB64_57
; %bb.47:
	s_or_b64 exec, exec, s[4:5]
	s_and_saveexec_b64 s[4:5], s[0:1]
	s_cbranch_execnz .LBB64_58
.LBB64_48:
	s_or_b64 exec, exec, s[4:5]
	s_and_saveexec_b64 s[0:1], s[2:3]
	s_cbranch_execz .LBB64_50
.LBB64_49:
	s_waitcnt lgkmcnt(1)
	v_add_co_u32_e32 v4, vcc, 0x1000, v8
	v_addc_co_u32_e32 v5, vcc, 0, v9, vcc
	s_waitcnt lgkmcnt(0)
	global_store_dwordx2 v[4:5], v[0:1], off
.LBB64_50:
	s_or_b64 exec, exec, s[0:1]
.LBB64_51:
	s_and_saveexec_b64 s[0:1], s[6:7]
	s_cbranch_execnz .LBB64_53
; %bb.52:
	s_endpgm
.LBB64_53:
	s_lshl_b64 s[0:1], s[28:29], 3
	s_add_u32 s0, s42, s0
	s_addc_u32 s1, s43, s1
	s_waitcnt lgkmcnt(0)
	v_mov_b32_e32 v0, s1
	v_add_co_u32_e32 v1, vcc, s0, v12
	v_addc_co_u32_e32 v4, vcc, 0, v0, vcc
	v_add_co_u32_e32 v0, vcc, 0x1000, v1
	v_addc_co_u32_e32 v1, vcc, 0, v4, vcc
	global_store_dwordx2 v[0:1], v[2:3], off offset:2048
	s_endpgm
.LBB64_54:
	global_load_dwordx2 v[20:21], v[4:5], off
	s_or_b64 exec, exec, s[8:9]
                                        ; implicit-def: $vgpr22_vgpr23
	s_and_saveexec_b64 s[8:9], s[0:1]
	s_cbranch_execz .LBB64_13
.LBB64_55:
	global_load_dwordx2 v[22:23], v[4:5], off offset:512
	s_or_b64 exec, exec, s[8:9]
                                        ; implicit-def: $vgpr24_vgpr25
	s_and_saveexec_b64 s[0:1], s[2:3]
	s_cbranch_execz .LBB64_14
.LBB64_56:
	global_load_dwordx2 v[24:25], v[4:5], off offset:1024
	s_or_b64 exec, exec, s[0:1]
                                        ; implicit-def: $vgpr26_vgpr27
	s_and_saveexec_b64 s[0:1], s[6:7]
	s_cbranch_execnz .LBB64_15
	s_branch .LBB64_16
.LBB64_57:
	s_waitcnt lgkmcnt(1)
	global_store_dwordx2 v[8:9], v[4:5], off
	s_or_b64 exec, exec, s[4:5]
	s_and_saveexec_b64 s[4:5], s[0:1]
	s_cbranch_execz .LBB64_48
.LBB64_58:
	s_waitcnt lgkmcnt(1)
	global_store_dwordx2 v[8:9], v[6:7], off offset:2048
	s_or_b64 exec, exec, s[4:5]
	s_and_saveexec_b64 s[0:1], s[2:3]
	s_cbranch_execnz .LBB64_49
	s_branch .LBB64_50
	.section	.rodata,"a",@progbits
	.p2align	6, 0x0
	.amdhsa_kernel _ZN7rocprim17ROCPRIM_304000_NS6detail28radix_sort_block_sort_kernelINS1_36wrapped_radix_sort_block_sort_configINS0_13kernel_configILj256ELj4ELj4294967295EEEsN2at4cuda3cub6detail10OpaqueTypeILi8EEEEELb0EPKsPsPKSB_PSB_NS0_19identity_decomposerEEEvT1_T2_T3_T4_jT5_jj
		.amdhsa_group_segment_fixed_size 8192
		.amdhsa_private_segment_fixed_size 0
		.amdhsa_kernarg_size 304
		.amdhsa_user_sgpr_count 6
		.amdhsa_user_sgpr_private_segment_buffer 1
		.amdhsa_user_sgpr_dispatch_ptr 0
		.amdhsa_user_sgpr_queue_ptr 0
		.amdhsa_user_sgpr_kernarg_segment_ptr 1
		.amdhsa_user_sgpr_dispatch_id 0
		.amdhsa_user_sgpr_flat_scratch_init 0
		.amdhsa_user_sgpr_kernarg_preload_length 0
		.amdhsa_user_sgpr_kernarg_preload_offset 0
		.amdhsa_user_sgpr_private_segment_size 0
		.amdhsa_uses_dynamic_stack 0
		.amdhsa_system_sgpr_private_segment_wavefront_offset 0
		.amdhsa_system_sgpr_workgroup_id_x 1
		.amdhsa_system_sgpr_workgroup_id_y 0
		.amdhsa_system_sgpr_workgroup_id_z 0
		.amdhsa_system_sgpr_workgroup_info 0
		.amdhsa_system_vgpr_workitem_id 2
		.amdhsa_next_free_vgpr 52
		.amdhsa_next_free_sgpr 48
		.amdhsa_accum_offset 52
		.amdhsa_reserve_vcc 1
		.amdhsa_reserve_flat_scratch 0
		.amdhsa_float_round_mode_32 0
		.amdhsa_float_round_mode_16_64 0
		.amdhsa_float_denorm_mode_32 3
		.amdhsa_float_denorm_mode_16_64 3
		.amdhsa_dx10_clamp 1
		.amdhsa_ieee_mode 1
		.amdhsa_fp16_overflow 0
		.amdhsa_tg_split 0
		.amdhsa_exception_fp_ieee_invalid_op 0
		.amdhsa_exception_fp_denorm_src 0
		.amdhsa_exception_fp_ieee_div_zero 0
		.amdhsa_exception_fp_ieee_overflow 0
		.amdhsa_exception_fp_ieee_underflow 0
		.amdhsa_exception_fp_ieee_inexact 0
		.amdhsa_exception_int_div_zero 0
	.end_amdhsa_kernel
	.section	.text._ZN7rocprim17ROCPRIM_304000_NS6detail28radix_sort_block_sort_kernelINS1_36wrapped_radix_sort_block_sort_configINS0_13kernel_configILj256ELj4ELj4294967295EEEsN2at4cuda3cub6detail10OpaqueTypeILi8EEEEELb0EPKsPsPKSB_PSB_NS0_19identity_decomposerEEEvT1_T2_T3_T4_jT5_jj,"axG",@progbits,_ZN7rocprim17ROCPRIM_304000_NS6detail28radix_sort_block_sort_kernelINS1_36wrapped_radix_sort_block_sort_configINS0_13kernel_configILj256ELj4ELj4294967295EEEsN2at4cuda3cub6detail10OpaqueTypeILi8EEEEELb0EPKsPsPKSB_PSB_NS0_19identity_decomposerEEEvT1_T2_T3_T4_jT5_jj,comdat
.Lfunc_end64:
	.size	_ZN7rocprim17ROCPRIM_304000_NS6detail28radix_sort_block_sort_kernelINS1_36wrapped_radix_sort_block_sort_configINS0_13kernel_configILj256ELj4ELj4294967295EEEsN2at4cuda3cub6detail10OpaqueTypeILi8EEEEELb0EPKsPsPKSB_PSB_NS0_19identity_decomposerEEEvT1_T2_T3_T4_jT5_jj, .Lfunc_end64-_ZN7rocprim17ROCPRIM_304000_NS6detail28radix_sort_block_sort_kernelINS1_36wrapped_radix_sort_block_sort_configINS0_13kernel_configILj256ELj4ELj4294967295EEEsN2at4cuda3cub6detail10OpaqueTypeILi8EEEEELb0EPKsPsPKSB_PSB_NS0_19identity_decomposerEEEvT1_T2_T3_T4_jT5_jj
                                        ; -- End function
	.section	.AMDGPU.csdata,"",@progbits
; Kernel info:
; codeLenInByte = 4044
; NumSgprs: 52
; NumVgprs: 52
; NumAgprs: 0
; TotalNumVgprs: 52
; ScratchSize: 0
; MemoryBound: 0
; FloatMode: 240
; IeeeMode: 1
; LDSByteSize: 8192 bytes/workgroup (compile time only)
; SGPRBlocks: 6
; VGPRBlocks: 6
; NumSGPRsForWavesPerEU: 52
; NumVGPRsForWavesPerEU: 52
; AccumOffset: 52
; Occupancy: 8
; WaveLimiterHint : 1
; COMPUTE_PGM_RSRC2:SCRATCH_EN: 0
; COMPUTE_PGM_RSRC2:USER_SGPR: 6
; COMPUTE_PGM_RSRC2:TRAP_HANDLER: 0
; COMPUTE_PGM_RSRC2:TGID_X_EN: 1
; COMPUTE_PGM_RSRC2:TGID_Y_EN: 0
; COMPUTE_PGM_RSRC2:TGID_Z_EN: 0
; COMPUTE_PGM_RSRC2:TIDIG_COMP_CNT: 2
; COMPUTE_PGM_RSRC3_GFX90A:ACCUM_OFFSET: 12
; COMPUTE_PGM_RSRC3_GFX90A:TG_SPLIT: 0
	.section	.text._ZN7rocprim17ROCPRIM_304000_NS6detail45device_block_merge_mergepath_partition_kernelINS1_37wrapped_merge_sort_block_merge_configINS0_14default_configEsN2at4cuda3cub6detail10OpaqueTypeILi8EEEEEPsjNS1_19radix_merge_compareILb0ELb0EsNS0_19identity_decomposerEEEEEvT0_T1_jPSH_T2_SH_,"axG",@progbits,_ZN7rocprim17ROCPRIM_304000_NS6detail45device_block_merge_mergepath_partition_kernelINS1_37wrapped_merge_sort_block_merge_configINS0_14default_configEsN2at4cuda3cub6detail10OpaqueTypeILi8EEEEEPsjNS1_19radix_merge_compareILb0ELb0EsNS0_19identity_decomposerEEEEEvT0_T1_jPSH_T2_SH_,comdat
	.protected	_ZN7rocprim17ROCPRIM_304000_NS6detail45device_block_merge_mergepath_partition_kernelINS1_37wrapped_merge_sort_block_merge_configINS0_14default_configEsN2at4cuda3cub6detail10OpaqueTypeILi8EEEEEPsjNS1_19radix_merge_compareILb0ELb0EsNS0_19identity_decomposerEEEEEvT0_T1_jPSH_T2_SH_ ; -- Begin function _ZN7rocprim17ROCPRIM_304000_NS6detail45device_block_merge_mergepath_partition_kernelINS1_37wrapped_merge_sort_block_merge_configINS0_14default_configEsN2at4cuda3cub6detail10OpaqueTypeILi8EEEEEPsjNS1_19radix_merge_compareILb0ELb0EsNS0_19identity_decomposerEEEEEvT0_T1_jPSH_T2_SH_
	.globl	_ZN7rocprim17ROCPRIM_304000_NS6detail45device_block_merge_mergepath_partition_kernelINS1_37wrapped_merge_sort_block_merge_configINS0_14default_configEsN2at4cuda3cub6detail10OpaqueTypeILi8EEEEEPsjNS1_19radix_merge_compareILb0ELb0EsNS0_19identity_decomposerEEEEEvT0_T1_jPSH_T2_SH_
	.p2align	8
	.type	_ZN7rocprim17ROCPRIM_304000_NS6detail45device_block_merge_mergepath_partition_kernelINS1_37wrapped_merge_sort_block_merge_configINS0_14default_configEsN2at4cuda3cub6detail10OpaqueTypeILi8EEEEEPsjNS1_19radix_merge_compareILb0ELb0EsNS0_19identity_decomposerEEEEEvT0_T1_jPSH_T2_SH_,@function
_ZN7rocprim17ROCPRIM_304000_NS6detail45device_block_merge_mergepath_partition_kernelINS1_37wrapped_merge_sort_block_merge_configINS0_14default_configEsN2at4cuda3cub6detail10OpaqueTypeILi8EEEEEPsjNS1_19radix_merge_compareILb0ELb0EsNS0_19identity_decomposerEEEEEvT0_T1_jPSH_T2_SH_: ; @_ZN7rocprim17ROCPRIM_304000_NS6detail45device_block_merge_mergepath_partition_kernelINS1_37wrapped_merge_sort_block_merge_configINS0_14default_configEsN2at4cuda3cub6detail10OpaqueTypeILi8EEEEEPsjNS1_19radix_merge_compareILb0ELb0EsNS0_19identity_decomposerEEEEEvT0_T1_jPSH_T2_SH_
; %bb.0:
	s_load_dwordx2 s[0:1], s[4:5], 0x8
	v_lshl_or_b32 v0, s6, 7, v0
	s_waitcnt lgkmcnt(0)
	v_cmp_gt_u32_e32 vcc, s1, v0
	s_and_saveexec_b64 s[2:3], vcc
	s_cbranch_execz .LBB65_6
; %bb.1:
	s_load_dword s1, s[4:5], 0x1c
	s_waitcnt lgkmcnt(0)
	s_lshr_b32 s2, s1, 9
	s_and_b32 s2, s2, 0x7ffffe
	s_add_i32 s3, s2, -1
	s_sub_i32 s2, 0, s2
	v_and_b32_e32 v1, s2, v0
	v_and_b32_e32 v2, s3, v0
	v_lshlrev_b32_e32 v1, 10, v1
	v_lshlrev_b32_e32 v3, 10, v2
	v_min_u32_e32 v2, s0, v1
	v_add_u32_e32 v1, s1, v1
	v_min_u32_e32 v4, s0, v1
	v_add_u32_e32 v1, s1, v4
	v_min_u32_e32 v1, s0, v1
	v_sub_u32_e32 v5, v1, v2
	v_min_u32_e32 v6, v5, v3
	v_sub_u32_e32 v3, v4, v2
	v_sub_u32_e32 v1, v1, v4
	v_sub_u32_e64 v1, v6, v1 clamp
	v_min_u32_e32 v7, v6, v3
	v_cmp_lt_u32_e32 vcc, v1, v7
	s_and_saveexec_b64 s[0:1], vcc
	s_cbranch_execz .LBB65_5
; %bb.2:
	s_load_dwordx2 s[2:3], s[4:5], 0x0
	v_mov_b32_e32 v5, 0
	v_mov_b32_e32 v3, v5
	v_lshlrev_b64 v[8:9], 1, v[2:3]
	v_lshlrev_b64 v[10:11], 1, v[4:5]
	s_waitcnt lgkmcnt(0)
	v_mov_b32_e32 v12, s3
	v_add_co_u32_e32 v3, vcc, s2, v8
	v_addc_co_u32_e32 v8, vcc, v12, v9, vcc
	v_add_co_u32_e32 v9, vcc, s2, v10
	v_addc_co_u32_e32 v10, vcc, v12, v11, vcc
	s_mov_b64 s[2:3], 0
.LBB65_3:                               ; =>This Inner Loop Header: Depth=1
	v_add_u32_e32 v4, v7, v1
	v_and_b32_e32 v12, -2, v4
	v_lshrrev_b32_e32 v11, 1, v4
	v_add_co_u32_e32 v12, vcc, v3, v12
	v_xad_u32 v4, v11, -1, v6
	v_addc_co_u32_e32 v13, vcc, 0, v8, vcc
	global_load_ushort v14, v[12:13], off
	v_lshlrev_b64 v[12:13], 1, v[4:5]
	v_add_co_u32_e32 v12, vcc, v9, v12
	v_addc_co_u32_e32 v13, vcc, v10, v13, vcc
	global_load_ushort v4, v[12:13], off
	v_add_u32_e32 v12, 1, v11
	s_waitcnt vmcnt(0)
	v_cmp_gt_i16_e32 vcc, v14, v4
	v_cndmask_b32_e32 v7, v7, v11, vcc
	v_cndmask_b32_e32 v1, v12, v1, vcc
	v_cmp_ge_u32_e32 vcc, v1, v7
	s_or_b64 s[2:3], vcc, s[2:3]
	s_andn2_b64 exec, exec, s[2:3]
	s_cbranch_execnz .LBB65_3
; %bb.4:
	s_or_b64 exec, exec, s[2:3]
.LBB65_5:
	s_or_b64 exec, exec, s[0:1]
	s_load_dwordx2 s[0:1], s[4:5], 0x10
	v_add_u32_e32 v2, v1, v2
	v_mov_b32_e32 v1, 0
	v_lshlrev_b64 v[0:1], 2, v[0:1]
	s_waitcnt lgkmcnt(0)
	v_mov_b32_e32 v3, s1
	v_add_co_u32_e32 v0, vcc, s0, v0
	v_addc_co_u32_e32 v1, vcc, v3, v1, vcc
	global_store_dword v[0:1], v2, off
.LBB65_6:
	s_endpgm
	.section	.rodata,"a",@progbits
	.p2align	6, 0x0
	.amdhsa_kernel _ZN7rocprim17ROCPRIM_304000_NS6detail45device_block_merge_mergepath_partition_kernelINS1_37wrapped_merge_sort_block_merge_configINS0_14default_configEsN2at4cuda3cub6detail10OpaqueTypeILi8EEEEEPsjNS1_19radix_merge_compareILb0ELb0EsNS0_19identity_decomposerEEEEEvT0_T1_jPSH_T2_SH_
		.amdhsa_group_segment_fixed_size 0
		.amdhsa_private_segment_fixed_size 0
		.amdhsa_kernarg_size 32
		.amdhsa_user_sgpr_count 6
		.amdhsa_user_sgpr_private_segment_buffer 1
		.amdhsa_user_sgpr_dispatch_ptr 0
		.amdhsa_user_sgpr_queue_ptr 0
		.amdhsa_user_sgpr_kernarg_segment_ptr 1
		.amdhsa_user_sgpr_dispatch_id 0
		.amdhsa_user_sgpr_flat_scratch_init 0
		.amdhsa_user_sgpr_kernarg_preload_length 0
		.amdhsa_user_sgpr_kernarg_preload_offset 0
		.amdhsa_user_sgpr_private_segment_size 0
		.amdhsa_uses_dynamic_stack 0
		.amdhsa_system_sgpr_private_segment_wavefront_offset 0
		.amdhsa_system_sgpr_workgroup_id_x 1
		.amdhsa_system_sgpr_workgroup_id_y 0
		.amdhsa_system_sgpr_workgroup_id_z 0
		.amdhsa_system_sgpr_workgroup_info 0
		.amdhsa_system_vgpr_workitem_id 0
		.amdhsa_next_free_vgpr 15
		.amdhsa_next_free_sgpr 7
		.amdhsa_accum_offset 16
		.amdhsa_reserve_vcc 1
		.amdhsa_reserve_flat_scratch 0
		.amdhsa_float_round_mode_32 0
		.amdhsa_float_round_mode_16_64 0
		.amdhsa_float_denorm_mode_32 3
		.amdhsa_float_denorm_mode_16_64 3
		.amdhsa_dx10_clamp 1
		.amdhsa_ieee_mode 1
		.amdhsa_fp16_overflow 0
		.amdhsa_tg_split 0
		.amdhsa_exception_fp_ieee_invalid_op 0
		.amdhsa_exception_fp_denorm_src 0
		.amdhsa_exception_fp_ieee_div_zero 0
		.amdhsa_exception_fp_ieee_overflow 0
		.amdhsa_exception_fp_ieee_underflow 0
		.amdhsa_exception_fp_ieee_inexact 0
		.amdhsa_exception_int_div_zero 0
	.end_amdhsa_kernel
	.section	.text._ZN7rocprim17ROCPRIM_304000_NS6detail45device_block_merge_mergepath_partition_kernelINS1_37wrapped_merge_sort_block_merge_configINS0_14default_configEsN2at4cuda3cub6detail10OpaqueTypeILi8EEEEEPsjNS1_19radix_merge_compareILb0ELb0EsNS0_19identity_decomposerEEEEEvT0_T1_jPSH_T2_SH_,"axG",@progbits,_ZN7rocprim17ROCPRIM_304000_NS6detail45device_block_merge_mergepath_partition_kernelINS1_37wrapped_merge_sort_block_merge_configINS0_14default_configEsN2at4cuda3cub6detail10OpaqueTypeILi8EEEEEPsjNS1_19radix_merge_compareILb0ELb0EsNS0_19identity_decomposerEEEEEvT0_T1_jPSH_T2_SH_,comdat
.Lfunc_end65:
	.size	_ZN7rocprim17ROCPRIM_304000_NS6detail45device_block_merge_mergepath_partition_kernelINS1_37wrapped_merge_sort_block_merge_configINS0_14default_configEsN2at4cuda3cub6detail10OpaqueTypeILi8EEEEEPsjNS1_19radix_merge_compareILb0ELb0EsNS0_19identity_decomposerEEEEEvT0_T1_jPSH_T2_SH_, .Lfunc_end65-_ZN7rocprim17ROCPRIM_304000_NS6detail45device_block_merge_mergepath_partition_kernelINS1_37wrapped_merge_sort_block_merge_configINS0_14default_configEsN2at4cuda3cub6detail10OpaqueTypeILi8EEEEEPsjNS1_19radix_merge_compareILb0ELb0EsNS0_19identity_decomposerEEEEEvT0_T1_jPSH_T2_SH_
                                        ; -- End function
	.section	.AMDGPU.csdata,"",@progbits
; Kernel info:
; codeLenInByte = 356
; NumSgprs: 11
; NumVgprs: 15
; NumAgprs: 0
; TotalNumVgprs: 15
; ScratchSize: 0
; MemoryBound: 0
; FloatMode: 240
; IeeeMode: 1
; LDSByteSize: 0 bytes/workgroup (compile time only)
; SGPRBlocks: 1
; VGPRBlocks: 1
; NumSGPRsForWavesPerEU: 11
; NumVGPRsForWavesPerEU: 15
; AccumOffset: 16
; Occupancy: 8
; WaveLimiterHint : 0
; COMPUTE_PGM_RSRC2:SCRATCH_EN: 0
; COMPUTE_PGM_RSRC2:USER_SGPR: 6
; COMPUTE_PGM_RSRC2:TRAP_HANDLER: 0
; COMPUTE_PGM_RSRC2:TGID_X_EN: 1
; COMPUTE_PGM_RSRC2:TGID_Y_EN: 0
; COMPUTE_PGM_RSRC2:TGID_Z_EN: 0
; COMPUTE_PGM_RSRC2:TIDIG_COMP_CNT: 0
; COMPUTE_PGM_RSRC3_GFX90A:ACCUM_OFFSET: 3
; COMPUTE_PGM_RSRC3_GFX90A:TG_SPLIT: 0
	.section	.text._ZN7rocprim17ROCPRIM_304000_NS6detail35device_block_merge_mergepath_kernelINS1_37wrapped_merge_sort_block_merge_configINS0_14default_configEsN2at4cuda3cub6detail10OpaqueTypeILi8EEEEEPsSC_PSA_SD_jNS1_19radix_merge_compareILb0ELb0EsNS0_19identity_decomposerEEEEEvT0_T1_T2_T3_T4_SL_jT5_PKSL_NS1_7vsmem_tE,"axG",@progbits,_ZN7rocprim17ROCPRIM_304000_NS6detail35device_block_merge_mergepath_kernelINS1_37wrapped_merge_sort_block_merge_configINS0_14default_configEsN2at4cuda3cub6detail10OpaqueTypeILi8EEEEEPsSC_PSA_SD_jNS1_19radix_merge_compareILb0ELb0EsNS0_19identity_decomposerEEEEEvT0_T1_T2_T3_T4_SL_jT5_PKSL_NS1_7vsmem_tE,comdat
	.protected	_ZN7rocprim17ROCPRIM_304000_NS6detail35device_block_merge_mergepath_kernelINS1_37wrapped_merge_sort_block_merge_configINS0_14default_configEsN2at4cuda3cub6detail10OpaqueTypeILi8EEEEEPsSC_PSA_SD_jNS1_19radix_merge_compareILb0ELb0EsNS0_19identity_decomposerEEEEEvT0_T1_T2_T3_T4_SL_jT5_PKSL_NS1_7vsmem_tE ; -- Begin function _ZN7rocprim17ROCPRIM_304000_NS6detail35device_block_merge_mergepath_kernelINS1_37wrapped_merge_sort_block_merge_configINS0_14default_configEsN2at4cuda3cub6detail10OpaqueTypeILi8EEEEEPsSC_PSA_SD_jNS1_19radix_merge_compareILb0ELb0EsNS0_19identity_decomposerEEEEEvT0_T1_T2_T3_T4_SL_jT5_PKSL_NS1_7vsmem_tE
	.globl	_ZN7rocprim17ROCPRIM_304000_NS6detail35device_block_merge_mergepath_kernelINS1_37wrapped_merge_sort_block_merge_configINS0_14default_configEsN2at4cuda3cub6detail10OpaqueTypeILi8EEEEEPsSC_PSA_SD_jNS1_19radix_merge_compareILb0ELb0EsNS0_19identity_decomposerEEEEEvT0_T1_T2_T3_T4_SL_jT5_PKSL_NS1_7vsmem_tE
	.p2align	8
	.type	_ZN7rocprim17ROCPRIM_304000_NS6detail35device_block_merge_mergepath_kernelINS1_37wrapped_merge_sort_block_merge_configINS0_14default_configEsN2at4cuda3cub6detail10OpaqueTypeILi8EEEEEPsSC_PSA_SD_jNS1_19radix_merge_compareILb0ELb0EsNS0_19identity_decomposerEEEEEvT0_T1_T2_T3_T4_SL_jT5_PKSL_NS1_7vsmem_tE,@function
_ZN7rocprim17ROCPRIM_304000_NS6detail35device_block_merge_mergepath_kernelINS1_37wrapped_merge_sort_block_merge_configINS0_14default_configEsN2at4cuda3cub6detail10OpaqueTypeILi8EEEEEPsSC_PSA_SD_jNS1_19radix_merge_compareILb0ELb0EsNS0_19identity_decomposerEEEEEvT0_T1_T2_T3_T4_SL_jT5_PKSL_NS1_7vsmem_tE: ; @_ZN7rocprim17ROCPRIM_304000_NS6detail35device_block_merge_mergepath_kernelINS1_37wrapped_merge_sort_block_merge_configINS0_14default_configEsN2at4cuda3cub6detail10OpaqueTypeILi8EEEEEPsSC_PSA_SD_jNS1_19radix_merge_compareILb0ELb0EsNS0_19identity_decomposerEEEEEvT0_T1_T2_T3_T4_SL_jT5_PKSL_NS1_7vsmem_tE
; %bb.0:
	s_load_dwordx2 s[26:27], s[4:5], 0x40
	s_load_dwordx4 s[16:19], s[4:5], 0x20
	s_add_u32 s2, s4, 64
	s_addc_u32 s3, s5, 0
	s_waitcnt lgkmcnt(0)
	s_mul_i32 s0, s27, s8
	s_add_i32 s0, s0, s7
	s_mul_i32 s0, s0, s26
	s_add_i32 s0, s0, s6
	s_cmp_ge_u32 s0, s18
	s_cbranch_scc1 .LBB66_69
; %bb.1:
	s_load_dwordx8 s[8:15], s[4:5], 0x0
	s_load_dwordx2 s[18:19], s[4:5], 0x30
	s_lshr_b32 s29, s16, 10
	s_cmp_lg_u32 s0, s29
	s_mov_b32 s1, 0
	s_cselect_b64 s[20:21], -1, 0
	s_lshl_b64 s[4:5], s[0:1], 2
	s_waitcnt lgkmcnt(0)
	s_add_u32 s4, s18, s4
	s_addc_u32 s5, s19, s5
	s_load_dwordx2 s[22:23], s[4:5], 0x0
	s_lshr_b32 s4, s17, 9
	s_and_b32 s4, s4, 0x7ffffe
	s_sub_i32 s4, 0, s4
	s_and_b32 s5, s0, s4
	s_lshl_b32 s7, s5, 10
	s_lshl_b32 s18, s0, 10
	;; [unrolled: 1-line block ×3, first 2 shown]
	s_sub_i32 s19, s18, s7
	s_add_i32 s5, s5, s17
	s_add_i32 s19, s5, s19
	s_waitcnt lgkmcnt(0)
	s_sub_i32 s24, s19, s22
	s_sub_i32 s19, s19, s23
	;; [unrolled: 1-line block ×3, first 2 shown]
	s_min_u32 s24, s16, s24
	s_addk_i32 s19, 0x400
	s_or_b32 s4, s0, s4
	s_min_u32 s7, s16, s5
	s_add_i32 s5, s5, s17
	s_cmp_eq_u32 s4, -1
	s_cselect_b32 s4, s5, s19
	s_cselect_b32 s5, s7, s23
	s_min_u32 s4, s4, s16
	s_mov_b32 s23, s1
	s_sub_i32 s19, s5, s22
	s_sub_i32 s27, s4, s24
	s_lshl_b64 s[4:5], s[22:23], 1
	s_add_u32 s7, s8, s4
	s_mov_b32 s25, s1
	s_addc_u32 s28, s9, s5
	s_lshl_b64 s[4:5], s[24:25], 1
	s_add_u32 s4, s8, s4
	s_addc_u32 s5, s9, s5
	s_cmp_lt_u32 s6, s26
	v_mov_b32_e32 v3, 0
	s_cselect_b32 s1, 12, 18
	global_load_dword v1, v3, s[2:3] offset:14
	s_add_u32 s2, s2, s1
	s_addc_u32 s3, s3, 0
	global_load_ushort v2, v3, s[2:3]
	v_cmp_gt_u32_e32 vcc, s19, v0
	s_cmp_eq_u32 s0, s29
	s_waitcnt vmcnt(1)
	v_lshrrev_b32_e32 v4, 16, v1
	v_and_b32_e32 v1, 0xffff, v1
	v_mul_lo_u32 v1, v1, v4
	s_waitcnt vmcnt(0)
	v_mul_lo_u32 v8, v1, v2
	v_add_u32_e32 v6, v8, v0
	v_lshlrev_b32_e32 v1, 1, v0
	v_add_u32_e32 v4, v6, v8
	s_cbranch_scc1 .LBB66_3
; %bb.2:
	v_mov_b32_e32 v2, s28
	v_add_co_u32_e64 v5, s[0:1], s7, v1
	v_addc_co_u32_e64 v7, s[0:1], 0, v2, s[0:1]
	v_subrev_u32_e32 v2, s19, v0
	v_lshlrev_b64 v[10:11], 1, v[2:3]
	v_mov_b32_e32 v2, s5
	v_add_co_u32_e64 v9, s[0:1], s4, v10
	v_addc_co_u32_e64 v2, s[0:1], v2, v11, s[0:1]
	v_cndmask_b32_e32 v11, v2, v7, vcc
	v_cndmask_b32_e32 v10, v9, v5, vcc
	v_mov_b32_e32 v7, v3
	global_load_ushort v9, v[10:11], off
	v_lshlrev_b64 v[10:11], 1, v[6:7]
	v_mov_b32_e32 v2, s28
	v_add_co_u32_e32 v5, vcc, s7, v10
	v_addc_co_u32_e32 v7, vcc, v2, v11, vcc
	v_subrev_u32_e32 v2, s19, v6
	v_lshlrev_b64 v[10:11], 1, v[2:3]
	v_mov_b32_e32 v2, s5
	v_add_co_u32_e32 v10, vcc, s4, v10
	v_addc_co_u32_e32 v2, vcc, v2, v11, vcc
	v_cmp_gt_u32_e32 vcc, s19, v6
	v_cndmask_b32_e32 v11, v2, v7, vcc
	v_cndmask_b32_e32 v10, v10, v5, vcc
	v_mov_b32_e32 v5, v3
	global_load_ushort v7, v[10:11], off
	v_lshlrev_b64 v[10:11], 1, v[4:5]
	v_mov_b32_e32 v2, s28
	v_add_co_u32_e32 v5, vcc, s7, v10
	v_addc_co_u32_e32 v12, vcc, v2, v11, vcc
	v_subrev_u32_e32 v2, s19, v4
	v_lshlrev_b64 v[10:11], 1, v[2:3]
	v_mov_b32_e32 v2, s5
	v_add_co_u32_e32 v10, vcc, s4, v10
	v_addc_co_u32_e32 v2, vcc, v2, v11, vcc
	v_cmp_gt_u32_e32 vcc, s19, v4
	v_cndmask_b32_e32 v11, v2, v12, vcc
	v_cndmask_b32_e32 v10, v10, v5, vcc
	v_add_u32_e32 v2, v4, v8
	global_load_ushort v5, v[10:11], off
	v_lshlrev_b64 v[10:11], 1, v[2:3]
	v_mov_b32_e32 v12, s28
	v_add_co_u32_e32 v10, vcc, s7, v10
	v_addc_co_u32_e32 v11, vcc, v12, v11, vcc
	v_cmp_gt_u32_e32 vcc, s19, v2
	v_subrev_u32_e32 v2, s19, v2
	v_lshlrev_b64 v[2:3], 1, v[2:3]
	v_mov_b32_e32 v12, s5
	v_add_co_u32_e64 v2, s[0:1], s4, v2
	v_addc_co_u32_e64 v3, s[0:1], v12, v3, s[0:1]
	v_cndmask_b32_e32 v3, v3, v11, vcc
	v_cndmask_b32_e32 v2, v2, v10, vcc
	global_load_ushort v3, v[2:3], off
	s_mov_b32 s0, 0x5040100
	s_add_i32 s17, s27, s19
	s_waitcnt vmcnt(2)
	v_perm_b32 v2, v7, v9, s0
	s_waitcnt vmcnt(0)
	v_perm_b32 v3, v3, v5, s0
	s_cbranch_execz .LBB66_4
	s_branch .LBB66_11
.LBB66_3:
                                        ; implicit-def: $vgpr2_vgpr3
                                        ; implicit-def: $sgpr17
.LBB66_4:
	s_add_i32 s17, s27, s19
	v_cmp_gt_u32_e32 vcc, s17, v0
                                        ; implicit-def: $vgpr2_vgpr3
	s_and_saveexec_b64 s[0:1], vcc
	s_cbranch_execnz .LBB66_70
; %bb.5:
	s_or_b64 exec, exec, s[0:1]
	v_cmp_gt_u32_e32 vcc, s17, v6
	s_and_saveexec_b64 s[2:3], vcc
	s_cbranch_execnz .LBB66_71
.LBB66_6:
	s_or_b64 exec, exec, s[2:3]
	v_cmp_gt_u32_e32 vcc, s17, v4
	s_and_saveexec_b64 s[0:1], vcc
	s_cbranch_execz .LBB66_8
.LBB66_7:
	v_mov_b32_e32 v5, 0
	v_lshlrev_b64 v[6:7], 1, v[4:5]
	v_mov_b32_e32 v9, s28
	v_add_co_u32_e32 v10, vcc, s7, v6
	v_addc_co_u32_e32 v9, vcc, v9, v7, vcc
	v_subrev_u32_e32 v6, s19, v4
	v_mov_b32_e32 v7, v5
	v_lshlrev_b64 v[6:7], 1, v[6:7]
	v_mov_b32_e32 v5, s5
	v_add_co_u32_e32 v6, vcc, s4, v6
	v_addc_co_u32_e32 v5, vcc, v5, v7, vcc
	v_cmp_gt_u32_e32 vcc, s19, v4
	v_cndmask_b32_e32 v7, v5, v9, vcc
	v_cndmask_b32_e32 v6, v6, v10, vcc
	global_load_ushort v5, v[6:7], off
	s_mov_b32 s2, 0xffff
	s_waitcnt vmcnt(0)
	v_bfi_b32 v3, s2, v5, v3
.LBB66_8:
	s_or_b64 exec, exec, s[0:1]
	v_add_u32_e32 v4, v4, v8
	v_cmp_gt_u32_e32 vcc, s17, v4
	s_and_saveexec_b64 s[2:3], vcc
	s_cbranch_execz .LBB66_10
; %bb.9:
	v_mov_b32_e32 v5, 0
	v_lshlrev_b64 v[6:7], 1, v[4:5]
	v_mov_b32_e32 v8, s28
	v_add_co_u32_e32 v6, vcc, s7, v6
	v_addc_co_u32_e32 v7, vcc, v8, v7, vcc
	v_cmp_gt_u32_e32 vcc, s19, v4
	v_subrev_u32_e32 v4, s19, v4
	v_lshlrev_b64 v[4:5], 1, v[4:5]
	v_mov_b32_e32 v8, s5
	v_add_co_u32_e64 v4, s[0:1], s4, v4
	v_addc_co_u32_e64 v5, s[0:1], v8, v5, s[0:1]
	v_cndmask_b32_e32 v5, v5, v7, vcc
	v_cndmask_b32_e32 v4, v4, v6, vcc
	global_load_ushort v4, v[4:5], off
	s_mov_b32 s0, 0x5040100
	s_waitcnt vmcnt(0)
	v_perm_b32 v3, v4, v3, s0
.LBB66_10:
	s_or_b64 exec, exec, s[2:3]
.LBB66_11:
	v_lshlrev_b32_e32 v8, 2, v0
	v_min_u32_e32 v5, s17, v8
	v_sub_u32_e64 v4, v5, s27 clamp
	v_min_u32_e32 v6, s19, v5
	v_cmp_lt_u32_e32 vcc, v4, v6
	s_waitcnt vmcnt(0)
	ds_write_b16 v1, v2
	ds_write_b16_d16_hi v1, v2 offset:512
	ds_write_b16 v1, v3 offset:1024
	ds_write_b16_d16_hi v1, v3 offset:1536
	s_waitcnt lgkmcnt(0)
	s_barrier
	s_and_saveexec_b64 s[0:1], vcc
	s_cbranch_execz .LBB66_15
; %bb.12:
	v_lshlrev_b32_e32 v7, 1, v5
	v_lshl_add_u32 v7, s19, 1, v7
	s_mov_b64 s[2:3], 0
.LBB66_13:                              ; =>This Inner Loop Header: Depth=1
	v_add_u32_e32 v9, v6, v4
	v_lshrrev_b32_e32 v10, 1, v9
	v_not_b32_e32 v11, v10
	v_and_b32_e32 v9, -2, v9
	v_lshl_add_u32 v11, v11, 1, v7
	ds_read_u16 v9, v9
	ds_read_u16 v11, v11
	v_add_u32_e32 v12, 1, v10
	s_waitcnt lgkmcnt(0)
	v_cmp_gt_i16_e32 vcc, v9, v11
	v_cndmask_b32_e32 v6, v6, v10, vcc
	v_cndmask_b32_e32 v4, v12, v4, vcc
	v_cmp_ge_u32_e32 vcc, v4, v6
	s_or_b64 s[2:3], vcc, s[2:3]
	s_andn2_b64 exec, exec, s[2:3]
	s_cbranch_execnz .LBB66_13
; %bb.14:
	s_or_b64 exec, exec, s[2:3]
.LBB66_15:
	s_or_b64 exec, exec, s[0:1]
	v_sub_u32_e32 v5, v5, v4
	v_add_u32_e32 v5, s19, v5
	v_cmp_ge_u32_e32 vcc, s19, v4
	v_cmp_ge_u32_e64 s[0:1], s17, v5
	s_or_b64 s[0:1], vcc, s[0:1]
                                        ; implicit-def: $vgpr9
                                        ; implicit-def: $vgpr10
                                        ; implicit-def: $vgpr11
                                        ; implicit-def: $vgpr12
	s_and_saveexec_b64 s[8:9], s[0:1]
	s_cbranch_execz .LBB66_21
; %bb.16:
	v_cmp_gt_u32_e32 vcc, s19, v4
                                        ; implicit-def: $vgpr2
	s_and_saveexec_b64 s[0:1], vcc
	s_cbranch_execz .LBB66_18
; %bb.17:
	v_lshlrev_b32_e32 v2, 1, v4
	ds_read_u16 v2, v2
.LBB66_18:
	s_or_b64 exec, exec, s[0:1]
	v_cmp_le_u32_e64 s[0:1], s17, v5
	v_cmp_gt_u32_e64 s[2:3], s17, v5
                                        ; implicit-def: $vgpr3
	s_and_saveexec_b64 s[4:5], s[2:3]
	s_cbranch_execz .LBB66_20
; %bb.19:
	v_lshlrev_b32_e32 v3, 1, v5
	ds_read_u16 v3, v3
.LBB66_20:
	s_or_b64 exec, exec, s[4:5]
	s_waitcnt lgkmcnt(0)
	v_cmp_le_i16_e64 s[2:3], v2, v3
	s_and_b64 s[2:3], vcc, s[2:3]
	s_or_b64 vcc, s[0:1], s[2:3]
	v_mov_b32_e32 v6, s17
	v_mov_b32_e32 v7, s19
	v_cndmask_b32_e32 v12, v5, v4, vcc
	v_cndmask_b32_e32 v9, v6, v7, vcc
	v_add_u32_e32 v10, 1, v12
	v_add_u32_e32 v9, -1, v9
	v_min_u32_e32 v9, v10, v9
	v_lshlrev_b32_e32 v9, 1, v9
	ds_read_u16 v9, v9
	v_cndmask_b32_e32 v4, v4, v10, vcc
	v_cndmask_b32_e32 v5, v10, v5, vcc
	v_cmp_gt_u32_e64 s[2:3], s19, v4
	v_cmp_le_u32_e64 s[0:1], s17, v5
	s_waitcnt lgkmcnt(0)
	v_cndmask_b32_e32 v13, v9, v3, vcc
	v_cndmask_b32_e32 v9, v2, v9, vcc
	v_cmp_le_i16_e64 s[4:5], v9, v13
	s_and_b64 s[2:3], s[2:3], s[4:5]
	s_or_b64 s[0:1], s[0:1], s[2:3]
	v_cndmask_b32_e64 v11, v5, v4, s[0:1]
	v_cndmask_b32_e64 v10, v6, v7, s[0:1]
	v_add_u32_e32 v14, 1, v11
	v_add_u32_e32 v10, -1, v10
	v_min_u32_e32 v10, v14, v10
	v_lshlrev_b32_e32 v10, 1, v10
	ds_read_u16 v10, v10
	v_cndmask_b32_e64 v4, v4, v14, s[0:1]
	v_cndmask_b32_e64 v5, v14, v5, s[0:1]
	v_cmp_gt_u32_e64 s[4:5], s19, v4
	v_cmp_le_u32_e64 s[2:3], s17, v5
	s_waitcnt lgkmcnt(0)
	v_cndmask_b32_e64 v15, v10, v13, s[0:1]
	v_cndmask_b32_e64 v16, v9, v10, s[0:1]
	v_cmp_le_i16_e64 s[6:7], v16, v15
	s_and_b64 s[4:5], s[4:5], s[6:7]
	s_or_b64 s[2:3], s[2:3], s[4:5]
	v_cndmask_b32_e64 v10, v5, v4, s[2:3]
	v_cndmask_b32_e64 v6, v6, v7, s[2:3]
	v_add_u32_e32 v7, 1, v10
	v_add_u32_e32 v6, -1, v6
	v_min_u32_e32 v6, v7, v6
	v_lshlrev_b32_e32 v6, 1, v6
	ds_read_u16 v6, v6
	v_cndmask_b32_e64 v4, v4, v7, s[2:3]
	v_cndmask_b32_e32 v2, v3, v2, vcc
	v_cndmask_b32_e64 v13, v13, v9, s[0:1]
	v_cndmask_b32_e64 v3, v15, v16, s[2:3]
	s_waitcnt lgkmcnt(0)
	v_cndmask_b32_e64 v14, v6, v15, s[2:3]
	v_cndmask_b32_e64 v6, v16, v6, s[2:3]
	;; [unrolled: 1-line block ×3, first 2 shown]
	v_cmp_gt_u32_e64 s[0:1], s19, v4
	v_cmp_le_i16_e64 s[2:3], v6, v14
	v_cmp_le_u32_e32 vcc, s17, v5
	s_and_b64 s[0:1], s[0:1], s[2:3]
	s_or_b64 vcc, vcc, s[0:1]
	v_cndmask_b32_e32 v9, v5, v4, vcc
	v_cndmask_b32_e32 v4, v14, v6, vcc
	s_mov_b32 s0, 0x5040100
	v_perm_b32 v3, v4, v3, s0
	v_perm_b32 v2, v13, v2, s0
.LBB66_21:
	s_or_b64 exec, exec, s[8:9]
	s_lshl_b64 s[0:1], s[22:23], 3
	s_add_u32 s26, s12, s0
	s_addc_u32 s28, s13, s1
	s_lshl_b64 s[0:1], s[24:25], 3
	s_add_u32 s29, s12, s0
	v_cndmask_b32_e64 v4, 0, 1, s[20:21]
	s_addc_u32 s30, s13, s1
	v_cmp_gt_u32_e64 s[4:5], s19, v0
	v_cmp_ne_u32_e64 s[0:1], 1, v4
	s_andn2_b64 vcc, exec, s[20:21]
	v_cmp_le_u32_e64 s[2:3], s19, v0
	s_barrier
	s_cbranch_vccnz .LBB66_23
; %bb.22:
	v_subrev_u32_e32 v4, s19, v0
	v_mov_b32_e32 v5, 0
	v_lshlrev_b64 v[6:7], 3, v[4:5]
	v_mov_b32_e32 v4, s30
	v_add_co_u32_e32 v6, vcc, s29, v6
	v_addc_co_u32_e32 v4, vcc, v4, v7, vcc
	v_lshlrev_b32_e32 v18, 3, v0
	v_mov_b32_e32 v7, s28
	v_add_co_u32_e32 v19, vcc, s26, v18
	v_addc_co_u32_e32 v20, vcc, 0, v7, vcc
	v_cndmask_b32_e64 v7, v4, v20, s[4:5]
	v_cndmask_b32_e64 v6, v6, v19, s[4:5]
	v_or_b32_e32 v13, 0x100, v0
	s_movk_i32 s4, 0x800
	v_add_co_u32_e32 v16, vcc, s4, v19
	v_subrev_u32_e32 v4, s19, v13
	v_addc_co_u32_e32 v17, vcc, 0, v20, vcc
	v_lshlrev_b64 v[14:15], 3, v[4:5]
	v_mov_b32_e32 v4, s30
	v_add_co_u32_e32 v14, vcc, s29, v14
	v_addc_co_u32_e32 v4, vcc, v4, v15, vcc
	v_cmp_gt_u32_e32 vcc, s19, v13
	v_or_b32_e32 v13, 0x200, v0
	s_movk_i32 s4, 0x1000
	v_cndmask_b32_e32 v15, v4, v17, vcc
	v_cndmask_b32_e32 v14, v14, v16, vcc
	v_add_co_u32_e32 v21, vcc, s4, v19
	v_subrev_u32_e32 v4, s19, v13
	v_addc_co_u32_e32 v22, vcc, 0, v20, vcc
	v_lshlrev_b64 v[16:17], 3, v[4:5]
	v_mov_b32_e32 v4, s30
	v_add_co_u32_e32 v16, vcc, s29, v16
	v_addc_co_u32_e32 v4, vcc, v4, v17, vcc
	v_cmp_gt_u32_e32 vcc, s19, v13
	global_load_dwordx2 v[6:7], v[6:7], off
	v_cndmask_b32_e32 v17, v4, v22, vcc
	global_load_dwordx2 v[14:15], v[14:15], off
	v_cndmask_b32_e32 v16, v16, v21, vcc
	global_load_dwordx2 v[16:17], v[16:17], off
	v_or_b32_e32 v21, 0x300, v0
	s_movk_i32 s4, 0x1800
	v_add_co_u32_e32 v19, vcc, s4, v19
	v_subrev_u32_e32 v4, s19, v21
	v_addc_co_u32_e32 v20, vcc, 0, v20, vcc
	v_lshlrev_b64 v[4:5], 3, v[4:5]
	v_mov_b32_e32 v22, s30
	v_add_co_u32_e32 v4, vcc, s29, v4
	v_addc_co_u32_e32 v5, vcc, v22, v5, vcc
	v_cmp_gt_u32_e32 vcc, s19, v21
	v_or_b32_e32 v13, 0x1800, v18
	v_cndmask_b32_e32 v5, v5, v20, vcc
	v_cndmask_b32_e32 v4, v4, v19, vcc
	s_mov_b64 s[4:5], -1
	s_waitcnt vmcnt(1)
	ds_write2st64_b64 v18, v[6:7], v[14:15] offset1:4
	s_waitcnt vmcnt(0)
	ds_write_b64 v18, v[16:17] offset:4096
	s_cbranch_execz .LBB66_24
	s_branch .LBB66_43
.LBB66_23:
	s_mov_b64 s[4:5], 0
                                        ; implicit-def: $vgpr13
                                        ; implicit-def: $vgpr4_vgpr5
.LBB66_24:
	s_mov_b64 s[6:7], 0
                                        ; implicit-def: $vgpr4_vgpr5
	s_and_saveexec_b64 s[8:9], s[2:3]
	s_xor_b64 s[2:3], exec, s[8:9]
	s_cbranch_execnz .LBB66_72
; %bb.25:
	s_andn2_saveexec_b64 s[2:3], s[2:3]
	s_cbranch_execnz .LBB66_75
.LBB66_26:
	s_or_b64 exec, exec, s[2:3]
	v_mad_u32_u24 v13, v0, 6, v1
	s_and_saveexec_b64 s[2:3], s[6:7]
	s_cbranch_execz .LBB66_28
.LBB66_27:
	global_load_dwordx2 v[4:5], v[4:5], off
	s_waitcnt vmcnt(0)
	ds_write_b64 v13, v[4:5]
.LBB66_28:
	s_or_b64 exec, exec, s[2:3]
	v_or_b32_e32 v4, 0x100, v0
	v_cmp_le_u32_e32 vcc, s19, v4
	s_mov_b64 s[6:7], -1
	v_pk_mov_b32 v[6:7], s[22:23], s[22:23] op_sel:[0,1]
	s_and_saveexec_b64 s[2:3], vcc
; %bb.29:
	v_subrev_u32_e32 v4, s19, v4
	v_cmp_gt_u32_e32 vcc, s27, v4
	v_pk_mov_b32 v[6:7], s[24:25], s[24:25] op_sel:[0,1]
	s_orn2_b64 s[6:7], vcc, exec
; %bb.30:
	s_or_b64 exec, exec, s[2:3]
	s_and_saveexec_b64 s[2:3], s[6:7]
	s_cbranch_execz .LBB66_32
; %bb.31:
	v_lshlrev_b64 v[6:7], 3, v[6:7]
	v_mov_b32_e32 v5, s13
	v_add_co_u32_e32 v6, vcc, s12, v6
	v_addc_co_u32_e32 v7, vcc, v5, v7, vcc
	v_mov_b32_e32 v5, 0
	v_lshlrev_b64 v[4:5], 3, v[4:5]
	v_add_co_u32_e32 v4, vcc, v6, v4
	v_addc_co_u32_e32 v5, vcc, v7, v5, vcc
	global_load_dwordx2 v[4:5], v[4:5], off
	s_waitcnt vmcnt(0)
	ds_write_b64 v13, v[4:5] offset:2048
.LBB66_32:
	s_or_b64 exec, exec, s[2:3]
	v_or_b32_e32 v4, 0x200, v0
	v_cmp_le_u32_e32 vcc, s19, v4
	s_mov_b64 s[6:7], -1
	v_pk_mov_b32 v[6:7], s[22:23], s[22:23] op_sel:[0,1]
	s_and_saveexec_b64 s[2:3], vcc
; %bb.33:
	v_subrev_u32_e32 v4, s19, v4
	v_cmp_gt_u32_e32 vcc, s27, v4
	v_pk_mov_b32 v[6:7], s[24:25], s[24:25] op_sel:[0,1]
	s_orn2_b64 s[6:7], vcc, exec
; %bb.34:
	s_or_b64 exec, exec, s[2:3]
	s_and_saveexec_b64 s[2:3], s[6:7]
	s_cbranch_execz .LBB66_36
; %bb.35:
	v_lshlrev_b64 v[6:7], 3, v[6:7]
	v_mov_b32_e32 v5, s13
	v_add_co_u32_e32 v6, vcc, s12, v6
	v_addc_co_u32_e32 v7, vcc, v5, v7, vcc
	v_mov_b32_e32 v5, 0
	v_lshlrev_b64 v[4:5], 3, v[4:5]
	v_add_co_u32_e32 v4, vcc, v6, v4
	v_addc_co_u32_e32 v5, vcc, v7, v5, vcc
	global_load_dwordx2 v[4:5], v[4:5], off
	s_waitcnt vmcnt(0)
	ds_write_b64 v13, v[4:5] offset:4096
.LBB66_36:
	s_or_b64 exec, exec, s[2:3]
	v_or_b32_e32 v6, 0x300, v0
	v_cmp_le_u32_e32 vcc, s19, v6
                                        ; implicit-def: $vgpr13
                                        ; implicit-def: $vgpr4_vgpr5
	s_and_saveexec_b64 s[2:3], vcc
	s_xor_b64 s[2:3], exec, s[2:3]
	s_cbranch_execz .LBB66_40
; %bb.37:
	v_subrev_u32_e32 v6, s19, v6
	v_cmp_gt_u32_e32 vcc, s27, v6
	s_mov_b64 s[8:9], s[4:5]
                                        ; implicit-def: $vgpr13
                                        ; implicit-def: $vgpr4_vgpr5
	s_and_saveexec_b64 s[6:7], vcc
; %bb.38:
	v_mul_u32_u24_e32 v4, 6, v0
	s_movk_i32 s8, 0x1800
	v_mov_b32_e32 v7, 0
	v_add3_u32 v13, v1, v4, s8
	v_lshlrev_b64 v[4:5], 3, v[6:7]
	v_mov_b32_e32 v6, s30
	v_add_co_u32_e32 v4, vcc, s29, v4
	v_addc_co_u32_e32 v5, vcc, v6, v5, vcc
	s_or_b64 s[8:9], s[4:5], exec
; %bb.39:
	s_or_b64 exec, exec, s[6:7]
	s_andn2_b64 s[4:5], s[4:5], exec
	s_and_b64 s[6:7], s[8:9], exec
	s_or_b64 s[4:5], s[4:5], s[6:7]
                                        ; implicit-def: $vgpr6
.LBB66_40:
	s_andn2_saveexec_b64 s[2:3], s[2:3]
; %bb.41:
	v_lshlrev_b32_e32 v4, 3, v6
	v_mov_b32_e32 v5, s28
	v_add_co_u32_e32 v4, vcc, s26, v4
	v_mul_u32_u24_e32 v6, 6, v0
	s_movk_i32 s6, 0x1800
	v_addc_co_u32_e32 v5, vcc, 0, v5, vcc
	v_add3_u32 v13, v1, v6, s6
	s_or_b64 s[4:5], s[4:5], exec
; %bb.42:
	s_or_b64 exec, exec, s[2:3]
.LBB66_43:
	s_and_saveexec_b64 s[2:3], s[4:5]
	s_cbranch_execz .LBB66_45
; %bb.44:
	global_load_dwordx2 v[4:5], v[4:5], off
	s_waitcnt vmcnt(0)
	ds_write_b64 v13, v[4:5]
.LBB66_45:
	s_or_b64 exec, exec, s[2:3]
	s_and_b64 vcc, exec, s[0:1]
	v_add_u32_e32 v4, s18, v8
	s_waitcnt lgkmcnt(0)
	s_barrier
	s_cbranch_vccnz .LBB66_47
; %bb.46:
	v_lshlrev_b32_e32 v13, 3, v12
	v_lshlrev_b32_e32 v16, 3, v11
	;; [unrolled: 1-line block ×3, first 2 shown]
	ds_read_b64 v[14:15], v13
	ds_read_b64 v[16:17], v16
	;; [unrolled: 1-line block ×3, first 2 shown]
	v_mov_b32_e32 v5, 0
	v_lshlrev_b64 v[6:7], 3, v[4:5]
	v_mov_b32_e32 v20, s15
	v_add_co_u32_e32 v6, vcc, s14, v6
	v_addc_co_u32_e32 v7, vcc, v20, v7, vcc
	s_mov_b64 s[0:1], -1
	s_waitcnt lgkmcnt(1)
	global_store_dwordx4 v[6:7], v[14:17], off
	s_waitcnt lgkmcnt(0)
	global_store_dwordx2 v[6:7], v[18:19], off offset:16
	s_cbranch_execz .LBB66_48
	s_branch .LBB66_57
.LBB66_47:
	s_mov_b64 s[0:1], 0
.LBB66_48:
	v_cmp_gt_u32_e32 vcc, s17, v8
	s_and_saveexec_b64 s[2:3], vcc
	s_cbranch_execz .LBB66_50
; %bb.49:
	v_lshlrev_b32_e32 v12, 3, v12
	ds_read_b64 v[12:13], v12
	v_mov_b32_e32 v5, 0
	v_lshlrev_b64 v[6:7], 3, v[4:5]
	v_mov_b32_e32 v5, s15
	v_add_co_u32_e32 v6, vcc, s14, v6
	v_addc_co_u32_e32 v7, vcc, v5, v7, vcc
	s_waitcnt lgkmcnt(0)
	global_store_dwordx2 v[6:7], v[12:13], off
.LBB66_50:
	s_or_b64 exec, exec, s[2:3]
	v_or_b32_e32 v5, 1, v8
	v_cmp_gt_u32_e32 vcc, s17, v5
	s_and_saveexec_b64 s[2:3], vcc
	s_cbranch_execz .LBB66_52
; %bb.51:
	v_lshlrev_b32_e32 v11, 3, v11
	ds_read_b64 v[12:13], v11
	v_mov_b32_e32 v5, 0
	v_lshlrev_b64 v[6:7], 3, v[4:5]
	v_mov_b32_e32 v5, s15
	v_add_co_u32_e32 v6, vcc, s14, v6
	v_addc_co_u32_e32 v7, vcc, v5, v7, vcc
	s_waitcnt lgkmcnt(0)
	global_store_dwordx2 v[6:7], v[12:13], off offset:8
.LBB66_52:
	s_or_b64 exec, exec, s[2:3]
	v_or_b32_e32 v5, 2, v8
	v_cmp_gt_u32_e32 vcc, s17, v5
	s_and_saveexec_b64 s[2:3], vcc
	s_cbranch_execz .LBB66_54
; %bb.53:
	v_lshlrev_b32_e32 v10, 3, v10
	ds_read_b64 v[10:11], v10
	v_mov_b32_e32 v5, 0
	v_lshlrev_b64 v[6:7], 3, v[4:5]
	v_mov_b32_e32 v5, s15
	v_add_co_u32_e32 v6, vcc, s14, v6
	v_addc_co_u32_e32 v7, vcc, v5, v7, vcc
	s_waitcnt lgkmcnt(0)
	global_store_dwordx2 v[6:7], v[10:11], off offset:16
.LBB66_54:
	s_or_b64 exec, exec, s[2:3]
	v_or_b32_e32 v5, 3, v8
	v_cmp_gt_u32_e32 vcc, s17, v5
	s_and_saveexec_b64 s[2:3], vcc
; %bb.55:
	v_mov_b32_e32 v5, 0
	s_or_b64 s[0:1], s[0:1], exec
; %bb.56:
	s_or_b64 exec, exec, s[2:3]
.LBB66_57:
	s_and_saveexec_b64 s[2:3], s[0:1]
	s_cbranch_execz .LBB66_59
; %bb.58:
	v_lshlrev_b32_e32 v6, 3, v9
	ds_read_b64 v[6:7], v6
	v_lshlrev_b64 v[4:5], 3, v[4:5]
	v_mov_b32_e32 v10, s15
	v_add_co_u32_e32 v4, vcc, s14, v4
	v_addc_co_u32_e32 v5, vcc, v10, v5, vcc
	s_waitcnt lgkmcnt(0)
	global_store_dwordx2 v[4:5], v[6:7], off offset:24
.LBB66_59:
	s_or_b64 exec, exec, s[2:3]
	v_lshrrev_b32_e32 v4, 2, v0
	v_and_b32_e32 v4, 60, v4
	v_lshl_add_u32 v4, v8, 1, v4
	s_barrier
	s_barrier
	ds_write2_b32 v4, v2, v3 offset1:1
	v_lshrrev_b32_e32 v2, 4, v0
	v_and_b32_e32 v2, 12, v2
	v_or_b32_e32 v6, 0x100, v0
	v_add_u32_e32 v7, v1, v2
	v_lshrrev_b32_e32 v2, 4, v6
	v_and_b32_e32 v2, 28, v2
	v_or_b32_e32 v5, 0x200, v0
	s_mov_b32 s19, 0
	v_add_u32_e32 v8, v1, v2
	v_lshrrev_b32_e32 v2, 4, v5
	s_lshl_b64 s[0:1], s[18:19], 1
	v_and_b32_e32 v2, 44, v2
	v_or_b32_e32 v4, 0x300, v0
	s_add_u32 s0, s10, s0
	v_add_u32_e32 v9, v1, v2
	v_lshrrev_b32_e32 v2, 4, v4
	s_addc_u32 s1, s11, s1
	v_and_b32_e32 v2, 60, v2
	v_add_u32_e32 v10, v1, v2
	v_mov_b32_e32 v3, s1
	v_add_co_u32_e32 v2, vcc, s0, v1
	v_addc_co_u32_e32 v3, vcc, 0, v3, vcc
	s_and_b64 vcc, exec, s[20:21]
	s_waitcnt lgkmcnt(0)
	s_cbranch_vccz .LBB66_61
; %bb.60:
	s_barrier
	ds_read_u16 v11, v7
	ds_read_u16 v12, v8 offset:512
	ds_read_u16 v13, v9 offset:1024
	;; [unrolled: 1-line block ×3, first 2 shown]
	s_waitcnt lgkmcnt(3)
	global_store_short v[2:3], v11, off
	s_waitcnt lgkmcnt(2)
	global_store_short v[2:3], v12, off offset:512
	s_waitcnt lgkmcnt(1)
	global_store_short v[2:3], v13, off offset:1024
	s_mov_b64 s[0:1], -1
	s_cbranch_execz .LBB66_62
	s_branch .LBB66_67
.LBB66_61:
	s_mov_b64 s[0:1], 0
                                        ; implicit-def: $vgpr1
.LBB66_62:
	s_barrier
	s_waitcnt lgkmcnt(0)
	ds_read_u16 v11, v8 offset:512
	ds_read_u16 v8, v9 offset:1024
	;; [unrolled: 1-line block ×3, first 2 shown]
	s_sub_i32 s2, s16, s18
	v_cmp_gt_u32_e32 vcc, s2, v0
	s_and_saveexec_b64 s[0:1], vcc
	s_cbranch_execnz .LBB66_76
; %bb.63:
	s_or_b64 exec, exec, s[0:1]
	v_cmp_gt_u32_e32 vcc, s2, v6
	s_and_saveexec_b64 s[0:1], vcc
	s_cbranch_execnz .LBB66_77
.LBB66_64:
	s_or_b64 exec, exec, s[0:1]
	v_cmp_gt_u32_e32 vcc, s2, v5
	s_and_saveexec_b64 s[0:1], vcc
	s_cbranch_execz .LBB66_66
.LBB66_65:
	s_waitcnt lgkmcnt(1)
	global_store_short v[2:3], v8, off offset:1024
.LBB66_66:
	s_or_b64 exec, exec, s[0:1]
	v_cmp_gt_u32_e64 s[0:1], s2, v4
.LBB66_67:
	s_and_saveexec_b64 s[2:3], s[0:1]
	s_cbranch_execz .LBB66_69
; %bb.68:
	s_waitcnt lgkmcnt(0)
	global_store_short v[2:3], v1, off offset:1536
.LBB66_69:
	s_endpgm
.LBB66_70:
	v_mov_b32_e32 v2, s28
	v_add_co_u32_e32 v5, vcc, s7, v1
	v_mov_b32_e32 v3, 0
	v_addc_co_u32_e32 v7, vcc, 0, v2, vcc
	v_subrev_u32_e32 v2, s19, v0
	v_lshlrev_b64 v[2:3], 1, v[2:3]
	v_mov_b32_e32 v9, s5
	v_add_co_u32_e32 v2, vcc, s4, v2
	v_addc_co_u32_e32 v3, vcc, v9, v3, vcc
	v_cmp_gt_u32_e32 vcc, s19, v0
	v_cndmask_b32_e32 v3, v3, v7, vcc
	v_cndmask_b32_e32 v2, v2, v5, vcc
	global_load_ushort v2, v[2:3], off
	s_or_b64 exec, exec, s[0:1]
	v_cmp_gt_u32_e32 vcc, s17, v6
	s_and_saveexec_b64 s[2:3], vcc
	s_cbranch_execz .LBB66_6
.LBB66_71:
	v_mov_b32_e32 v7, 0
	v_lshlrev_b64 v[10:11], 1, v[6:7]
	v_mov_b32_e32 v5, s28
	v_add_co_u32_e32 v9, vcc, s7, v10
	v_addc_co_u32_e32 v5, vcc, v5, v11, vcc
	v_cmp_gt_u32_e32 vcc, s19, v6
	v_subrev_u32_e32 v6, s19, v6
	v_lshlrev_b64 v[6:7], 1, v[6:7]
	v_mov_b32_e32 v10, s5
	v_add_co_u32_e64 v6, s[0:1], s4, v6
	v_addc_co_u32_e64 v7, s[0:1], v10, v7, s[0:1]
	v_cndmask_b32_e32 v7, v7, v5, vcc
	v_cndmask_b32_e32 v6, v6, v9, vcc
	global_load_ushort v5, v[6:7], off
	s_mov_b32 s0, 0x5040100
	s_waitcnt vmcnt(0)
	v_perm_b32 v2, v5, v2, s0
	s_or_b64 exec, exec, s[2:3]
	v_cmp_gt_u32_e32 vcc, s17, v4
	s_and_saveexec_b64 s[0:1], vcc
	s_cbranch_execnz .LBB66_7
	s_branch .LBB66_8
.LBB66_72:
	v_subrev_u32_e32 v6, s19, v0
	v_cmp_gt_u32_e32 vcc, s27, v6
                                        ; implicit-def: $vgpr4_vgpr5
	s_and_saveexec_b64 s[8:9], vcc
	s_xor_b64 s[8:9], exec, s[8:9]
; %bb.73:
	v_mov_b32_e32 v7, 0
	v_lshlrev_b64 v[4:5], 3, v[6:7]
	v_mov_b32_e32 v6, s30
	v_add_co_u32_e32 v4, vcc, s29, v4
	s_mov_b64 s[6:7], exec
	v_addc_co_u32_e32 v5, vcc, v6, v5, vcc
; %bb.74:
	s_or_b64 exec, exec, s[8:9]
	s_and_b64 s[6:7], s[6:7], exec
	s_andn2_saveexec_b64 s[2:3], s[2:3]
	s_cbranch_execz .LBB66_26
.LBB66_75:
	v_lshlrev_b32_e32 v4, 3, v0
	v_mov_b32_e32 v5, s28
	v_add_co_u32_e32 v4, vcc, s26, v4
	v_addc_co_u32_e32 v5, vcc, 0, v5, vcc
	s_or_b64 s[6:7], s[6:7], exec
	s_or_b64 exec, exec, s[2:3]
	v_mad_u32_u24 v13, v0, 6, v1
	s_and_saveexec_b64 s[2:3], s[6:7]
	s_cbranch_execnz .LBB66_27
	s_branch .LBB66_28
.LBB66_76:
	ds_read_u16 v0, v7
	s_waitcnt lgkmcnt(0)
	global_store_short v[2:3], v0, off
	s_or_b64 exec, exec, s[0:1]
	v_cmp_gt_u32_e32 vcc, s2, v6
	s_and_saveexec_b64 s[0:1], vcc
	s_cbranch_execz .LBB66_64
.LBB66_77:
	s_waitcnt lgkmcnt(2)
	global_store_short v[2:3], v11, off offset:512
	s_or_b64 exec, exec, s[0:1]
	v_cmp_gt_u32_e32 vcc, s2, v5
	s_and_saveexec_b64 s[0:1], vcc
	s_cbranch_execnz .LBB66_65
	s_branch .LBB66_66
	.section	.rodata,"a",@progbits
	.p2align	6, 0x0
	.amdhsa_kernel _ZN7rocprim17ROCPRIM_304000_NS6detail35device_block_merge_mergepath_kernelINS1_37wrapped_merge_sort_block_merge_configINS0_14default_configEsN2at4cuda3cub6detail10OpaqueTypeILi8EEEEEPsSC_PSA_SD_jNS1_19radix_merge_compareILb0ELb0EsNS0_19identity_decomposerEEEEEvT0_T1_T2_T3_T4_SL_jT5_PKSL_NS1_7vsmem_tE
		.amdhsa_group_segment_fixed_size 8208
		.amdhsa_private_segment_fixed_size 0
		.amdhsa_kernarg_size 320
		.amdhsa_user_sgpr_count 6
		.amdhsa_user_sgpr_private_segment_buffer 1
		.amdhsa_user_sgpr_dispatch_ptr 0
		.amdhsa_user_sgpr_queue_ptr 0
		.amdhsa_user_sgpr_kernarg_segment_ptr 1
		.amdhsa_user_sgpr_dispatch_id 0
		.amdhsa_user_sgpr_flat_scratch_init 0
		.amdhsa_user_sgpr_kernarg_preload_length 0
		.amdhsa_user_sgpr_kernarg_preload_offset 0
		.amdhsa_user_sgpr_private_segment_size 0
		.amdhsa_uses_dynamic_stack 0
		.amdhsa_system_sgpr_private_segment_wavefront_offset 0
		.amdhsa_system_sgpr_workgroup_id_x 1
		.amdhsa_system_sgpr_workgroup_id_y 1
		.amdhsa_system_sgpr_workgroup_id_z 1
		.amdhsa_system_sgpr_workgroup_info 0
		.amdhsa_system_vgpr_workitem_id 0
		.amdhsa_next_free_vgpr 23
		.amdhsa_next_free_sgpr 31
		.amdhsa_accum_offset 24
		.amdhsa_reserve_vcc 1
		.amdhsa_reserve_flat_scratch 0
		.amdhsa_float_round_mode_32 0
		.amdhsa_float_round_mode_16_64 0
		.amdhsa_float_denorm_mode_32 3
		.amdhsa_float_denorm_mode_16_64 3
		.amdhsa_dx10_clamp 1
		.amdhsa_ieee_mode 1
		.amdhsa_fp16_overflow 0
		.amdhsa_tg_split 0
		.amdhsa_exception_fp_ieee_invalid_op 0
		.amdhsa_exception_fp_denorm_src 0
		.amdhsa_exception_fp_ieee_div_zero 0
		.amdhsa_exception_fp_ieee_overflow 0
		.amdhsa_exception_fp_ieee_underflow 0
		.amdhsa_exception_fp_ieee_inexact 0
		.amdhsa_exception_int_div_zero 0
	.end_amdhsa_kernel
	.section	.text._ZN7rocprim17ROCPRIM_304000_NS6detail35device_block_merge_mergepath_kernelINS1_37wrapped_merge_sort_block_merge_configINS0_14default_configEsN2at4cuda3cub6detail10OpaqueTypeILi8EEEEEPsSC_PSA_SD_jNS1_19radix_merge_compareILb0ELb0EsNS0_19identity_decomposerEEEEEvT0_T1_T2_T3_T4_SL_jT5_PKSL_NS1_7vsmem_tE,"axG",@progbits,_ZN7rocprim17ROCPRIM_304000_NS6detail35device_block_merge_mergepath_kernelINS1_37wrapped_merge_sort_block_merge_configINS0_14default_configEsN2at4cuda3cub6detail10OpaqueTypeILi8EEEEEPsSC_PSA_SD_jNS1_19radix_merge_compareILb0ELb0EsNS0_19identity_decomposerEEEEEvT0_T1_T2_T3_T4_SL_jT5_PKSL_NS1_7vsmem_tE,comdat
.Lfunc_end66:
	.size	_ZN7rocprim17ROCPRIM_304000_NS6detail35device_block_merge_mergepath_kernelINS1_37wrapped_merge_sort_block_merge_configINS0_14default_configEsN2at4cuda3cub6detail10OpaqueTypeILi8EEEEEPsSC_PSA_SD_jNS1_19radix_merge_compareILb0ELb0EsNS0_19identity_decomposerEEEEEvT0_T1_T2_T3_T4_SL_jT5_PKSL_NS1_7vsmem_tE, .Lfunc_end66-_ZN7rocprim17ROCPRIM_304000_NS6detail35device_block_merge_mergepath_kernelINS1_37wrapped_merge_sort_block_merge_configINS0_14default_configEsN2at4cuda3cub6detail10OpaqueTypeILi8EEEEEPsSC_PSA_SD_jNS1_19radix_merge_compareILb0ELb0EsNS0_19identity_decomposerEEEEEvT0_T1_T2_T3_T4_SL_jT5_PKSL_NS1_7vsmem_tE
                                        ; -- End function
	.section	.AMDGPU.csdata,"",@progbits
; Kernel info:
; codeLenInByte = 3564
; NumSgprs: 35
; NumVgprs: 23
; NumAgprs: 0
; TotalNumVgprs: 23
; ScratchSize: 0
; MemoryBound: 1
; FloatMode: 240
; IeeeMode: 1
; LDSByteSize: 8208 bytes/workgroup (compile time only)
; SGPRBlocks: 4
; VGPRBlocks: 2
; NumSGPRsForWavesPerEU: 35
; NumVGPRsForWavesPerEU: 23
; AccumOffset: 24
; Occupancy: 7
; WaveLimiterHint : 1
; COMPUTE_PGM_RSRC2:SCRATCH_EN: 0
; COMPUTE_PGM_RSRC2:USER_SGPR: 6
; COMPUTE_PGM_RSRC2:TRAP_HANDLER: 0
; COMPUTE_PGM_RSRC2:TGID_X_EN: 1
; COMPUTE_PGM_RSRC2:TGID_Y_EN: 1
; COMPUTE_PGM_RSRC2:TGID_Z_EN: 1
; COMPUTE_PGM_RSRC2:TIDIG_COMP_CNT: 0
; COMPUTE_PGM_RSRC3_GFX90A:ACCUM_OFFSET: 5
; COMPUTE_PGM_RSRC3_GFX90A:TG_SPLIT: 0
	.section	.text._ZN7rocprim17ROCPRIM_304000_NS6detail33device_block_merge_oddeven_kernelINS1_37wrapped_merge_sort_block_merge_configINS0_14default_configEsN2at4cuda3cub6detail10OpaqueTypeILi8EEEEEPsSC_PSA_SD_jNS1_19radix_merge_compareILb0ELb0EsNS0_19identity_decomposerEEEEEvT0_T1_T2_T3_T4_SL_T5_,"axG",@progbits,_ZN7rocprim17ROCPRIM_304000_NS6detail33device_block_merge_oddeven_kernelINS1_37wrapped_merge_sort_block_merge_configINS0_14default_configEsN2at4cuda3cub6detail10OpaqueTypeILi8EEEEEPsSC_PSA_SD_jNS1_19radix_merge_compareILb0ELb0EsNS0_19identity_decomposerEEEEEvT0_T1_T2_T3_T4_SL_T5_,comdat
	.protected	_ZN7rocprim17ROCPRIM_304000_NS6detail33device_block_merge_oddeven_kernelINS1_37wrapped_merge_sort_block_merge_configINS0_14default_configEsN2at4cuda3cub6detail10OpaqueTypeILi8EEEEEPsSC_PSA_SD_jNS1_19radix_merge_compareILb0ELb0EsNS0_19identity_decomposerEEEEEvT0_T1_T2_T3_T4_SL_T5_ ; -- Begin function _ZN7rocprim17ROCPRIM_304000_NS6detail33device_block_merge_oddeven_kernelINS1_37wrapped_merge_sort_block_merge_configINS0_14default_configEsN2at4cuda3cub6detail10OpaqueTypeILi8EEEEEPsSC_PSA_SD_jNS1_19radix_merge_compareILb0ELb0EsNS0_19identity_decomposerEEEEEvT0_T1_T2_T3_T4_SL_T5_
	.globl	_ZN7rocprim17ROCPRIM_304000_NS6detail33device_block_merge_oddeven_kernelINS1_37wrapped_merge_sort_block_merge_configINS0_14default_configEsN2at4cuda3cub6detail10OpaqueTypeILi8EEEEEPsSC_PSA_SD_jNS1_19radix_merge_compareILb0ELb0EsNS0_19identity_decomposerEEEEEvT0_T1_T2_T3_T4_SL_T5_
	.p2align	8
	.type	_ZN7rocprim17ROCPRIM_304000_NS6detail33device_block_merge_oddeven_kernelINS1_37wrapped_merge_sort_block_merge_configINS0_14default_configEsN2at4cuda3cub6detail10OpaqueTypeILi8EEEEEPsSC_PSA_SD_jNS1_19radix_merge_compareILb0ELb0EsNS0_19identity_decomposerEEEEEvT0_T1_T2_T3_T4_SL_T5_,@function
_ZN7rocprim17ROCPRIM_304000_NS6detail33device_block_merge_oddeven_kernelINS1_37wrapped_merge_sort_block_merge_configINS0_14default_configEsN2at4cuda3cub6detail10OpaqueTypeILi8EEEEEPsSC_PSA_SD_jNS1_19radix_merge_compareILb0ELb0EsNS0_19identity_decomposerEEEEEvT0_T1_T2_T3_T4_SL_T5_: ; @_ZN7rocprim17ROCPRIM_304000_NS6detail33device_block_merge_oddeven_kernelINS1_37wrapped_merge_sort_block_merge_configINS0_14default_configEsN2at4cuda3cub6detail10OpaqueTypeILi8EEEEEPsSC_PSA_SD_jNS1_19radix_merge_compareILb0ELb0EsNS0_19identity_decomposerEEEEEvT0_T1_T2_T3_T4_SL_T5_
; %bb.0:
	s_load_dwordx2 s[16:17], s[4:5], 0x20
	s_waitcnt lgkmcnt(0)
	s_lshr_b32 s2, s16, 8
	s_cmp_lg_u32 s6, s2
	s_cselect_b64 s[0:1], -1, 0
	s_cmp_eq_u32 s6, s2
	s_cselect_b64 s[18:19], -1, 0
	s_lshl_b32 s20, s6, 8
	s_sub_i32 s2, s16, s20
	v_cmp_gt_u32_e64 s[2:3], s2, v0
	s_or_b64 s[0:1], s[0:1], s[2:3]
	s_and_saveexec_b64 s[8:9], s[0:1]
	s_cbranch_execz .LBB67_26
; %bb.1:
	s_load_dwordx8 s[8:15], s[4:5], 0x0
	s_mov_b32 s21, 0
	s_lshl_b64 s[0:1], s[20:21], 1
	v_lshlrev_b32_e32 v4, 3, v0
	v_lshlrev_b32_e32 v1, 1, v0
	s_waitcnt lgkmcnt(0)
	s_add_u32 s0, s8, s0
	s_addc_u32 s1, s9, s1
	s_lshl_b64 s[4:5], s[20:21], 3
	s_add_u32 s4, s12, s4
	s_addc_u32 s5, s13, s5
	global_load_dwordx2 v[2:3], v4, s[4:5]
	global_load_ushort v6, v1, s[0:1]
	s_lshr_b32 s0, s17, 8
	s_sub_i32 s1, 0, s0
	s_and_b32 s1, s6, s1
	s_and_b32 s0, s1, s0
	s_lshl_b32 s22, s1, 8
	s_sub_i32 s6, 0, s17
	s_cmp_eq_u32 s0, 0
	s_cselect_b64 s[0:1], -1, 0
	s_and_b64 s[4:5], s[0:1], exec
	s_cselect_b32 s21, s17, s6
	s_add_i32 s21, s21, s22
	s_cmp_lt_u32 s21, s16
	v_add_u32_e32 v4, s20, v0
	s_cbranch_scc1 .LBB67_6
; %bb.2:
	s_and_b64 vcc, exec, s[18:19]
	s_cbranch_vccz .LBB67_7
; %bb.3:
	v_cmp_gt_u32_e32 vcc, s16, v4
	s_mov_b64 s[6:7], 0
	s_mov_b64 s[4:5], 0
                                        ; implicit-def: $vgpr0_vgpr1
	s_and_saveexec_b64 s[12:13], vcc
	s_cbranch_execz .LBB67_5
; %bb.4:
	v_mov_b32_e32 v5, 0
	v_lshlrev_b64 v[0:1], 3, v[4:5]
	v_mov_b32_e32 v7, s15
	v_add_co_u32_e32 v0, vcc, s14, v0
	v_addc_co_u32_e32 v1, vcc, v7, v1, vcc
	v_lshlrev_b64 v[8:9], 1, v[4:5]
	v_mov_b32_e32 v5, s11
	v_add_co_u32_e32 v8, vcc, s10, v8
	s_mov_b64 s[4:5], exec
	v_addc_co_u32_e32 v9, vcc, v5, v9, vcc
	s_waitcnt vmcnt(0)
	global_store_short v[8:9], v6, off
.LBB67_5:
	s_or_b64 exec, exec, s[12:13]
	s_and_b64 vcc, exec, s[6:7]
	s_cbranch_vccnz .LBB67_8
	s_branch .LBB67_9
.LBB67_6:
	s_mov_b64 s[4:5], 0
                                        ; implicit-def: $vgpr0_vgpr1
	s_cbranch_execnz .LBB67_10
	s_branch .LBB67_24
.LBB67_7:
	s_mov_b64 s[4:5], 0
                                        ; implicit-def: $vgpr0_vgpr1
	s_cbranch_execz .LBB67_9
.LBB67_8:
	v_mov_b32_e32 v5, 0
	v_lshlrev_b64 v[0:1], 1, v[4:5]
	v_mov_b32_e32 v7, s11
	v_add_co_u32_e32 v0, vcc, s10, v0
	v_addc_co_u32_e32 v1, vcc, v7, v1, vcc
	s_waitcnt vmcnt(0)
	global_store_short v[0:1], v6, off
	v_lshlrev_b64 v[0:1], 3, v[4:5]
	v_mov_b32_e32 v5, s15
	v_add_co_u32_e32 v0, vcc, s14, v0
	v_addc_co_u32_e32 v1, vcc, v5, v1, vcc
	s_or_b64 s[4:5], s[4:5], exec
.LBB67_9:
	s_branch .LBB67_24
.LBB67_10:
	s_min_u32 s12, s21, s16
	s_add_i32 s6, s12, s17
	s_min_u32 s13, s6, s16
	s_min_u32 s6, s22, s12
	s_add_i32 s22, s22, s12
	v_subrev_u32_e32 v0, s22, v4
	v_add_u32_e32 v4, s6, v0
	s_and_b64 vcc, exec, s[18:19]
	s_cbranch_vccz .LBB67_18
; %bb.11:
                                        ; implicit-def: $vgpr0_vgpr1
	s_and_saveexec_b64 s[6:7], s[2:3]
	s_cbranch_execz .LBB67_17
; %bb.12:
	s_cmp_ge_u32 s21, s13
	v_mov_b32_e32 v0, s12
	s_cbranch_scc1 .LBB67_16
; %bb.13:
	s_mov_b64 s[2:3], 0
	v_mov_b32_e32 v1, s13
	v_mov_b32_e32 v0, s12
.LBB67_14:                              ; =>This Inner Loop Header: Depth=1
	v_add_u32_e32 v5, v0, v1
	v_and_b32_e32 v7, -2, v5
	global_load_ushort v7, v7, s[8:9]
	v_lshrrev_b32_e32 v5, 1, v5
	v_add_u32_e32 v8, 1, v5
	s_waitcnt vmcnt(0)
	v_cmp_gt_i16_e32 vcc, v6, v7
	v_cndmask_b32_e64 v9, 0, 1, vcc
	v_cmp_le_i16_e32 vcc, v7, v6
	v_cndmask_b32_e64 v7, 0, 1, vcc
	v_cndmask_b32_e64 v7, v7, v9, s[0:1]
	v_and_b32_e32 v7, 1, v7
	v_cmp_eq_u32_e32 vcc, 1, v7
	v_cndmask_b32_e32 v1, v5, v1, vcc
	v_cndmask_b32_e32 v0, v0, v8, vcc
	v_cmp_ge_u32_e32 vcc, v0, v1
	s_or_b64 s[2:3], vcc, s[2:3]
	s_andn2_b64 exec, exec, s[2:3]
	s_cbranch_execnz .LBB67_14
; %bb.15:
	s_or_b64 exec, exec, s[2:3]
.LBB67_16:
	v_add_u32_e32 v0, v0, v4
	v_mov_b32_e32 v1, 0
	v_lshlrev_b64 v[8:9], 1, v[0:1]
	v_mov_b32_e32 v5, s11
	v_add_co_u32_e32 v8, vcc, s10, v8
	v_addc_co_u32_e32 v9, vcc, v5, v9, vcc
	v_lshlrev_b64 v[0:1], 3, v[0:1]
	v_mov_b32_e32 v5, s15
	v_add_co_u32_e32 v0, vcc, s14, v0
	s_waitcnt vmcnt(0)
	global_store_short v[8:9], v6, off
	v_addc_co_u32_e32 v1, vcc, v5, v1, vcc
	s_or_b64 s[4:5], s[4:5], exec
.LBB67_17:
	s_or_b64 exec, exec, s[6:7]
	s_branch .LBB67_24
.LBB67_18:
                                        ; implicit-def: $vgpr0_vgpr1
	s_cbranch_execz .LBB67_24
; %bb.19:
	s_cmp_ge_u32 s21, s13
	v_mov_b32_e32 v0, s12
	s_cbranch_scc1 .LBB67_23
; %bb.20:
	s_mov_b64 s[2:3], 0
	v_mov_b32_e32 v1, s13
	v_mov_b32_e32 v0, s12
.LBB67_21:                              ; =>This Inner Loop Header: Depth=1
	v_add_u32_e32 v5, v0, v1
	v_and_b32_e32 v7, -2, v5
	global_load_ushort v7, v7, s[8:9]
	v_lshrrev_b32_e32 v5, 1, v5
	v_add_u32_e32 v8, 1, v5
	s_waitcnt vmcnt(0)
	v_cmp_gt_i16_e32 vcc, v6, v7
	v_cndmask_b32_e64 v9, 0, 1, vcc
	v_cmp_le_i16_e32 vcc, v7, v6
	v_cndmask_b32_e64 v7, 0, 1, vcc
	v_cndmask_b32_e64 v7, v7, v9, s[0:1]
	v_and_b32_e32 v7, 1, v7
	v_cmp_eq_u32_e32 vcc, 1, v7
	v_cndmask_b32_e32 v1, v5, v1, vcc
	v_cndmask_b32_e32 v0, v0, v8, vcc
	v_cmp_ge_u32_e32 vcc, v0, v1
	s_or_b64 s[2:3], vcc, s[2:3]
	s_andn2_b64 exec, exec, s[2:3]
	s_cbranch_execnz .LBB67_21
; %bb.22:
	s_or_b64 exec, exec, s[2:3]
.LBB67_23:
	v_add_u32_e32 v0, v0, v4
	v_mov_b32_e32 v1, 0
	v_lshlrev_b64 v[4:5], 1, v[0:1]
	v_mov_b32_e32 v7, s11
	v_add_co_u32_e32 v4, vcc, s10, v4
	v_addc_co_u32_e32 v5, vcc, v7, v5, vcc
	v_lshlrev_b64 v[0:1], 3, v[0:1]
	s_waitcnt vmcnt(0)
	global_store_short v[4:5], v6, off
	v_mov_b32_e32 v4, s15
	v_add_co_u32_e32 v0, vcc, s14, v0
	v_addc_co_u32_e32 v1, vcc, v4, v1, vcc
	s_mov_b64 s[4:5], -1
.LBB67_24:
	s_and_b64 exec, exec, s[4:5]
	s_cbranch_execz .LBB67_26
; %bb.25:
	s_waitcnt vmcnt(1)
	global_store_dwordx2 v[0:1], v[2:3], off
.LBB67_26:
	s_endpgm
	.section	.rodata,"a",@progbits
	.p2align	6, 0x0
	.amdhsa_kernel _ZN7rocprim17ROCPRIM_304000_NS6detail33device_block_merge_oddeven_kernelINS1_37wrapped_merge_sort_block_merge_configINS0_14default_configEsN2at4cuda3cub6detail10OpaqueTypeILi8EEEEEPsSC_PSA_SD_jNS1_19radix_merge_compareILb0ELb0EsNS0_19identity_decomposerEEEEEvT0_T1_T2_T3_T4_SL_T5_
		.amdhsa_group_segment_fixed_size 0
		.amdhsa_private_segment_fixed_size 0
		.amdhsa_kernarg_size 44
		.amdhsa_user_sgpr_count 6
		.amdhsa_user_sgpr_private_segment_buffer 1
		.amdhsa_user_sgpr_dispatch_ptr 0
		.amdhsa_user_sgpr_queue_ptr 0
		.amdhsa_user_sgpr_kernarg_segment_ptr 1
		.amdhsa_user_sgpr_dispatch_id 0
		.amdhsa_user_sgpr_flat_scratch_init 0
		.amdhsa_user_sgpr_kernarg_preload_length 0
		.amdhsa_user_sgpr_kernarg_preload_offset 0
		.amdhsa_user_sgpr_private_segment_size 0
		.amdhsa_uses_dynamic_stack 0
		.amdhsa_system_sgpr_private_segment_wavefront_offset 0
		.amdhsa_system_sgpr_workgroup_id_x 1
		.amdhsa_system_sgpr_workgroup_id_y 0
		.amdhsa_system_sgpr_workgroup_id_z 0
		.amdhsa_system_sgpr_workgroup_info 0
		.amdhsa_system_vgpr_workitem_id 0
		.amdhsa_next_free_vgpr 10
		.amdhsa_next_free_sgpr 23
		.amdhsa_accum_offset 12
		.amdhsa_reserve_vcc 1
		.amdhsa_reserve_flat_scratch 0
		.amdhsa_float_round_mode_32 0
		.amdhsa_float_round_mode_16_64 0
		.amdhsa_float_denorm_mode_32 3
		.amdhsa_float_denorm_mode_16_64 3
		.amdhsa_dx10_clamp 1
		.amdhsa_ieee_mode 1
		.amdhsa_fp16_overflow 0
		.amdhsa_tg_split 0
		.amdhsa_exception_fp_ieee_invalid_op 0
		.amdhsa_exception_fp_denorm_src 0
		.amdhsa_exception_fp_ieee_div_zero 0
		.amdhsa_exception_fp_ieee_overflow 0
		.amdhsa_exception_fp_ieee_underflow 0
		.amdhsa_exception_fp_ieee_inexact 0
		.amdhsa_exception_int_div_zero 0
	.end_amdhsa_kernel
	.section	.text._ZN7rocprim17ROCPRIM_304000_NS6detail33device_block_merge_oddeven_kernelINS1_37wrapped_merge_sort_block_merge_configINS0_14default_configEsN2at4cuda3cub6detail10OpaqueTypeILi8EEEEEPsSC_PSA_SD_jNS1_19radix_merge_compareILb0ELb0EsNS0_19identity_decomposerEEEEEvT0_T1_T2_T3_T4_SL_T5_,"axG",@progbits,_ZN7rocprim17ROCPRIM_304000_NS6detail33device_block_merge_oddeven_kernelINS1_37wrapped_merge_sort_block_merge_configINS0_14default_configEsN2at4cuda3cub6detail10OpaqueTypeILi8EEEEEPsSC_PSA_SD_jNS1_19radix_merge_compareILb0ELb0EsNS0_19identity_decomposerEEEEEvT0_T1_T2_T3_T4_SL_T5_,comdat
.Lfunc_end67:
	.size	_ZN7rocprim17ROCPRIM_304000_NS6detail33device_block_merge_oddeven_kernelINS1_37wrapped_merge_sort_block_merge_configINS0_14default_configEsN2at4cuda3cub6detail10OpaqueTypeILi8EEEEEPsSC_PSA_SD_jNS1_19radix_merge_compareILb0ELb0EsNS0_19identity_decomposerEEEEEvT0_T1_T2_T3_T4_SL_T5_, .Lfunc_end67-_ZN7rocprim17ROCPRIM_304000_NS6detail33device_block_merge_oddeven_kernelINS1_37wrapped_merge_sort_block_merge_configINS0_14default_configEsN2at4cuda3cub6detail10OpaqueTypeILi8EEEEEPsSC_PSA_SD_jNS1_19radix_merge_compareILb0ELb0EsNS0_19identity_decomposerEEEEEvT0_T1_T2_T3_T4_SL_T5_
                                        ; -- End function
	.section	.AMDGPU.csdata,"",@progbits
; Kernel info:
; codeLenInByte = 816
; NumSgprs: 27
; NumVgprs: 10
; NumAgprs: 0
; TotalNumVgprs: 10
; ScratchSize: 0
; MemoryBound: 0
; FloatMode: 240
; IeeeMode: 1
; LDSByteSize: 0 bytes/workgroup (compile time only)
; SGPRBlocks: 3
; VGPRBlocks: 1
; NumSGPRsForWavesPerEU: 27
; NumVGPRsForWavesPerEU: 10
; AccumOffset: 12
; Occupancy: 8
; WaveLimiterHint : 0
; COMPUTE_PGM_RSRC2:SCRATCH_EN: 0
; COMPUTE_PGM_RSRC2:USER_SGPR: 6
; COMPUTE_PGM_RSRC2:TRAP_HANDLER: 0
; COMPUTE_PGM_RSRC2:TGID_X_EN: 1
; COMPUTE_PGM_RSRC2:TGID_Y_EN: 0
; COMPUTE_PGM_RSRC2:TGID_Z_EN: 0
; COMPUTE_PGM_RSRC2:TIDIG_COMP_CNT: 0
; COMPUTE_PGM_RSRC3_GFX90A:ACCUM_OFFSET: 2
; COMPUTE_PGM_RSRC3_GFX90A:TG_SPLIT: 0
	.section	.text._ZN7rocprim17ROCPRIM_304000_NS6detail45device_block_merge_mergepath_partition_kernelINS1_37wrapped_merge_sort_block_merge_configINS0_14default_configEsN2at4cuda3cub6detail10OpaqueTypeILi8EEEEEPsjNS1_19radix_merge_compareILb0ELb1EsNS0_19identity_decomposerEEEEEvT0_T1_jPSH_T2_SH_,"axG",@progbits,_ZN7rocprim17ROCPRIM_304000_NS6detail45device_block_merge_mergepath_partition_kernelINS1_37wrapped_merge_sort_block_merge_configINS0_14default_configEsN2at4cuda3cub6detail10OpaqueTypeILi8EEEEEPsjNS1_19radix_merge_compareILb0ELb1EsNS0_19identity_decomposerEEEEEvT0_T1_jPSH_T2_SH_,comdat
	.protected	_ZN7rocprim17ROCPRIM_304000_NS6detail45device_block_merge_mergepath_partition_kernelINS1_37wrapped_merge_sort_block_merge_configINS0_14default_configEsN2at4cuda3cub6detail10OpaqueTypeILi8EEEEEPsjNS1_19radix_merge_compareILb0ELb1EsNS0_19identity_decomposerEEEEEvT0_T1_jPSH_T2_SH_ ; -- Begin function _ZN7rocprim17ROCPRIM_304000_NS6detail45device_block_merge_mergepath_partition_kernelINS1_37wrapped_merge_sort_block_merge_configINS0_14default_configEsN2at4cuda3cub6detail10OpaqueTypeILi8EEEEEPsjNS1_19radix_merge_compareILb0ELb1EsNS0_19identity_decomposerEEEEEvT0_T1_jPSH_T2_SH_
	.globl	_ZN7rocprim17ROCPRIM_304000_NS6detail45device_block_merge_mergepath_partition_kernelINS1_37wrapped_merge_sort_block_merge_configINS0_14default_configEsN2at4cuda3cub6detail10OpaqueTypeILi8EEEEEPsjNS1_19radix_merge_compareILb0ELb1EsNS0_19identity_decomposerEEEEEvT0_T1_jPSH_T2_SH_
	.p2align	8
	.type	_ZN7rocprim17ROCPRIM_304000_NS6detail45device_block_merge_mergepath_partition_kernelINS1_37wrapped_merge_sort_block_merge_configINS0_14default_configEsN2at4cuda3cub6detail10OpaqueTypeILi8EEEEEPsjNS1_19radix_merge_compareILb0ELb1EsNS0_19identity_decomposerEEEEEvT0_T1_jPSH_T2_SH_,@function
_ZN7rocprim17ROCPRIM_304000_NS6detail45device_block_merge_mergepath_partition_kernelINS1_37wrapped_merge_sort_block_merge_configINS0_14default_configEsN2at4cuda3cub6detail10OpaqueTypeILi8EEEEEPsjNS1_19radix_merge_compareILb0ELb1EsNS0_19identity_decomposerEEEEEvT0_T1_jPSH_T2_SH_: ; @_ZN7rocprim17ROCPRIM_304000_NS6detail45device_block_merge_mergepath_partition_kernelINS1_37wrapped_merge_sort_block_merge_configINS0_14default_configEsN2at4cuda3cub6detail10OpaqueTypeILi8EEEEEPsjNS1_19radix_merge_compareILb0ELb1EsNS0_19identity_decomposerEEEEEvT0_T1_jPSH_T2_SH_
; %bb.0:
	s_load_dwordx2 s[2:3], s[4:5], 0x8
	v_lshl_or_b32 v0, s6, 7, v0
	s_waitcnt lgkmcnt(0)
	v_cmp_gt_u32_e32 vcc, s3, v0
	s_and_saveexec_b64 s[0:1], vcc
	s_cbranch_execz .LBB68_6
; %bb.1:
	s_load_dwordx2 s[0:1], s[4:5], 0x18
	s_waitcnt lgkmcnt(0)
	s_lshr_b32 s3, s1, 9
	s_and_b32 s3, s3, 0x7ffffe
	s_add_i32 s6, s3, -1
	s_sub_i32 s3, 0, s3
	v_and_b32_e32 v1, s3, v0
	v_and_b32_e32 v2, s6, v0
	v_lshlrev_b32_e32 v1, 10, v1
	v_lshlrev_b32_e32 v3, 10, v2
	v_min_u32_e32 v2, s2, v1
	v_add_u32_e32 v1, s1, v1
	v_min_u32_e32 v4, s2, v1
	v_add_u32_e32 v1, s1, v4
	v_min_u32_e32 v1, s2, v1
	v_sub_u32_e32 v5, v1, v2
	v_min_u32_e32 v6, v5, v3
	v_sub_u32_e32 v3, v4, v2
	v_sub_u32_e32 v1, v1, v4
	v_sub_u32_e64 v1, v6, v1 clamp
	v_min_u32_e32 v7, v6, v3
	v_cmp_lt_u32_e32 vcc, v1, v7
	s_and_saveexec_b64 s[2:3], vcc
	s_cbranch_execz .LBB68_5
; %bb.2:
	s_load_dwordx2 s[6:7], s[4:5], 0x0
	v_mov_b32_e32 v5, 0
	v_mov_b32_e32 v3, v5
	v_lshlrev_b64 v[8:9], 1, v[2:3]
	v_lshlrev_b64 v[10:11], 1, v[4:5]
	s_waitcnt lgkmcnt(0)
	v_mov_b32_e32 v12, s7
	v_add_co_u32_e32 v3, vcc, s6, v8
	v_addc_co_u32_e32 v8, vcc, v12, v9, vcc
	v_add_co_u32_e32 v9, vcc, s6, v10
	v_addc_co_u32_e32 v10, vcc, v12, v11, vcc
	s_mov_b64 s[6:7], 0
.LBB68_3:                               ; =>This Inner Loop Header: Depth=1
	v_add_u32_e32 v4, v7, v1
	v_and_b32_e32 v12, -2, v4
	v_lshrrev_b32_e32 v11, 1, v4
	v_add_co_u32_e32 v12, vcc, v3, v12
	v_xad_u32 v4, v11, -1, v6
	v_addc_co_u32_e32 v13, vcc, 0, v8, vcc
	global_load_ushort v14, v[12:13], off
	v_lshlrev_b64 v[12:13], 1, v[4:5]
	v_add_co_u32_e32 v12, vcc, v9, v12
	v_addc_co_u32_e32 v13, vcc, v10, v13, vcc
	global_load_ushort v4, v[12:13], off
	v_add_u32_e32 v12, 1, v11
	s_waitcnt vmcnt(1)
	v_and_b32_e32 v13, s0, v14
	s_waitcnt vmcnt(0)
	v_and_b32_e32 v4, s0, v4
	v_cmp_gt_i16_e32 vcc, v13, v4
	v_cndmask_b32_e32 v7, v7, v11, vcc
	v_cndmask_b32_e32 v1, v12, v1, vcc
	v_cmp_ge_u32_e32 vcc, v1, v7
	s_or_b64 s[6:7], vcc, s[6:7]
	s_andn2_b64 exec, exec, s[6:7]
	s_cbranch_execnz .LBB68_3
; %bb.4:
	s_or_b64 exec, exec, s[6:7]
.LBB68_5:
	s_or_b64 exec, exec, s[2:3]
	s_load_dwordx2 s[0:1], s[4:5], 0x10
	v_add_u32_e32 v2, v1, v2
	v_mov_b32_e32 v1, 0
	v_lshlrev_b64 v[0:1], 2, v[0:1]
	s_waitcnt lgkmcnt(0)
	v_mov_b32_e32 v3, s1
	v_add_co_u32_e32 v0, vcc, s0, v0
	v_addc_co_u32_e32 v1, vcc, v3, v1, vcc
	global_store_dword v[0:1], v2, off
.LBB68_6:
	s_endpgm
	.section	.rodata,"a",@progbits
	.p2align	6, 0x0
	.amdhsa_kernel _ZN7rocprim17ROCPRIM_304000_NS6detail45device_block_merge_mergepath_partition_kernelINS1_37wrapped_merge_sort_block_merge_configINS0_14default_configEsN2at4cuda3cub6detail10OpaqueTypeILi8EEEEEPsjNS1_19radix_merge_compareILb0ELb1EsNS0_19identity_decomposerEEEEEvT0_T1_jPSH_T2_SH_
		.amdhsa_group_segment_fixed_size 0
		.amdhsa_private_segment_fixed_size 0
		.amdhsa_kernarg_size 32
		.amdhsa_user_sgpr_count 6
		.amdhsa_user_sgpr_private_segment_buffer 1
		.amdhsa_user_sgpr_dispatch_ptr 0
		.amdhsa_user_sgpr_queue_ptr 0
		.amdhsa_user_sgpr_kernarg_segment_ptr 1
		.amdhsa_user_sgpr_dispatch_id 0
		.amdhsa_user_sgpr_flat_scratch_init 0
		.amdhsa_user_sgpr_kernarg_preload_length 0
		.amdhsa_user_sgpr_kernarg_preload_offset 0
		.amdhsa_user_sgpr_private_segment_size 0
		.amdhsa_uses_dynamic_stack 0
		.amdhsa_system_sgpr_private_segment_wavefront_offset 0
		.amdhsa_system_sgpr_workgroup_id_x 1
		.amdhsa_system_sgpr_workgroup_id_y 0
		.amdhsa_system_sgpr_workgroup_id_z 0
		.amdhsa_system_sgpr_workgroup_info 0
		.amdhsa_system_vgpr_workitem_id 0
		.amdhsa_next_free_vgpr 15
		.amdhsa_next_free_sgpr 8
		.amdhsa_accum_offset 16
		.amdhsa_reserve_vcc 1
		.amdhsa_reserve_flat_scratch 0
		.amdhsa_float_round_mode_32 0
		.amdhsa_float_round_mode_16_64 0
		.amdhsa_float_denorm_mode_32 3
		.amdhsa_float_denorm_mode_16_64 3
		.amdhsa_dx10_clamp 1
		.amdhsa_ieee_mode 1
		.amdhsa_fp16_overflow 0
		.amdhsa_tg_split 0
		.amdhsa_exception_fp_ieee_invalid_op 0
		.amdhsa_exception_fp_denorm_src 0
		.amdhsa_exception_fp_ieee_div_zero 0
		.amdhsa_exception_fp_ieee_overflow 0
		.amdhsa_exception_fp_ieee_underflow 0
		.amdhsa_exception_fp_ieee_inexact 0
		.amdhsa_exception_int_div_zero 0
	.end_amdhsa_kernel
	.section	.text._ZN7rocprim17ROCPRIM_304000_NS6detail45device_block_merge_mergepath_partition_kernelINS1_37wrapped_merge_sort_block_merge_configINS0_14default_configEsN2at4cuda3cub6detail10OpaqueTypeILi8EEEEEPsjNS1_19radix_merge_compareILb0ELb1EsNS0_19identity_decomposerEEEEEvT0_T1_jPSH_T2_SH_,"axG",@progbits,_ZN7rocprim17ROCPRIM_304000_NS6detail45device_block_merge_mergepath_partition_kernelINS1_37wrapped_merge_sort_block_merge_configINS0_14default_configEsN2at4cuda3cub6detail10OpaqueTypeILi8EEEEEPsjNS1_19radix_merge_compareILb0ELb1EsNS0_19identity_decomposerEEEEEvT0_T1_jPSH_T2_SH_,comdat
.Lfunc_end68:
	.size	_ZN7rocprim17ROCPRIM_304000_NS6detail45device_block_merge_mergepath_partition_kernelINS1_37wrapped_merge_sort_block_merge_configINS0_14default_configEsN2at4cuda3cub6detail10OpaqueTypeILi8EEEEEPsjNS1_19radix_merge_compareILb0ELb1EsNS0_19identity_decomposerEEEEEvT0_T1_jPSH_T2_SH_, .Lfunc_end68-_ZN7rocprim17ROCPRIM_304000_NS6detail45device_block_merge_mergepath_partition_kernelINS1_37wrapped_merge_sort_block_merge_configINS0_14default_configEsN2at4cuda3cub6detail10OpaqueTypeILi8EEEEEPsjNS1_19radix_merge_compareILb0ELb1EsNS0_19identity_decomposerEEEEEvT0_T1_jPSH_T2_SH_
                                        ; -- End function
	.section	.AMDGPU.csdata,"",@progbits
; Kernel info:
; codeLenInByte = 368
; NumSgprs: 12
; NumVgprs: 15
; NumAgprs: 0
; TotalNumVgprs: 15
; ScratchSize: 0
; MemoryBound: 0
; FloatMode: 240
; IeeeMode: 1
; LDSByteSize: 0 bytes/workgroup (compile time only)
; SGPRBlocks: 1
; VGPRBlocks: 1
; NumSGPRsForWavesPerEU: 12
; NumVGPRsForWavesPerEU: 15
; AccumOffset: 16
; Occupancy: 8
; WaveLimiterHint : 0
; COMPUTE_PGM_RSRC2:SCRATCH_EN: 0
; COMPUTE_PGM_RSRC2:USER_SGPR: 6
; COMPUTE_PGM_RSRC2:TRAP_HANDLER: 0
; COMPUTE_PGM_RSRC2:TGID_X_EN: 1
; COMPUTE_PGM_RSRC2:TGID_Y_EN: 0
; COMPUTE_PGM_RSRC2:TGID_Z_EN: 0
; COMPUTE_PGM_RSRC2:TIDIG_COMP_CNT: 0
; COMPUTE_PGM_RSRC3_GFX90A:ACCUM_OFFSET: 3
; COMPUTE_PGM_RSRC3_GFX90A:TG_SPLIT: 0
	.section	.text._ZN7rocprim17ROCPRIM_304000_NS6detail35device_block_merge_mergepath_kernelINS1_37wrapped_merge_sort_block_merge_configINS0_14default_configEsN2at4cuda3cub6detail10OpaqueTypeILi8EEEEEPsSC_PSA_SD_jNS1_19radix_merge_compareILb0ELb1EsNS0_19identity_decomposerEEEEEvT0_T1_T2_T3_T4_SL_jT5_PKSL_NS1_7vsmem_tE,"axG",@progbits,_ZN7rocprim17ROCPRIM_304000_NS6detail35device_block_merge_mergepath_kernelINS1_37wrapped_merge_sort_block_merge_configINS0_14default_configEsN2at4cuda3cub6detail10OpaqueTypeILi8EEEEEPsSC_PSA_SD_jNS1_19radix_merge_compareILb0ELb1EsNS0_19identity_decomposerEEEEEvT0_T1_T2_T3_T4_SL_jT5_PKSL_NS1_7vsmem_tE,comdat
	.protected	_ZN7rocprim17ROCPRIM_304000_NS6detail35device_block_merge_mergepath_kernelINS1_37wrapped_merge_sort_block_merge_configINS0_14default_configEsN2at4cuda3cub6detail10OpaqueTypeILi8EEEEEPsSC_PSA_SD_jNS1_19radix_merge_compareILb0ELb1EsNS0_19identity_decomposerEEEEEvT0_T1_T2_T3_T4_SL_jT5_PKSL_NS1_7vsmem_tE ; -- Begin function _ZN7rocprim17ROCPRIM_304000_NS6detail35device_block_merge_mergepath_kernelINS1_37wrapped_merge_sort_block_merge_configINS0_14default_configEsN2at4cuda3cub6detail10OpaqueTypeILi8EEEEEPsSC_PSA_SD_jNS1_19radix_merge_compareILb0ELb1EsNS0_19identity_decomposerEEEEEvT0_T1_T2_T3_T4_SL_jT5_PKSL_NS1_7vsmem_tE
	.globl	_ZN7rocprim17ROCPRIM_304000_NS6detail35device_block_merge_mergepath_kernelINS1_37wrapped_merge_sort_block_merge_configINS0_14default_configEsN2at4cuda3cub6detail10OpaqueTypeILi8EEEEEPsSC_PSA_SD_jNS1_19radix_merge_compareILb0ELb1EsNS0_19identity_decomposerEEEEEvT0_T1_T2_T3_T4_SL_jT5_PKSL_NS1_7vsmem_tE
	.p2align	8
	.type	_ZN7rocprim17ROCPRIM_304000_NS6detail35device_block_merge_mergepath_kernelINS1_37wrapped_merge_sort_block_merge_configINS0_14default_configEsN2at4cuda3cub6detail10OpaqueTypeILi8EEEEEPsSC_PSA_SD_jNS1_19radix_merge_compareILb0ELb1EsNS0_19identity_decomposerEEEEEvT0_T1_T2_T3_T4_SL_jT5_PKSL_NS1_7vsmem_tE,@function
_ZN7rocprim17ROCPRIM_304000_NS6detail35device_block_merge_mergepath_kernelINS1_37wrapped_merge_sort_block_merge_configINS0_14default_configEsN2at4cuda3cub6detail10OpaqueTypeILi8EEEEEPsSC_PSA_SD_jNS1_19radix_merge_compareILb0ELb1EsNS0_19identity_decomposerEEEEEvT0_T1_T2_T3_T4_SL_jT5_PKSL_NS1_7vsmem_tE: ; @_ZN7rocprim17ROCPRIM_304000_NS6detail35device_block_merge_mergepath_kernelINS1_37wrapped_merge_sort_block_merge_configINS0_14default_configEsN2at4cuda3cub6detail10OpaqueTypeILi8EEEEEPsSC_PSA_SD_jNS1_19radix_merge_compareILb0ELb1EsNS0_19identity_decomposerEEEEEvT0_T1_T2_T3_T4_SL_jT5_PKSL_NS1_7vsmem_tE
; %bb.0:
	s_load_dwordx2 s[26:27], s[4:5], 0x40
	s_load_dwordx4 s[16:19], s[4:5], 0x20
	s_add_u32 s2, s4, 64
	s_addc_u32 s3, s5, 0
	s_waitcnt lgkmcnt(0)
	s_mul_i32 s0, s27, s8
	s_add_i32 s0, s0, s7
	s_mul_i32 s0, s0, s26
	s_add_i32 s0, s0, s6
	s_cmp_ge_u32 s0, s18
	s_cbranch_scc1 .LBB69_69
; %bb.1:
	s_load_dwordx8 s[8:15], s[4:5], 0x0
	s_load_dwordx2 s[22:23], s[4:5], 0x30
	s_lshr_b32 s30, s16, 10
	s_cmp_lg_u32 s0, s30
	s_mov_b32 s1, 0
	s_cselect_b64 s[20:21], -1, 0
	s_lshl_b64 s[4:5], s[0:1], 2
	s_waitcnt lgkmcnt(0)
	s_add_u32 s4, s22, s4
	s_addc_u32 s5, s23, s5
	s_load_dwordx2 s[22:23], s[4:5], 0x0
	s_lshr_b32 s4, s17, 9
	s_and_b32 s4, s4, 0x7ffffe
	s_sub_i32 s4, 0, s4
	s_and_b32 s5, s0, s4
	s_lshl_b32 s7, s5, 10
	s_lshl_b32 s18, s0, 10
	;; [unrolled: 1-line block ×3, first 2 shown]
	s_sub_i32 s24, s18, s7
	s_add_i32 s5, s5, s17
	s_add_i32 s25, s5, s24
	s_waitcnt lgkmcnt(0)
	s_sub_i32 s24, s25, s22
	s_sub_i32 s25, s25, s23
	;; [unrolled: 1-line block ×3, first 2 shown]
	s_min_u32 s24, s16, s24
	s_addk_i32 s25, 0x400
	s_or_b32 s4, s0, s4
	s_min_u32 s7, s16, s5
	s_add_i32 s5, s5, s17
	s_cmp_eq_u32 s4, -1
	s_cselect_b32 s4, s5, s25
	s_cselect_b32 s5, s7, s23
	s_min_u32 s4, s4, s16
	s_mov_b32 s23, s1
	s_sub_i32 s27, s5, s22
	s_sub_i32 s28, s4, s24
	s_lshl_b64 s[4:5], s[22:23], 1
	s_add_u32 s7, s8, s4
	s_mov_b32 s25, s1
	s_addc_u32 s29, s9, s5
	s_lshl_b64 s[4:5], s[24:25], 1
	s_add_u32 s4, s8, s4
	s_addc_u32 s5, s9, s5
	s_cmp_lt_u32 s6, s26
	v_mov_b32_e32 v3, 0
	s_cselect_b32 s1, 12, 18
	global_load_dword v1, v3, s[2:3] offset:14
	s_add_u32 s2, s2, s1
	s_addc_u32 s3, s3, 0
	global_load_ushort v2, v3, s[2:3]
	v_cmp_gt_u32_e32 vcc, s27, v0
	s_cmp_eq_u32 s0, s30
	s_waitcnt vmcnt(1)
	v_lshrrev_b32_e32 v4, 16, v1
	v_and_b32_e32 v1, 0xffff, v1
	v_mul_lo_u32 v1, v1, v4
	s_waitcnt vmcnt(0)
	v_mul_lo_u32 v8, v1, v2
	v_add_u32_e32 v6, v8, v0
	v_lshlrev_b32_e32 v1, 1, v0
	v_add_u32_e32 v4, v6, v8
	s_cbranch_scc1 .LBB69_3
; %bb.2:
	v_mov_b32_e32 v2, s29
	v_add_co_u32_e64 v5, s[0:1], s7, v1
	v_addc_co_u32_e64 v7, s[0:1], 0, v2, s[0:1]
	v_subrev_u32_e32 v2, s27, v0
	v_lshlrev_b64 v[10:11], 1, v[2:3]
	v_mov_b32_e32 v2, s5
	v_add_co_u32_e64 v9, s[0:1], s4, v10
	v_addc_co_u32_e64 v2, s[0:1], v2, v11, s[0:1]
	v_cndmask_b32_e32 v11, v2, v7, vcc
	v_cndmask_b32_e32 v10, v9, v5, vcc
	v_mov_b32_e32 v7, v3
	global_load_ushort v9, v[10:11], off
	v_lshlrev_b64 v[10:11], 1, v[6:7]
	v_mov_b32_e32 v2, s29
	v_add_co_u32_e32 v5, vcc, s7, v10
	v_addc_co_u32_e32 v7, vcc, v2, v11, vcc
	v_subrev_u32_e32 v2, s27, v6
	v_lshlrev_b64 v[10:11], 1, v[2:3]
	v_mov_b32_e32 v2, s5
	v_add_co_u32_e32 v10, vcc, s4, v10
	v_addc_co_u32_e32 v2, vcc, v2, v11, vcc
	v_cmp_gt_u32_e32 vcc, s27, v6
	v_cndmask_b32_e32 v11, v2, v7, vcc
	v_cndmask_b32_e32 v10, v10, v5, vcc
	v_mov_b32_e32 v5, v3
	global_load_ushort v7, v[10:11], off
	v_lshlrev_b64 v[10:11], 1, v[4:5]
	v_mov_b32_e32 v2, s29
	v_add_co_u32_e32 v5, vcc, s7, v10
	v_addc_co_u32_e32 v12, vcc, v2, v11, vcc
	v_subrev_u32_e32 v2, s27, v4
	v_lshlrev_b64 v[10:11], 1, v[2:3]
	v_mov_b32_e32 v2, s5
	v_add_co_u32_e32 v10, vcc, s4, v10
	v_addc_co_u32_e32 v2, vcc, v2, v11, vcc
	v_cmp_gt_u32_e32 vcc, s27, v4
	v_cndmask_b32_e32 v11, v2, v12, vcc
	v_cndmask_b32_e32 v10, v10, v5, vcc
	v_add_u32_e32 v2, v4, v8
	global_load_ushort v5, v[10:11], off
	v_lshlrev_b64 v[10:11], 1, v[2:3]
	v_mov_b32_e32 v12, s29
	v_add_co_u32_e32 v10, vcc, s7, v10
	v_addc_co_u32_e32 v11, vcc, v12, v11, vcc
	v_cmp_gt_u32_e32 vcc, s27, v2
	v_subrev_u32_e32 v2, s27, v2
	v_lshlrev_b64 v[2:3], 1, v[2:3]
	v_mov_b32_e32 v12, s5
	v_add_co_u32_e64 v2, s[0:1], s4, v2
	v_addc_co_u32_e64 v3, s[0:1], v12, v3, s[0:1]
	v_cndmask_b32_e32 v3, v3, v11, vcc
	v_cndmask_b32_e32 v2, v2, v10, vcc
	global_load_ushort v3, v[2:3], off
	s_mov_b32 s0, 0x5040100
	s_add_i32 s17, s28, s27
	s_waitcnt vmcnt(2)
	v_perm_b32 v2, v7, v9, s0
	s_waitcnt vmcnt(0)
	v_perm_b32 v3, v3, v5, s0
	s_cbranch_execz .LBB69_4
	s_branch .LBB69_11
.LBB69_3:
                                        ; implicit-def: $vgpr2_vgpr3
                                        ; implicit-def: $sgpr17
.LBB69_4:
	s_add_i32 s17, s28, s27
	v_cmp_gt_u32_e32 vcc, s17, v0
                                        ; implicit-def: $vgpr2_vgpr3
	s_and_saveexec_b64 s[0:1], vcc
	s_cbranch_execnz .LBB69_70
; %bb.5:
	s_or_b64 exec, exec, s[0:1]
	v_cmp_gt_u32_e32 vcc, s17, v6
	s_and_saveexec_b64 s[2:3], vcc
	s_cbranch_execnz .LBB69_71
.LBB69_6:
	s_or_b64 exec, exec, s[2:3]
	v_cmp_gt_u32_e32 vcc, s17, v4
	s_and_saveexec_b64 s[0:1], vcc
	s_cbranch_execz .LBB69_8
.LBB69_7:
	v_mov_b32_e32 v5, 0
	v_lshlrev_b64 v[6:7], 1, v[4:5]
	v_mov_b32_e32 v9, s29
	v_add_co_u32_e32 v10, vcc, s7, v6
	v_addc_co_u32_e32 v9, vcc, v9, v7, vcc
	v_subrev_u32_e32 v6, s27, v4
	v_mov_b32_e32 v7, v5
	v_lshlrev_b64 v[6:7], 1, v[6:7]
	v_mov_b32_e32 v5, s5
	v_add_co_u32_e32 v6, vcc, s4, v6
	v_addc_co_u32_e32 v5, vcc, v5, v7, vcc
	v_cmp_gt_u32_e32 vcc, s27, v4
	v_cndmask_b32_e32 v7, v5, v9, vcc
	v_cndmask_b32_e32 v6, v6, v10, vcc
	global_load_ushort v5, v[6:7], off
	s_mov_b32 s2, 0xffff
	s_waitcnt vmcnt(0)
	v_bfi_b32 v3, s2, v5, v3
.LBB69_8:
	s_or_b64 exec, exec, s[0:1]
	v_add_u32_e32 v4, v4, v8
	v_cmp_gt_u32_e32 vcc, s17, v4
	s_and_saveexec_b64 s[2:3], vcc
	s_cbranch_execz .LBB69_10
; %bb.9:
	v_mov_b32_e32 v5, 0
	v_lshlrev_b64 v[6:7], 1, v[4:5]
	v_mov_b32_e32 v8, s29
	v_add_co_u32_e32 v6, vcc, s7, v6
	v_addc_co_u32_e32 v7, vcc, v8, v7, vcc
	v_cmp_gt_u32_e32 vcc, s27, v4
	v_subrev_u32_e32 v4, s27, v4
	v_lshlrev_b64 v[4:5], 1, v[4:5]
	v_mov_b32_e32 v8, s5
	v_add_co_u32_e64 v4, s[0:1], s4, v4
	v_addc_co_u32_e64 v5, s[0:1], v8, v5, s[0:1]
	v_cndmask_b32_e32 v5, v5, v7, vcc
	v_cndmask_b32_e32 v4, v4, v6, vcc
	global_load_ushort v4, v[4:5], off
	s_mov_b32 s0, 0x5040100
	s_waitcnt vmcnt(0)
	v_perm_b32 v3, v4, v3, s0
.LBB69_10:
	s_or_b64 exec, exec, s[2:3]
.LBB69_11:
	v_lshlrev_b32_e32 v8, 2, v0
	v_min_u32_e32 v5, s17, v8
	v_sub_u32_e64 v4, v5, s28 clamp
	v_min_u32_e32 v6, s27, v5
	v_cmp_lt_u32_e32 vcc, v4, v6
	s_waitcnt vmcnt(0)
	ds_write_b16 v1, v2
	ds_write_b16_d16_hi v1, v2 offset:512
	ds_write_b16 v1, v3 offset:1024
	ds_write_b16_d16_hi v1, v3 offset:1536
	s_waitcnt lgkmcnt(0)
	s_barrier
	s_and_saveexec_b64 s[0:1], vcc
	s_cbranch_execz .LBB69_15
; %bb.12:
	v_lshlrev_b32_e32 v7, 1, v5
	v_lshl_add_u32 v7, s27, 1, v7
	s_mov_b64 s[2:3], 0
.LBB69_13:                              ; =>This Inner Loop Header: Depth=1
	v_add_u32_e32 v9, v6, v4
	v_lshrrev_b32_e32 v10, 1, v9
	v_not_b32_e32 v11, v10
	v_and_b32_e32 v9, -2, v9
	v_lshl_add_u32 v11, v11, 1, v7
	ds_read_u16 v9, v9
	ds_read_u16 v11, v11
	v_add_u32_e32 v12, 1, v10
	s_waitcnt lgkmcnt(1)
	v_and_b32_e32 v9, s19, v9
	s_waitcnt lgkmcnt(0)
	v_and_b32_e32 v11, s19, v11
	v_cmp_gt_i16_e32 vcc, v9, v11
	v_cndmask_b32_e32 v6, v6, v10, vcc
	v_cndmask_b32_e32 v4, v12, v4, vcc
	v_cmp_ge_u32_e32 vcc, v4, v6
	s_or_b64 s[2:3], vcc, s[2:3]
	s_andn2_b64 exec, exec, s[2:3]
	s_cbranch_execnz .LBB69_13
; %bb.14:
	s_or_b64 exec, exec, s[2:3]
.LBB69_15:
	s_or_b64 exec, exec, s[0:1]
	v_sub_u32_e32 v5, v5, v4
	v_add_u32_e32 v5, s27, v5
	v_cmp_ge_u32_e32 vcc, s27, v4
	v_cmp_ge_u32_e64 s[0:1], s17, v5
	s_or_b64 s[0:1], vcc, s[0:1]
                                        ; implicit-def: $vgpr9
                                        ; implicit-def: $vgpr10
                                        ; implicit-def: $vgpr11
                                        ; implicit-def: $vgpr12
	s_and_saveexec_b64 s[8:9], s[0:1]
	s_cbranch_execz .LBB69_21
; %bb.16:
	v_cmp_gt_u32_e32 vcc, s27, v4
                                        ; implicit-def: $vgpr2
	s_and_saveexec_b64 s[0:1], vcc
	s_cbranch_execz .LBB69_18
; %bb.17:
	v_lshlrev_b32_e32 v2, 1, v4
	ds_read_u16 v2, v2
.LBB69_18:
	s_or_b64 exec, exec, s[0:1]
	v_cmp_le_u32_e64 s[0:1], s17, v5
	v_cmp_gt_u32_e64 s[2:3], s17, v5
                                        ; implicit-def: $vgpr3
	s_and_saveexec_b64 s[4:5], s[2:3]
	s_cbranch_execz .LBB69_20
; %bb.19:
	v_lshlrev_b32_e32 v3, 1, v5
	ds_read_u16 v3, v3
.LBB69_20:
	s_or_b64 exec, exec, s[4:5]
	s_waitcnt lgkmcnt(0)
	v_and_b32_e32 v6, s19, v3
	v_and_b32_e32 v7, s19, v2
	v_cmp_le_i16_e64 s[2:3], v7, v6
	s_and_b64 s[2:3], vcc, s[2:3]
	s_or_b64 vcc, s[0:1], s[2:3]
	v_mov_b32_e32 v6, s17
	v_mov_b32_e32 v7, s27
	v_cndmask_b32_e32 v12, v5, v4, vcc
	v_cndmask_b32_e32 v9, v6, v7, vcc
	v_add_u32_e32 v10, 1, v12
	v_add_u32_e32 v9, -1, v9
	v_min_u32_e32 v9, v10, v9
	v_lshlrev_b32_e32 v9, 1, v9
	ds_read_u16 v9, v9
	v_cndmask_b32_e32 v5, v10, v5, vcc
	v_cndmask_b32_e32 v4, v4, v10, vcc
	v_cmp_gt_u32_e64 s[2:3], s27, v4
	v_cmp_le_u32_e64 s[0:1], s17, v5
	s_waitcnt lgkmcnt(0)
	v_cndmask_b32_e32 v13, v9, v3, vcc
	v_cndmask_b32_e32 v9, v2, v9, vcc
	v_and_b32_e32 v10, s19, v13
	v_and_b32_e32 v11, s19, v9
	v_cmp_le_i16_e64 s[4:5], v11, v10
	s_and_b64 s[2:3], s[2:3], s[4:5]
	s_or_b64 s[0:1], s[0:1], s[2:3]
	v_cndmask_b32_e64 v11, v5, v4, s[0:1]
	v_cndmask_b32_e64 v10, v6, v7, s[0:1]
	v_add_u32_e32 v14, 1, v11
	v_add_u32_e32 v10, -1, v10
	v_min_u32_e32 v10, v14, v10
	v_lshlrev_b32_e32 v10, 1, v10
	ds_read_u16 v10, v10
	v_cndmask_b32_e64 v5, v14, v5, s[0:1]
	v_cndmask_b32_e64 v4, v4, v14, s[0:1]
	v_cmp_gt_u32_e64 s[4:5], s27, v4
	v_cmp_le_u32_e64 s[2:3], s17, v5
	s_waitcnt lgkmcnt(0)
	v_cndmask_b32_e64 v15, v10, v13, s[0:1]
	v_cndmask_b32_e64 v16, v9, v10, s[0:1]
	v_and_b32_e32 v10, s19, v15
	v_and_b32_e32 v14, s19, v16
	v_cmp_le_i16_e64 s[6:7], v14, v10
	s_and_b64 s[4:5], s[4:5], s[6:7]
	s_or_b64 s[2:3], s[2:3], s[4:5]
	v_cndmask_b32_e64 v10, v5, v4, s[2:3]
	v_cndmask_b32_e64 v6, v6, v7, s[2:3]
	v_add_u32_e32 v7, 1, v10
	v_add_u32_e32 v6, -1, v6
	v_min_u32_e32 v6, v7, v6
	v_lshlrev_b32_e32 v6, 1, v6
	ds_read_u16 v6, v6
	v_cndmask_b32_e64 v13, v13, v9, s[0:1]
	v_cndmask_b32_e64 v5, v7, v5, s[2:3]
	;; [unrolled: 1-line block ×3, first 2 shown]
	v_cndmask_b32_e32 v2, v3, v2, vcc
	s_waitcnt lgkmcnt(0)
	v_cndmask_b32_e64 v14, v6, v15, s[2:3]
	v_cndmask_b32_e64 v6, v16, v6, s[2:3]
	v_and_b32_e32 v7, s19, v14
	v_and_b32_e32 v9, s19, v6
	v_cndmask_b32_e64 v3, v15, v16, s[2:3]
	v_cmp_gt_u32_e64 s[0:1], s27, v4
	v_cmp_le_i16_e64 s[2:3], v9, v7
	v_cmp_le_u32_e32 vcc, s17, v5
	s_and_b64 s[0:1], s[0:1], s[2:3]
	s_or_b64 vcc, vcc, s[0:1]
	v_cndmask_b32_e32 v9, v5, v4, vcc
	v_cndmask_b32_e32 v4, v14, v6, vcc
	s_mov_b32 s0, 0x5040100
	v_perm_b32 v3, v4, v3, s0
	v_perm_b32 v2, v13, v2, s0
.LBB69_21:
	s_or_b64 exec, exec, s[8:9]
	s_lshl_b64 s[0:1], s[22:23], 3
	s_add_u32 s19, s12, s0
	s_addc_u32 s26, s13, s1
	s_lshl_b64 s[0:1], s[24:25], 3
	s_add_u32 s29, s12, s0
	v_cndmask_b32_e64 v4, 0, 1, s[20:21]
	s_addc_u32 s30, s13, s1
	v_cmp_gt_u32_e64 s[4:5], s27, v0
	v_cmp_ne_u32_e64 s[0:1], 1, v4
	s_andn2_b64 vcc, exec, s[20:21]
	v_cmp_le_u32_e64 s[2:3], s27, v0
	s_barrier
	s_cbranch_vccnz .LBB69_23
; %bb.22:
	v_subrev_u32_e32 v4, s27, v0
	v_mov_b32_e32 v5, 0
	v_lshlrev_b64 v[6:7], 3, v[4:5]
	v_mov_b32_e32 v4, s30
	v_add_co_u32_e32 v6, vcc, s29, v6
	v_addc_co_u32_e32 v4, vcc, v4, v7, vcc
	v_lshlrev_b32_e32 v18, 3, v0
	v_mov_b32_e32 v7, s26
	v_add_co_u32_e32 v19, vcc, s19, v18
	v_addc_co_u32_e32 v20, vcc, 0, v7, vcc
	v_cndmask_b32_e64 v7, v4, v20, s[4:5]
	v_cndmask_b32_e64 v6, v6, v19, s[4:5]
	v_or_b32_e32 v13, 0x100, v0
	s_movk_i32 s4, 0x800
	v_add_co_u32_e32 v16, vcc, s4, v19
	v_subrev_u32_e32 v4, s27, v13
	v_addc_co_u32_e32 v17, vcc, 0, v20, vcc
	v_lshlrev_b64 v[14:15], 3, v[4:5]
	v_mov_b32_e32 v4, s30
	v_add_co_u32_e32 v14, vcc, s29, v14
	v_addc_co_u32_e32 v4, vcc, v4, v15, vcc
	v_cmp_gt_u32_e32 vcc, s27, v13
	v_or_b32_e32 v13, 0x200, v0
	s_movk_i32 s4, 0x1000
	v_cndmask_b32_e32 v15, v4, v17, vcc
	v_cndmask_b32_e32 v14, v14, v16, vcc
	v_add_co_u32_e32 v21, vcc, s4, v19
	v_subrev_u32_e32 v4, s27, v13
	v_addc_co_u32_e32 v22, vcc, 0, v20, vcc
	v_lshlrev_b64 v[16:17], 3, v[4:5]
	v_mov_b32_e32 v4, s30
	v_add_co_u32_e32 v16, vcc, s29, v16
	v_addc_co_u32_e32 v4, vcc, v4, v17, vcc
	v_cmp_gt_u32_e32 vcc, s27, v13
	global_load_dwordx2 v[6:7], v[6:7], off
	v_cndmask_b32_e32 v17, v4, v22, vcc
	global_load_dwordx2 v[14:15], v[14:15], off
	v_cndmask_b32_e32 v16, v16, v21, vcc
	global_load_dwordx2 v[16:17], v[16:17], off
	v_or_b32_e32 v21, 0x300, v0
	s_movk_i32 s4, 0x1800
	v_add_co_u32_e32 v19, vcc, s4, v19
	v_subrev_u32_e32 v4, s27, v21
	v_addc_co_u32_e32 v20, vcc, 0, v20, vcc
	v_lshlrev_b64 v[4:5], 3, v[4:5]
	v_mov_b32_e32 v22, s30
	v_add_co_u32_e32 v4, vcc, s29, v4
	v_addc_co_u32_e32 v5, vcc, v22, v5, vcc
	v_cmp_gt_u32_e32 vcc, s27, v21
	v_or_b32_e32 v13, 0x1800, v18
	v_cndmask_b32_e32 v5, v5, v20, vcc
	v_cndmask_b32_e32 v4, v4, v19, vcc
	s_mov_b64 s[4:5], -1
	s_waitcnt vmcnt(1)
	ds_write2st64_b64 v18, v[6:7], v[14:15] offset1:4
	s_waitcnt vmcnt(0)
	ds_write_b64 v18, v[16:17] offset:4096
	s_cbranch_execz .LBB69_24
	s_branch .LBB69_43
.LBB69_23:
	s_mov_b64 s[4:5], 0
                                        ; implicit-def: $vgpr13
                                        ; implicit-def: $vgpr4_vgpr5
.LBB69_24:
	s_mov_b64 s[6:7], 0
                                        ; implicit-def: $vgpr4_vgpr5
	s_and_saveexec_b64 s[8:9], s[2:3]
	s_xor_b64 s[2:3], exec, s[8:9]
	s_cbranch_execnz .LBB69_72
; %bb.25:
	s_andn2_saveexec_b64 s[2:3], s[2:3]
	s_cbranch_execnz .LBB69_75
.LBB69_26:
	s_or_b64 exec, exec, s[2:3]
	v_mad_u32_u24 v13, v0, 6, v1
	s_and_saveexec_b64 s[2:3], s[6:7]
	s_cbranch_execz .LBB69_28
.LBB69_27:
	global_load_dwordx2 v[4:5], v[4:5], off
	s_waitcnt vmcnt(0)
	ds_write_b64 v13, v[4:5]
.LBB69_28:
	s_or_b64 exec, exec, s[2:3]
	v_or_b32_e32 v4, 0x100, v0
	v_cmp_le_u32_e32 vcc, s27, v4
	s_mov_b64 s[6:7], -1
	v_pk_mov_b32 v[6:7], s[22:23], s[22:23] op_sel:[0,1]
	s_and_saveexec_b64 s[2:3], vcc
; %bb.29:
	v_subrev_u32_e32 v4, s27, v4
	v_cmp_gt_u32_e32 vcc, s28, v4
	v_pk_mov_b32 v[6:7], s[24:25], s[24:25] op_sel:[0,1]
	s_orn2_b64 s[6:7], vcc, exec
; %bb.30:
	s_or_b64 exec, exec, s[2:3]
	s_and_saveexec_b64 s[2:3], s[6:7]
	s_cbranch_execz .LBB69_32
; %bb.31:
	v_lshlrev_b64 v[6:7], 3, v[6:7]
	v_mov_b32_e32 v5, s13
	v_add_co_u32_e32 v6, vcc, s12, v6
	v_addc_co_u32_e32 v7, vcc, v5, v7, vcc
	v_mov_b32_e32 v5, 0
	v_lshlrev_b64 v[4:5], 3, v[4:5]
	v_add_co_u32_e32 v4, vcc, v6, v4
	v_addc_co_u32_e32 v5, vcc, v7, v5, vcc
	global_load_dwordx2 v[4:5], v[4:5], off
	s_waitcnt vmcnt(0)
	ds_write_b64 v13, v[4:5] offset:2048
.LBB69_32:
	s_or_b64 exec, exec, s[2:3]
	v_or_b32_e32 v4, 0x200, v0
	v_cmp_le_u32_e32 vcc, s27, v4
	s_mov_b64 s[6:7], -1
	v_pk_mov_b32 v[6:7], s[22:23], s[22:23] op_sel:[0,1]
	s_and_saveexec_b64 s[2:3], vcc
; %bb.33:
	v_subrev_u32_e32 v4, s27, v4
	v_cmp_gt_u32_e32 vcc, s28, v4
	v_pk_mov_b32 v[6:7], s[24:25], s[24:25] op_sel:[0,1]
	s_orn2_b64 s[6:7], vcc, exec
; %bb.34:
	s_or_b64 exec, exec, s[2:3]
	s_and_saveexec_b64 s[2:3], s[6:7]
	s_cbranch_execz .LBB69_36
; %bb.35:
	v_lshlrev_b64 v[6:7], 3, v[6:7]
	v_mov_b32_e32 v5, s13
	v_add_co_u32_e32 v6, vcc, s12, v6
	v_addc_co_u32_e32 v7, vcc, v5, v7, vcc
	v_mov_b32_e32 v5, 0
	v_lshlrev_b64 v[4:5], 3, v[4:5]
	v_add_co_u32_e32 v4, vcc, v6, v4
	v_addc_co_u32_e32 v5, vcc, v7, v5, vcc
	global_load_dwordx2 v[4:5], v[4:5], off
	s_waitcnt vmcnt(0)
	ds_write_b64 v13, v[4:5] offset:4096
.LBB69_36:
	s_or_b64 exec, exec, s[2:3]
	v_or_b32_e32 v6, 0x300, v0
	v_cmp_le_u32_e32 vcc, s27, v6
                                        ; implicit-def: $vgpr13
                                        ; implicit-def: $vgpr4_vgpr5
	s_and_saveexec_b64 s[2:3], vcc
	s_xor_b64 s[2:3], exec, s[2:3]
	s_cbranch_execz .LBB69_40
; %bb.37:
	v_subrev_u32_e32 v6, s27, v6
	v_cmp_gt_u32_e32 vcc, s28, v6
	s_mov_b64 s[8:9], s[4:5]
                                        ; implicit-def: $vgpr13
                                        ; implicit-def: $vgpr4_vgpr5
	s_and_saveexec_b64 s[6:7], vcc
; %bb.38:
	v_mul_u32_u24_e32 v4, 6, v0
	s_movk_i32 s8, 0x1800
	v_mov_b32_e32 v7, 0
	v_add3_u32 v13, v1, v4, s8
	v_lshlrev_b64 v[4:5], 3, v[6:7]
	v_mov_b32_e32 v6, s30
	v_add_co_u32_e32 v4, vcc, s29, v4
	v_addc_co_u32_e32 v5, vcc, v6, v5, vcc
	s_or_b64 s[8:9], s[4:5], exec
; %bb.39:
	s_or_b64 exec, exec, s[6:7]
	s_andn2_b64 s[4:5], s[4:5], exec
	s_and_b64 s[6:7], s[8:9], exec
	s_or_b64 s[4:5], s[4:5], s[6:7]
                                        ; implicit-def: $vgpr6
.LBB69_40:
	s_andn2_saveexec_b64 s[2:3], s[2:3]
; %bb.41:
	v_lshlrev_b32_e32 v4, 3, v6
	v_mov_b32_e32 v5, s26
	v_add_co_u32_e32 v4, vcc, s19, v4
	v_mul_u32_u24_e32 v6, 6, v0
	s_movk_i32 s6, 0x1800
	v_addc_co_u32_e32 v5, vcc, 0, v5, vcc
	v_add3_u32 v13, v1, v6, s6
	s_or_b64 s[4:5], s[4:5], exec
; %bb.42:
	s_or_b64 exec, exec, s[2:3]
.LBB69_43:
	s_and_saveexec_b64 s[2:3], s[4:5]
	s_cbranch_execz .LBB69_45
; %bb.44:
	global_load_dwordx2 v[4:5], v[4:5], off
	s_waitcnt vmcnt(0)
	ds_write_b64 v13, v[4:5]
.LBB69_45:
	s_or_b64 exec, exec, s[2:3]
	s_and_b64 vcc, exec, s[0:1]
	v_add_u32_e32 v4, s18, v8
	s_waitcnt lgkmcnt(0)
	s_barrier
	s_cbranch_vccnz .LBB69_47
; %bb.46:
	v_lshlrev_b32_e32 v13, 3, v12
	v_lshlrev_b32_e32 v16, 3, v11
	;; [unrolled: 1-line block ×3, first 2 shown]
	ds_read_b64 v[14:15], v13
	ds_read_b64 v[16:17], v16
	ds_read_b64 v[18:19], v18
	v_mov_b32_e32 v5, 0
	v_lshlrev_b64 v[6:7], 3, v[4:5]
	v_mov_b32_e32 v20, s15
	v_add_co_u32_e32 v6, vcc, s14, v6
	v_addc_co_u32_e32 v7, vcc, v20, v7, vcc
	s_mov_b64 s[0:1], -1
	s_waitcnt lgkmcnt(1)
	global_store_dwordx4 v[6:7], v[14:17], off
	s_waitcnt lgkmcnt(0)
	global_store_dwordx2 v[6:7], v[18:19], off offset:16
	s_cbranch_execz .LBB69_48
	s_branch .LBB69_57
.LBB69_47:
	s_mov_b64 s[0:1], 0
.LBB69_48:
	v_cmp_gt_u32_e32 vcc, s17, v8
	s_and_saveexec_b64 s[2:3], vcc
	s_cbranch_execz .LBB69_50
; %bb.49:
	v_lshlrev_b32_e32 v12, 3, v12
	ds_read_b64 v[12:13], v12
	v_mov_b32_e32 v5, 0
	v_lshlrev_b64 v[6:7], 3, v[4:5]
	v_mov_b32_e32 v5, s15
	v_add_co_u32_e32 v6, vcc, s14, v6
	v_addc_co_u32_e32 v7, vcc, v5, v7, vcc
	s_waitcnt lgkmcnt(0)
	global_store_dwordx2 v[6:7], v[12:13], off
.LBB69_50:
	s_or_b64 exec, exec, s[2:3]
	v_or_b32_e32 v5, 1, v8
	v_cmp_gt_u32_e32 vcc, s17, v5
	s_and_saveexec_b64 s[2:3], vcc
	s_cbranch_execz .LBB69_52
; %bb.51:
	v_lshlrev_b32_e32 v11, 3, v11
	ds_read_b64 v[12:13], v11
	v_mov_b32_e32 v5, 0
	v_lshlrev_b64 v[6:7], 3, v[4:5]
	v_mov_b32_e32 v5, s15
	v_add_co_u32_e32 v6, vcc, s14, v6
	v_addc_co_u32_e32 v7, vcc, v5, v7, vcc
	s_waitcnt lgkmcnt(0)
	global_store_dwordx2 v[6:7], v[12:13], off offset:8
.LBB69_52:
	s_or_b64 exec, exec, s[2:3]
	v_or_b32_e32 v5, 2, v8
	v_cmp_gt_u32_e32 vcc, s17, v5
	s_and_saveexec_b64 s[2:3], vcc
	s_cbranch_execz .LBB69_54
; %bb.53:
	v_lshlrev_b32_e32 v10, 3, v10
	ds_read_b64 v[10:11], v10
	v_mov_b32_e32 v5, 0
	v_lshlrev_b64 v[6:7], 3, v[4:5]
	v_mov_b32_e32 v5, s15
	v_add_co_u32_e32 v6, vcc, s14, v6
	v_addc_co_u32_e32 v7, vcc, v5, v7, vcc
	s_waitcnt lgkmcnt(0)
	global_store_dwordx2 v[6:7], v[10:11], off offset:16
.LBB69_54:
	s_or_b64 exec, exec, s[2:3]
	v_or_b32_e32 v5, 3, v8
	v_cmp_gt_u32_e32 vcc, s17, v5
	s_and_saveexec_b64 s[2:3], vcc
; %bb.55:
	v_mov_b32_e32 v5, 0
	s_or_b64 s[0:1], s[0:1], exec
; %bb.56:
	s_or_b64 exec, exec, s[2:3]
.LBB69_57:
	s_and_saveexec_b64 s[2:3], s[0:1]
	s_cbranch_execz .LBB69_59
; %bb.58:
	v_lshlrev_b32_e32 v6, 3, v9
	ds_read_b64 v[6:7], v6
	v_lshlrev_b64 v[4:5], 3, v[4:5]
	v_mov_b32_e32 v10, s15
	v_add_co_u32_e32 v4, vcc, s14, v4
	v_addc_co_u32_e32 v5, vcc, v10, v5, vcc
	s_waitcnt lgkmcnt(0)
	global_store_dwordx2 v[4:5], v[6:7], off offset:24
.LBB69_59:
	s_or_b64 exec, exec, s[2:3]
	v_lshrrev_b32_e32 v4, 2, v0
	v_and_b32_e32 v4, 60, v4
	v_lshl_add_u32 v4, v8, 1, v4
	s_barrier
	s_barrier
	ds_write2_b32 v4, v2, v3 offset1:1
	v_lshrrev_b32_e32 v2, 4, v0
	v_and_b32_e32 v2, 12, v2
	v_or_b32_e32 v6, 0x100, v0
	v_add_u32_e32 v7, v1, v2
	v_lshrrev_b32_e32 v2, 4, v6
	v_and_b32_e32 v2, 28, v2
	v_or_b32_e32 v5, 0x200, v0
	s_mov_b32 s19, 0
	v_add_u32_e32 v8, v1, v2
	v_lshrrev_b32_e32 v2, 4, v5
	s_lshl_b64 s[0:1], s[18:19], 1
	v_and_b32_e32 v2, 44, v2
	v_or_b32_e32 v4, 0x300, v0
	s_add_u32 s0, s10, s0
	v_add_u32_e32 v9, v1, v2
	v_lshrrev_b32_e32 v2, 4, v4
	s_addc_u32 s1, s11, s1
	v_and_b32_e32 v2, 60, v2
	v_add_u32_e32 v10, v1, v2
	v_mov_b32_e32 v3, s1
	v_add_co_u32_e32 v2, vcc, s0, v1
	v_addc_co_u32_e32 v3, vcc, 0, v3, vcc
	s_and_b64 vcc, exec, s[20:21]
	s_waitcnt lgkmcnt(0)
	s_cbranch_vccz .LBB69_61
; %bb.60:
	s_barrier
	ds_read_u16 v11, v7
	ds_read_u16 v12, v8 offset:512
	ds_read_u16 v13, v9 offset:1024
	;; [unrolled: 1-line block ×3, first 2 shown]
	s_waitcnt lgkmcnt(3)
	global_store_short v[2:3], v11, off
	s_waitcnt lgkmcnt(2)
	global_store_short v[2:3], v12, off offset:512
	s_waitcnt lgkmcnt(1)
	global_store_short v[2:3], v13, off offset:1024
	s_mov_b64 s[0:1], -1
	s_cbranch_execz .LBB69_62
	s_branch .LBB69_67
.LBB69_61:
	s_mov_b64 s[0:1], 0
                                        ; implicit-def: $vgpr1
.LBB69_62:
	s_barrier
	s_waitcnt lgkmcnt(0)
	ds_read_u16 v11, v8 offset:512
	ds_read_u16 v8, v9 offset:1024
	ds_read_u16 v1, v10 offset:1536
	s_sub_i32 s2, s16, s18
	v_cmp_gt_u32_e32 vcc, s2, v0
	s_and_saveexec_b64 s[0:1], vcc
	s_cbranch_execnz .LBB69_76
; %bb.63:
	s_or_b64 exec, exec, s[0:1]
	v_cmp_gt_u32_e32 vcc, s2, v6
	s_and_saveexec_b64 s[0:1], vcc
	s_cbranch_execnz .LBB69_77
.LBB69_64:
	s_or_b64 exec, exec, s[0:1]
	v_cmp_gt_u32_e32 vcc, s2, v5
	s_and_saveexec_b64 s[0:1], vcc
	s_cbranch_execz .LBB69_66
.LBB69_65:
	s_waitcnt lgkmcnt(1)
	global_store_short v[2:3], v8, off offset:1024
.LBB69_66:
	s_or_b64 exec, exec, s[0:1]
	v_cmp_gt_u32_e64 s[0:1], s2, v4
.LBB69_67:
	s_and_saveexec_b64 s[2:3], s[0:1]
	s_cbranch_execz .LBB69_69
; %bb.68:
	s_waitcnt lgkmcnt(0)
	global_store_short v[2:3], v1, off offset:1536
.LBB69_69:
	s_endpgm
.LBB69_70:
	v_mov_b32_e32 v2, s29
	v_add_co_u32_e32 v5, vcc, s7, v1
	v_mov_b32_e32 v3, 0
	v_addc_co_u32_e32 v7, vcc, 0, v2, vcc
	v_subrev_u32_e32 v2, s27, v0
	v_lshlrev_b64 v[2:3], 1, v[2:3]
	v_mov_b32_e32 v9, s5
	v_add_co_u32_e32 v2, vcc, s4, v2
	v_addc_co_u32_e32 v3, vcc, v9, v3, vcc
	v_cmp_gt_u32_e32 vcc, s27, v0
	v_cndmask_b32_e32 v3, v3, v7, vcc
	v_cndmask_b32_e32 v2, v2, v5, vcc
	global_load_ushort v2, v[2:3], off
	s_or_b64 exec, exec, s[0:1]
	v_cmp_gt_u32_e32 vcc, s17, v6
	s_and_saveexec_b64 s[2:3], vcc
	s_cbranch_execz .LBB69_6
.LBB69_71:
	v_mov_b32_e32 v7, 0
	v_lshlrev_b64 v[10:11], 1, v[6:7]
	v_mov_b32_e32 v5, s29
	v_add_co_u32_e32 v9, vcc, s7, v10
	v_addc_co_u32_e32 v5, vcc, v5, v11, vcc
	v_cmp_gt_u32_e32 vcc, s27, v6
	v_subrev_u32_e32 v6, s27, v6
	v_lshlrev_b64 v[6:7], 1, v[6:7]
	v_mov_b32_e32 v10, s5
	v_add_co_u32_e64 v6, s[0:1], s4, v6
	v_addc_co_u32_e64 v7, s[0:1], v10, v7, s[0:1]
	v_cndmask_b32_e32 v7, v7, v5, vcc
	v_cndmask_b32_e32 v6, v6, v9, vcc
	global_load_ushort v5, v[6:7], off
	s_mov_b32 s0, 0x5040100
	s_waitcnt vmcnt(0)
	v_perm_b32 v2, v5, v2, s0
	s_or_b64 exec, exec, s[2:3]
	v_cmp_gt_u32_e32 vcc, s17, v4
	s_and_saveexec_b64 s[0:1], vcc
	s_cbranch_execnz .LBB69_7
	s_branch .LBB69_8
.LBB69_72:
	v_subrev_u32_e32 v6, s27, v0
	v_cmp_gt_u32_e32 vcc, s28, v6
                                        ; implicit-def: $vgpr4_vgpr5
	s_and_saveexec_b64 s[8:9], vcc
	s_xor_b64 s[8:9], exec, s[8:9]
; %bb.73:
	v_mov_b32_e32 v7, 0
	v_lshlrev_b64 v[4:5], 3, v[6:7]
	v_mov_b32_e32 v6, s30
	v_add_co_u32_e32 v4, vcc, s29, v4
	s_mov_b64 s[6:7], exec
	v_addc_co_u32_e32 v5, vcc, v6, v5, vcc
; %bb.74:
	s_or_b64 exec, exec, s[8:9]
	s_and_b64 s[6:7], s[6:7], exec
	s_andn2_saveexec_b64 s[2:3], s[2:3]
	s_cbranch_execz .LBB69_26
.LBB69_75:
	v_lshlrev_b32_e32 v4, 3, v0
	v_mov_b32_e32 v5, s26
	v_add_co_u32_e32 v4, vcc, s19, v4
	v_addc_co_u32_e32 v5, vcc, 0, v5, vcc
	s_or_b64 s[6:7], s[6:7], exec
	s_or_b64 exec, exec, s[2:3]
	v_mad_u32_u24 v13, v0, 6, v1
	s_and_saveexec_b64 s[2:3], s[6:7]
	s_cbranch_execnz .LBB69_27
	s_branch .LBB69_28
.LBB69_76:
	ds_read_u16 v0, v7
	s_waitcnt lgkmcnt(0)
	global_store_short v[2:3], v0, off
	s_or_b64 exec, exec, s[0:1]
	v_cmp_gt_u32_e32 vcc, s2, v6
	s_and_saveexec_b64 s[0:1], vcc
	s_cbranch_execz .LBB69_64
.LBB69_77:
	s_waitcnt lgkmcnt(2)
	global_store_short v[2:3], v11, off offset:512
	s_or_b64 exec, exec, s[0:1]
	v_cmp_gt_u32_e32 vcc, s2, v5
	s_and_saveexec_b64 s[0:1], vcc
	s_cbranch_execnz .LBB69_65
	s_branch .LBB69_66
	.section	.rodata,"a",@progbits
	.p2align	6, 0x0
	.amdhsa_kernel _ZN7rocprim17ROCPRIM_304000_NS6detail35device_block_merge_mergepath_kernelINS1_37wrapped_merge_sort_block_merge_configINS0_14default_configEsN2at4cuda3cub6detail10OpaqueTypeILi8EEEEEPsSC_PSA_SD_jNS1_19radix_merge_compareILb0ELb1EsNS0_19identity_decomposerEEEEEvT0_T1_T2_T3_T4_SL_jT5_PKSL_NS1_7vsmem_tE
		.amdhsa_group_segment_fixed_size 8208
		.amdhsa_private_segment_fixed_size 0
		.amdhsa_kernarg_size 320
		.amdhsa_user_sgpr_count 6
		.amdhsa_user_sgpr_private_segment_buffer 1
		.amdhsa_user_sgpr_dispatch_ptr 0
		.amdhsa_user_sgpr_queue_ptr 0
		.amdhsa_user_sgpr_kernarg_segment_ptr 1
		.amdhsa_user_sgpr_dispatch_id 0
		.amdhsa_user_sgpr_flat_scratch_init 0
		.amdhsa_user_sgpr_kernarg_preload_length 0
		.amdhsa_user_sgpr_kernarg_preload_offset 0
		.amdhsa_user_sgpr_private_segment_size 0
		.amdhsa_uses_dynamic_stack 0
		.amdhsa_system_sgpr_private_segment_wavefront_offset 0
		.amdhsa_system_sgpr_workgroup_id_x 1
		.amdhsa_system_sgpr_workgroup_id_y 1
		.amdhsa_system_sgpr_workgroup_id_z 1
		.amdhsa_system_sgpr_workgroup_info 0
		.amdhsa_system_vgpr_workitem_id 0
		.amdhsa_next_free_vgpr 23
		.amdhsa_next_free_sgpr 31
		.amdhsa_accum_offset 24
		.amdhsa_reserve_vcc 1
		.amdhsa_reserve_flat_scratch 0
		.amdhsa_float_round_mode_32 0
		.amdhsa_float_round_mode_16_64 0
		.amdhsa_float_denorm_mode_32 3
		.amdhsa_float_denorm_mode_16_64 3
		.amdhsa_dx10_clamp 1
		.amdhsa_ieee_mode 1
		.amdhsa_fp16_overflow 0
		.amdhsa_tg_split 0
		.amdhsa_exception_fp_ieee_invalid_op 0
		.amdhsa_exception_fp_denorm_src 0
		.amdhsa_exception_fp_ieee_div_zero 0
		.amdhsa_exception_fp_ieee_overflow 0
		.amdhsa_exception_fp_ieee_underflow 0
		.amdhsa_exception_fp_ieee_inexact 0
		.amdhsa_exception_int_div_zero 0
	.end_amdhsa_kernel
	.section	.text._ZN7rocprim17ROCPRIM_304000_NS6detail35device_block_merge_mergepath_kernelINS1_37wrapped_merge_sort_block_merge_configINS0_14default_configEsN2at4cuda3cub6detail10OpaqueTypeILi8EEEEEPsSC_PSA_SD_jNS1_19radix_merge_compareILb0ELb1EsNS0_19identity_decomposerEEEEEvT0_T1_T2_T3_T4_SL_jT5_PKSL_NS1_7vsmem_tE,"axG",@progbits,_ZN7rocprim17ROCPRIM_304000_NS6detail35device_block_merge_mergepath_kernelINS1_37wrapped_merge_sort_block_merge_configINS0_14default_configEsN2at4cuda3cub6detail10OpaqueTypeILi8EEEEEPsSC_PSA_SD_jNS1_19radix_merge_compareILb0ELb1EsNS0_19identity_decomposerEEEEEvT0_T1_T2_T3_T4_SL_jT5_PKSL_NS1_7vsmem_tE,comdat
.Lfunc_end69:
	.size	_ZN7rocprim17ROCPRIM_304000_NS6detail35device_block_merge_mergepath_kernelINS1_37wrapped_merge_sort_block_merge_configINS0_14default_configEsN2at4cuda3cub6detail10OpaqueTypeILi8EEEEEPsSC_PSA_SD_jNS1_19radix_merge_compareILb0ELb1EsNS0_19identity_decomposerEEEEEvT0_T1_T2_T3_T4_SL_jT5_PKSL_NS1_7vsmem_tE, .Lfunc_end69-_ZN7rocprim17ROCPRIM_304000_NS6detail35device_block_merge_mergepath_kernelINS1_37wrapped_merge_sort_block_merge_configINS0_14default_configEsN2at4cuda3cub6detail10OpaqueTypeILi8EEEEEPsSC_PSA_SD_jNS1_19radix_merge_compareILb0ELb1EsNS0_19identity_decomposerEEEEEvT0_T1_T2_T3_T4_SL_jT5_PKSL_NS1_7vsmem_tE
                                        ; -- End function
	.section	.AMDGPU.csdata,"",@progbits
; Kernel info:
; codeLenInByte = 3608
; NumSgprs: 35
; NumVgprs: 23
; NumAgprs: 0
; TotalNumVgprs: 23
; ScratchSize: 0
; MemoryBound: 1
; FloatMode: 240
; IeeeMode: 1
; LDSByteSize: 8208 bytes/workgroup (compile time only)
; SGPRBlocks: 4
; VGPRBlocks: 2
; NumSGPRsForWavesPerEU: 35
; NumVGPRsForWavesPerEU: 23
; AccumOffset: 24
; Occupancy: 7
; WaveLimiterHint : 1
; COMPUTE_PGM_RSRC2:SCRATCH_EN: 0
; COMPUTE_PGM_RSRC2:USER_SGPR: 6
; COMPUTE_PGM_RSRC2:TRAP_HANDLER: 0
; COMPUTE_PGM_RSRC2:TGID_X_EN: 1
; COMPUTE_PGM_RSRC2:TGID_Y_EN: 1
; COMPUTE_PGM_RSRC2:TGID_Z_EN: 1
; COMPUTE_PGM_RSRC2:TIDIG_COMP_CNT: 0
; COMPUTE_PGM_RSRC3_GFX90A:ACCUM_OFFSET: 5
; COMPUTE_PGM_RSRC3_GFX90A:TG_SPLIT: 0
	.section	.text._ZN7rocprim17ROCPRIM_304000_NS6detail33device_block_merge_oddeven_kernelINS1_37wrapped_merge_sort_block_merge_configINS0_14default_configEsN2at4cuda3cub6detail10OpaqueTypeILi8EEEEEPsSC_PSA_SD_jNS1_19radix_merge_compareILb0ELb1EsNS0_19identity_decomposerEEEEEvT0_T1_T2_T3_T4_SL_T5_,"axG",@progbits,_ZN7rocprim17ROCPRIM_304000_NS6detail33device_block_merge_oddeven_kernelINS1_37wrapped_merge_sort_block_merge_configINS0_14default_configEsN2at4cuda3cub6detail10OpaqueTypeILi8EEEEEPsSC_PSA_SD_jNS1_19radix_merge_compareILb0ELb1EsNS0_19identity_decomposerEEEEEvT0_T1_T2_T3_T4_SL_T5_,comdat
	.protected	_ZN7rocprim17ROCPRIM_304000_NS6detail33device_block_merge_oddeven_kernelINS1_37wrapped_merge_sort_block_merge_configINS0_14default_configEsN2at4cuda3cub6detail10OpaqueTypeILi8EEEEEPsSC_PSA_SD_jNS1_19radix_merge_compareILb0ELb1EsNS0_19identity_decomposerEEEEEvT0_T1_T2_T3_T4_SL_T5_ ; -- Begin function _ZN7rocprim17ROCPRIM_304000_NS6detail33device_block_merge_oddeven_kernelINS1_37wrapped_merge_sort_block_merge_configINS0_14default_configEsN2at4cuda3cub6detail10OpaqueTypeILi8EEEEEPsSC_PSA_SD_jNS1_19radix_merge_compareILb0ELb1EsNS0_19identity_decomposerEEEEEvT0_T1_T2_T3_T4_SL_T5_
	.globl	_ZN7rocprim17ROCPRIM_304000_NS6detail33device_block_merge_oddeven_kernelINS1_37wrapped_merge_sort_block_merge_configINS0_14default_configEsN2at4cuda3cub6detail10OpaqueTypeILi8EEEEEPsSC_PSA_SD_jNS1_19radix_merge_compareILb0ELb1EsNS0_19identity_decomposerEEEEEvT0_T1_T2_T3_T4_SL_T5_
	.p2align	8
	.type	_ZN7rocprim17ROCPRIM_304000_NS6detail33device_block_merge_oddeven_kernelINS1_37wrapped_merge_sort_block_merge_configINS0_14default_configEsN2at4cuda3cub6detail10OpaqueTypeILi8EEEEEPsSC_PSA_SD_jNS1_19radix_merge_compareILb0ELb1EsNS0_19identity_decomposerEEEEEvT0_T1_T2_T3_T4_SL_T5_,@function
_ZN7rocprim17ROCPRIM_304000_NS6detail33device_block_merge_oddeven_kernelINS1_37wrapped_merge_sort_block_merge_configINS0_14default_configEsN2at4cuda3cub6detail10OpaqueTypeILi8EEEEEPsSC_PSA_SD_jNS1_19radix_merge_compareILb0ELb1EsNS0_19identity_decomposerEEEEEvT0_T1_T2_T3_T4_SL_T5_: ; @_ZN7rocprim17ROCPRIM_304000_NS6detail33device_block_merge_oddeven_kernelINS1_37wrapped_merge_sort_block_merge_configINS0_14default_configEsN2at4cuda3cub6detail10OpaqueTypeILi8EEEEEPsSC_PSA_SD_jNS1_19radix_merge_compareILb0ELb1EsNS0_19identity_decomposerEEEEEvT0_T1_T2_T3_T4_SL_T5_
; %bb.0:
	s_load_dwordx4 s[16:19], s[4:5], 0x20
	s_waitcnt lgkmcnt(0)
	s_lshr_b32 s2, s16, 8
	s_cmp_lg_u32 s6, s2
	s_cselect_b64 s[0:1], -1, 0
	s_cmp_eq_u32 s6, s2
	s_cselect_b64 s[20:21], -1, 0
	s_lshl_b32 s22, s6, 8
	s_sub_i32 s2, s16, s22
	v_cmp_gt_u32_e64 s[2:3], s2, v0
	s_or_b64 s[0:1], s[0:1], s[2:3]
	s_and_saveexec_b64 s[8:9], s[0:1]
	s_cbranch_execz .LBB70_26
; %bb.1:
	s_load_dwordx8 s[8:15], s[4:5], 0x0
	s_mov_b32 s23, 0
	s_lshl_b64 s[0:1], s[22:23], 1
	v_lshlrev_b32_e32 v4, 3, v0
	v_lshlrev_b32_e32 v1, 1, v0
	s_waitcnt lgkmcnt(0)
	s_add_u32 s0, s8, s0
	s_addc_u32 s1, s9, s1
	s_lshl_b64 s[4:5], s[22:23], 3
	s_add_u32 s4, s12, s4
	s_addc_u32 s5, s13, s5
	global_load_dwordx2 v[2:3], v4, s[4:5]
	global_load_ushort v6, v1, s[0:1]
	s_lshr_b32 s0, s17, 8
	s_sub_i32 s1, 0, s0
	s_and_b32 s1, s6, s1
	s_and_b32 s0, s1, s0
	s_lshl_b32 s23, s1, 8
	s_sub_i32 s6, 0, s17
	s_cmp_eq_u32 s0, 0
	s_cselect_b64 s[0:1], -1, 0
	s_and_b64 s[4:5], s[0:1], exec
	s_cselect_b32 s19, s17, s6
	s_add_i32 s19, s19, s23
	s_cmp_lt_u32 s19, s16
	v_add_u32_e32 v4, s22, v0
	s_cbranch_scc1 .LBB70_6
; %bb.2:
	s_and_b64 vcc, exec, s[20:21]
	s_cbranch_vccz .LBB70_7
; %bb.3:
	v_cmp_gt_u32_e32 vcc, s16, v4
	s_mov_b64 s[6:7], 0
	s_mov_b64 s[4:5], 0
                                        ; implicit-def: $vgpr0_vgpr1
	s_and_saveexec_b64 s[12:13], vcc
	s_cbranch_execz .LBB70_5
; %bb.4:
	v_mov_b32_e32 v5, 0
	v_lshlrev_b64 v[0:1], 3, v[4:5]
	v_mov_b32_e32 v7, s15
	v_add_co_u32_e32 v0, vcc, s14, v0
	v_addc_co_u32_e32 v1, vcc, v7, v1, vcc
	v_lshlrev_b64 v[8:9], 1, v[4:5]
	v_mov_b32_e32 v5, s11
	v_add_co_u32_e32 v8, vcc, s10, v8
	s_mov_b64 s[4:5], exec
	v_addc_co_u32_e32 v9, vcc, v5, v9, vcc
	s_waitcnt vmcnt(0)
	global_store_short v[8:9], v6, off
.LBB70_5:
	s_or_b64 exec, exec, s[12:13]
	s_and_b64 vcc, exec, s[6:7]
	s_cbranch_vccnz .LBB70_8
	s_branch .LBB70_9
.LBB70_6:
	s_mov_b64 s[4:5], 0
                                        ; implicit-def: $vgpr0_vgpr1
	s_cbranch_execnz .LBB70_10
	s_branch .LBB70_24
.LBB70_7:
	s_mov_b64 s[4:5], 0
                                        ; implicit-def: $vgpr0_vgpr1
	s_cbranch_execz .LBB70_9
.LBB70_8:
	v_mov_b32_e32 v5, 0
	v_lshlrev_b64 v[0:1], 1, v[4:5]
	v_mov_b32_e32 v7, s11
	v_add_co_u32_e32 v0, vcc, s10, v0
	v_addc_co_u32_e32 v1, vcc, v7, v1, vcc
	s_waitcnt vmcnt(0)
	global_store_short v[0:1], v6, off
	v_lshlrev_b64 v[0:1], 3, v[4:5]
	v_mov_b32_e32 v5, s15
	v_add_co_u32_e32 v0, vcc, s14, v0
	v_addc_co_u32_e32 v1, vcc, v5, v1, vcc
	s_or_b64 s[4:5], s[4:5], exec
.LBB70_9:
	s_branch .LBB70_24
.LBB70_10:
	s_min_u32 s12, s19, s16
	s_add_i32 s6, s12, s17
	s_min_u32 s13, s6, s16
	s_min_u32 s6, s23, s12
	s_add_i32 s23, s23, s12
	v_subrev_u32_e32 v0, s23, v4
	v_add_u32_e32 v4, s6, v0
	s_and_b64 vcc, exec, s[20:21]
	s_cbranch_vccz .LBB70_18
; %bb.11:
                                        ; implicit-def: $vgpr0_vgpr1
	s_and_saveexec_b64 s[6:7], s[2:3]
	s_cbranch_execz .LBB70_17
; %bb.12:
	s_cmp_ge_u32 s19, s13
	v_mov_b32_e32 v0, s12
	s_cbranch_scc1 .LBB70_16
; %bb.13:
	s_waitcnt vmcnt(0)
	v_and_b32_e32 v1, s18, v6
	s_mov_b64 s[2:3], 0
	v_mov_b32_e32 v5, s13
	v_mov_b32_e32 v0, s12
.LBB70_14:                              ; =>This Inner Loop Header: Depth=1
	v_add_u32_e32 v7, v0, v5
	v_and_b32_e32 v8, -2, v7
	global_load_ushort v8, v8, s[8:9]
	v_lshrrev_b32_e32 v7, 1, v7
	v_add_u32_e32 v9, 1, v7
	s_waitcnt vmcnt(0)
	v_and_b32_e32 v8, s18, v8
	v_cmp_gt_i16_e32 vcc, v1, v8
	v_cndmask_b32_e64 v10, 0, 1, vcc
	v_cmp_le_i16_e32 vcc, v8, v1
	v_cndmask_b32_e64 v8, 0, 1, vcc
	v_cndmask_b32_e64 v8, v8, v10, s[0:1]
	v_and_b32_e32 v8, 1, v8
	v_cmp_eq_u32_e32 vcc, 1, v8
	v_cndmask_b32_e32 v5, v7, v5, vcc
	v_cndmask_b32_e32 v0, v0, v9, vcc
	v_cmp_ge_u32_e32 vcc, v0, v5
	s_or_b64 s[2:3], vcc, s[2:3]
	s_andn2_b64 exec, exec, s[2:3]
	s_cbranch_execnz .LBB70_14
; %bb.15:
	s_or_b64 exec, exec, s[2:3]
.LBB70_16:
	v_add_u32_e32 v0, v0, v4
	v_mov_b32_e32 v1, 0
	v_lshlrev_b64 v[8:9], 1, v[0:1]
	v_mov_b32_e32 v5, s11
	v_add_co_u32_e32 v8, vcc, s10, v8
	v_addc_co_u32_e32 v9, vcc, v5, v9, vcc
	v_lshlrev_b64 v[0:1], 3, v[0:1]
	v_mov_b32_e32 v5, s15
	v_add_co_u32_e32 v0, vcc, s14, v0
	s_waitcnt vmcnt(0)
	global_store_short v[8:9], v6, off
	v_addc_co_u32_e32 v1, vcc, v5, v1, vcc
	s_or_b64 s[4:5], s[4:5], exec
.LBB70_17:
	s_or_b64 exec, exec, s[6:7]
	s_branch .LBB70_24
.LBB70_18:
                                        ; implicit-def: $vgpr0_vgpr1
	s_cbranch_execz .LBB70_24
; %bb.19:
	s_cmp_ge_u32 s19, s13
	v_mov_b32_e32 v0, s12
	s_cbranch_scc1 .LBB70_23
; %bb.20:
	s_waitcnt vmcnt(0)
	v_and_b32_e32 v1, s18, v6
	s_mov_b64 s[2:3], 0
	v_mov_b32_e32 v5, s13
	v_mov_b32_e32 v0, s12
.LBB70_21:                              ; =>This Inner Loop Header: Depth=1
	v_add_u32_e32 v7, v0, v5
	v_and_b32_e32 v8, -2, v7
	global_load_ushort v8, v8, s[8:9]
	v_lshrrev_b32_e32 v7, 1, v7
	v_add_u32_e32 v9, 1, v7
	s_waitcnt vmcnt(0)
	v_and_b32_e32 v8, s18, v8
	v_cmp_gt_i16_e32 vcc, v1, v8
	v_cndmask_b32_e64 v10, 0, 1, vcc
	v_cmp_le_i16_e32 vcc, v8, v1
	v_cndmask_b32_e64 v8, 0, 1, vcc
	v_cndmask_b32_e64 v8, v8, v10, s[0:1]
	v_and_b32_e32 v8, 1, v8
	v_cmp_eq_u32_e32 vcc, 1, v8
	v_cndmask_b32_e32 v5, v7, v5, vcc
	v_cndmask_b32_e32 v0, v0, v9, vcc
	v_cmp_ge_u32_e32 vcc, v0, v5
	s_or_b64 s[2:3], vcc, s[2:3]
	s_andn2_b64 exec, exec, s[2:3]
	s_cbranch_execnz .LBB70_21
; %bb.22:
	s_or_b64 exec, exec, s[2:3]
.LBB70_23:
	v_add_u32_e32 v0, v0, v4
	v_mov_b32_e32 v1, 0
	v_lshlrev_b64 v[4:5], 1, v[0:1]
	v_mov_b32_e32 v7, s11
	v_add_co_u32_e32 v4, vcc, s10, v4
	v_addc_co_u32_e32 v5, vcc, v7, v5, vcc
	v_lshlrev_b64 v[0:1], 3, v[0:1]
	s_waitcnt vmcnt(0)
	global_store_short v[4:5], v6, off
	v_mov_b32_e32 v4, s15
	v_add_co_u32_e32 v0, vcc, s14, v0
	v_addc_co_u32_e32 v1, vcc, v4, v1, vcc
	s_mov_b64 s[4:5], -1
.LBB70_24:
	s_and_b64 exec, exec, s[4:5]
	s_cbranch_execz .LBB70_26
; %bb.25:
	s_waitcnt vmcnt(1)
	global_store_dwordx2 v[0:1], v[2:3], off
.LBB70_26:
	s_endpgm
	.section	.rodata,"a",@progbits
	.p2align	6, 0x0
	.amdhsa_kernel _ZN7rocprim17ROCPRIM_304000_NS6detail33device_block_merge_oddeven_kernelINS1_37wrapped_merge_sort_block_merge_configINS0_14default_configEsN2at4cuda3cub6detail10OpaqueTypeILi8EEEEEPsSC_PSA_SD_jNS1_19radix_merge_compareILb0ELb1EsNS0_19identity_decomposerEEEEEvT0_T1_T2_T3_T4_SL_T5_
		.amdhsa_group_segment_fixed_size 0
		.amdhsa_private_segment_fixed_size 0
		.amdhsa_kernarg_size 44
		.amdhsa_user_sgpr_count 6
		.amdhsa_user_sgpr_private_segment_buffer 1
		.amdhsa_user_sgpr_dispatch_ptr 0
		.amdhsa_user_sgpr_queue_ptr 0
		.amdhsa_user_sgpr_kernarg_segment_ptr 1
		.amdhsa_user_sgpr_dispatch_id 0
		.amdhsa_user_sgpr_flat_scratch_init 0
		.amdhsa_user_sgpr_kernarg_preload_length 0
		.amdhsa_user_sgpr_kernarg_preload_offset 0
		.amdhsa_user_sgpr_private_segment_size 0
		.amdhsa_uses_dynamic_stack 0
		.amdhsa_system_sgpr_private_segment_wavefront_offset 0
		.amdhsa_system_sgpr_workgroup_id_x 1
		.amdhsa_system_sgpr_workgroup_id_y 0
		.amdhsa_system_sgpr_workgroup_id_z 0
		.amdhsa_system_sgpr_workgroup_info 0
		.amdhsa_system_vgpr_workitem_id 0
		.amdhsa_next_free_vgpr 11
		.amdhsa_next_free_sgpr 24
		.amdhsa_accum_offset 12
		.amdhsa_reserve_vcc 1
		.amdhsa_reserve_flat_scratch 0
		.amdhsa_float_round_mode_32 0
		.amdhsa_float_round_mode_16_64 0
		.amdhsa_float_denorm_mode_32 3
		.amdhsa_float_denorm_mode_16_64 3
		.amdhsa_dx10_clamp 1
		.amdhsa_ieee_mode 1
		.amdhsa_fp16_overflow 0
		.amdhsa_tg_split 0
		.amdhsa_exception_fp_ieee_invalid_op 0
		.amdhsa_exception_fp_denorm_src 0
		.amdhsa_exception_fp_ieee_div_zero 0
		.amdhsa_exception_fp_ieee_overflow 0
		.amdhsa_exception_fp_ieee_underflow 0
		.amdhsa_exception_fp_ieee_inexact 0
		.amdhsa_exception_int_div_zero 0
	.end_amdhsa_kernel
	.section	.text._ZN7rocprim17ROCPRIM_304000_NS6detail33device_block_merge_oddeven_kernelINS1_37wrapped_merge_sort_block_merge_configINS0_14default_configEsN2at4cuda3cub6detail10OpaqueTypeILi8EEEEEPsSC_PSA_SD_jNS1_19radix_merge_compareILb0ELb1EsNS0_19identity_decomposerEEEEEvT0_T1_T2_T3_T4_SL_T5_,"axG",@progbits,_ZN7rocprim17ROCPRIM_304000_NS6detail33device_block_merge_oddeven_kernelINS1_37wrapped_merge_sort_block_merge_configINS0_14default_configEsN2at4cuda3cub6detail10OpaqueTypeILi8EEEEEPsSC_PSA_SD_jNS1_19radix_merge_compareILb0ELb1EsNS0_19identity_decomposerEEEEEvT0_T1_T2_T3_T4_SL_T5_,comdat
.Lfunc_end70:
	.size	_ZN7rocprim17ROCPRIM_304000_NS6detail33device_block_merge_oddeven_kernelINS1_37wrapped_merge_sort_block_merge_configINS0_14default_configEsN2at4cuda3cub6detail10OpaqueTypeILi8EEEEEPsSC_PSA_SD_jNS1_19radix_merge_compareILb0ELb1EsNS0_19identity_decomposerEEEEEvT0_T1_T2_T3_T4_SL_T5_, .Lfunc_end70-_ZN7rocprim17ROCPRIM_304000_NS6detail33device_block_merge_oddeven_kernelINS1_37wrapped_merge_sort_block_merge_configINS0_14default_configEsN2at4cuda3cub6detail10OpaqueTypeILi8EEEEEPsSC_PSA_SD_jNS1_19radix_merge_compareILb0ELb1EsNS0_19identity_decomposerEEEEEvT0_T1_T2_T3_T4_SL_T5_
                                        ; -- End function
	.section	.AMDGPU.csdata,"",@progbits
; Kernel info:
; codeLenInByte = 840
; NumSgprs: 28
; NumVgprs: 11
; NumAgprs: 0
; TotalNumVgprs: 11
; ScratchSize: 0
; MemoryBound: 0
; FloatMode: 240
; IeeeMode: 1
; LDSByteSize: 0 bytes/workgroup (compile time only)
; SGPRBlocks: 3
; VGPRBlocks: 1
; NumSGPRsForWavesPerEU: 28
; NumVGPRsForWavesPerEU: 11
; AccumOffset: 12
; Occupancy: 8
; WaveLimiterHint : 0
; COMPUTE_PGM_RSRC2:SCRATCH_EN: 0
; COMPUTE_PGM_RSRC2:USER_SGPR: 6
; COMPUTE_PGM_RSRC2:TRAP_HANDLER: 0
; COMPUTE_PGM_RSRC2:TGID_X_EN: 1
; COMPUTE_PGM_RSRC2:TGID_Y_EN: 0
; COMPUTE_PGM_RSRC2:TGID_Z_EN: 0
; COMPUTE_PGM_RSRC2:TIDIG_COMP_CNT: 0
; COMPUTE_PGM_RSRC3_GFX90A:ACCUM_OFFSET: 2
; COMPUTE_PGM_RSRC3_GFX90A:TG_SPLIT: 0
	.section	.text._ZN7rocprim17ROCPRIM_304000_NS6detail26onesweep_histograms_kernelINS1_34wrapped_radix_sort_onesweep_configINS0_14default_configEsN2at4cuda3cub6detail10OpaqueTypeILi8EEEEELb0EPKsmNS0_19identity_decomposerEEEvT1_PT2_SG_SG_T3_jj,"axG",@progbits,_ZN7rocprim17ROCPRIM_304000_NS6detail26onesweep_histograms_kernelINS1_34wrapped_radix_sort_onesweep_configINS0_14default_configEsN2at4cuda3cub6detail10OpaqueTypeILi8EEEEELb0EPKsmNS0_19identity_decomposerEEEvT1_PT2_SG_SG_T3_jj,comdat
	.protected	_ZN7rocprim17ROCPRIM_304000_NS6detail26onesweep_histograms_kernelINS1_34wrapped_radix_sort_onesweep_configINS0_14default_configEsN2at4cuda3cub6detail10OpaqueTypeILi8EEEEELb0EPKsmNS0_19identity_decomposerEEEvT1_PT2_SG_SG_T3_jj ; -- Begin function _ZN7rocprim17ROCPRIM_304000_NS6detail26onesweep_histograms_kernelINS1_34wrapped_radix_sort_onesweep_configINS0_14default_configEsN2at4cuda3cub6detail10OpaqueTypeILi8EEEEELb0EPKsmNS0_19identity_decomposerEEEvT1_PT2_SG_SG_T3_jj
	.globl	_ZN7rocprim17ROCPRIM_304000_NS6detail26onesweep_histograms_kernelINS1_34wrapped_radix_sort_onesweep_configINS0_14default_configEsN2at4cuda3cub6detail10OpaqueTypeILi8EEEEELb0EPKsmNS0_19identity_decomposerEEEvT1_PT2_SG_SG_T3_jj
	.p2align	8
	.type	_ZN7rocprim17ROCPRIM_304000_NS6detail26onesweep_histograms_kernelINS1_34wrapped_radix_sort_onesweep_configINS0_14default_configEsN2at4cuda3cub6detail10OpaqueTypeILi8EEEEELb0EPKsmNS0_19identity_decomposerEEEvT1_PT2_SG_SG_T3_jj,@function
_ZN7rocprim17ROCPRIM_304000_NS6detail26onesweep_histograms_kernelINS1_34wrapped_radix_sort_onesweep_configINS0_14default_configEsN2at4cuda3cub6detail10OpaqueTypeILi8EEEEELb0EPKsmNS0_19identity_decomposerEEEvT1_PT2_SG_SG_T3_jj: ; @_ZN7rocprim17ROCPRIM_304000_NS6detail26onesweep_histograms_kernelINS1_34wrapped_radix_sort_onesweep_configINS0_14default_configEsN2at4cuda3cub6detail10OpaqueTypeILi8EEEEELb0EPKsmNS0_19identity_decomposerEEEvT1_PT2_SG_SG_T3_jj
; %bb.0:
	s_load_dwordx8 s[12:19], s[4:5], 0x0
	s_load_dwordx2 s[20:21], s[4:5], 0x24
	s_mov_b32 s7, 0
	s_mul_i32 s1, s6, 0x3000
	s_mul_hi_u32 s0, s6, 0x3000
	s_waitcnt lgkmcnt(0)
	v_pk_mov_b32 v[2:3], s[18:19], s[18:19] op_sel:[0,1]
	v_cmp_ge_u64_e32 vcc, s[6:7], v[2:3]
	s_add_u32 s12, s12, s1
	s_addc_u32 s13, s13, s0
	s_mov_b64 s[0:1], -1
	v_lshlrev_b32_e32 v1, 1, v0
	s_cbranch_vccz .LBB71_44
; %bb.1:
	s_mul_i32 s0, s18, 0xffffe800
	s_add_i32 s16, s0, s16
	v_mov_b32_e32 v2, s13
	v_add_co_u32_e32 v6, vcc, s12, v1
	v_addc_co_u32_e32 v7, vcc, 0, v2, vcc
	v_cmp_gt_u32_e64 s[10:11], s16, v0
                                        ; implicit-def: $vgpr2_vgpr3_vgpr4_vgpr5
	s_and_saveexec_b64 s[0:1], s[10:11]
	s_cbranch_execz .LBB71_3
; %bb.2:
	global_load_ushort v2, v[6:7], off
.LBB71_3:
	s_or_b64 exec, exec, s[0:1]
	v_or_b32_e32 v5, 0x400, v0
	v_cmp_gt_u32_e64 s[8:9], s16, v5
	s_and_saveexec_b64 s[0:1], s[8:9]
	s_cbranch_execz .LBB71_5
; %bb.4:
	global_load_ushort v5, v[6:7], off offset:2048
	s_mov_b32 s2, 0x5040100
	s_waitcnt vmcnt(0)
	v_perm_b32 v2, v5, v2, s2
.LBB71_5:
	s_or_b64 exec, exec, s[0:1]
	v_or_b32_e32 v5, 0x800, v0
	v_cmp_gt_u32_e64 s[6:7], s16, v5
	s_and_saveexec_b64 s[0:1], s[6:7]
	s_cbranch_execz .LBB71_7
; %bb.6:
	v_add_co_u32_e32 v8, vcc, 0x1000, v6
	v_addc_co_u32_e32 v9, vcc, 0, v7, vcc
	global_load_ushort v5, v[8:9], off
	s_mov_b32 s2, 0xffff
	s_waitcnt vmcnt(0)
	v_bfi_b32 v3, s2, v5, v3
.LBB71_7:
	s_or_b64 exec, exec, s[0:1]
	v_or_b32_e32 v5, 0xc00, v0
	v_cmp_gt_u32_e64 s[4:5], s16, v5
	s_and_saveexec_b64 s[0:1], s[4:5]
	s_cbranch_execz .LBB71_9
; %bb.8:
	v_add_co_u32_e32 v8, vcc, 0x1000, v6
	v_addc_co_u32_e32 v9, vcc, 0, v7, vcc
	global_load_ushort v5, v[8:9], off offset:2048
	s_mov_b32 s2, 0x5040100
	s_waitcnt vmcnt(0)
	v_perm_b32 v3, v5, v3, s2
.LBB71_9:
	s_or_b64 exec, exec, s[0:1]
	v_or_b32_e32 v5, 0x1000, v0
	v_cmp_gt_u32_e64 s[2:3], s16, v5
	s_and_saveexec_b64 s[0:1], s[2:3]
	s_cbranch_execz .LBB71_11
; %bb.10:
	v_add_co_u32_e32 v8, vcc, 0x2000, v6
	v_addc_co_u32_e32 v9, vcc, 0, v7, vcc
	global_load_ushort v5, v[8:9], off
	s_mov_b32 s17, 0xffff
	s_waitcnt vmcnt(0)
	v_bfi_b32 v4, s17, v5, v4
.LBB71_11:
	s_or_b64 exec, exec, s[0:1]
	v_or_b32_e32 v5, 0x1400, v0
	v_cmp_gt_u32_e64 s[0:1], s16, v5
	s_and_saveexec_b64 s[16:17], s[0:1]
	s_cbranch_execz .LBB71_13
; %bb.12:
	v_add_co_u32_e32 v6, vcc, 0x2000, v6
	v_addc_co_u32_e32 v7, vcc, 0, v7, vcc
	global_load_ushort v5, v[6:7], off offset:2048
	s_mov_b32 s18, 0x5040100
	s_waitcnt vmcnt(0)
	v_perm_b32 v4, v5, v4, s18
.LBB71_13:
	s_or_b64 exec, exec, s[16:17]
	s_cmp_gt_u32 s21, s20
	v_lshlrev_b32_e32 v5, 2, v0
	v_mov_b32_e32 v6, 0
	s_cselect_b64 s[16:17], -1, 0
	s_cmp_le_u32 s21, s20
	ds_write2st64_b32 v5, v6, v6 offset1:16
	s_waitcnt lgkmcnt(0)
	s_barrier
	s_cbranch_scc1 .LBB71_38
; %bb.14:
	v_and_b32_e32 v5, 3, v0
	v_lshlrev_b32_e32 v5, 2, v5
	s_sub_i32 s22, s21, s20
	s_waitcnt vmcnt(0)
	v_xor_b32_e32 v6, 0xffff8000, v2
	v_mov_b32_e32 v7, 1
	s_mov_b32 s23, s22
	v_mov_b32_e32 v8, v5
	s_mov_b32 s24, s20
	s_branch .LBB71_16
.LBB71_15:                              ;   in Loop: Header=BB71_16 Depth=1
	s_or_b64 exec, exec, s[18:19]
	s_add_i32 s24, s24, 8
	s_add_i32 s23, s23, -8
	s_cmp_ge_u32 s24, s21
	v_add_u32_e32 v8, 0x1000, v8
	s_cbranch_scc1 .LBB71_18
.LBB71_16:                              ; =>This Inner Loop Header: Depth=1
	s_and_saveexec_b64 s[18:19], s[10:11]
	s_cbranch_execz .LBB71_15
; %bb.17:                               ;   in Loop: Header=BB71_16 Depth=1
	s_min_u32 s25, s23, 8
	v_lshrrev_b32_sdwa v9, s24, v6 dst_sel:DWORD dst_unused:UNUSED_PAD src0_sel:DWORD src1_sel:WORD_0
	v_bfe_u32 v9, v9, 0, s25
	v_lshl_add_u32 v9, v9, 4, v8
	ds_add_u32 v9, v7
	s_branch .LBB71_15
.LBB71_18:
	s_movk_i32 s10, 0x8000
	v_xor_b32_sdwa v2, v2, s10 dst_sel:DWORD dst_unused:UNUSED_PAD src0_sel:WORD_1 src1_sel:DWORD
	v_mov_b32_e32 v6, 1
	s_mov_b32 s18, s22
	v_mov_b32_e32 v7, v5
	s_mov_b32 s19, s20
	s_branch .LBB71_20
.LBB71_19:                              ;   in Loop: Header=BB71_20 Depth=1
	s_or_b64 exec, exec, s[10:11]
	s_add_i32 s19, s19, 8
	s_add_i32 s18, s18, -8
	s_cmp_lt_u32 s19, s21
	v_add_u32_e32 v7, 0x1000, v7
	s_cbranch_scc0 .LBB71_22
.LBB71_20:                              ; =>This Inner Loop Header: Depth=1
	s_and_saveexec_b64 s[10:11], s[8:9]
	s_cbranch_execz .LBB71_19
; %bb.21:                               ;   in Loop: Header=BB71_20 Depth=1
	s_min_u32 s23, s18, 8
	v_lshrrev_b32_sdwa v8, s19, v2 dst_sel:DWORD dst_unused:UNUSED_PAD src0_sel:DWORD src1_sel:WORD_0
	v_bfe_u32 v8, v8, 0, s23
	v_lshl_add_u32 v8, v8, 4, v7
	ds_add_u32 v8, v6
	s_branch .LBB71_19
.LBB71_22:
	v_xor_b32_e32 v2, 0xffff8000, v3
	v_mov_b32_e32 v6, 1
	s_mov_b32 s10, s22
	v_mov_b32_e32 v7, v5
	s_mov_b32 s11, s20
	s_branch .LBB71_24
.LBB71_23:                              ;   in Loop: Header=BB71_24 Depth=1
	s_or_b64 exec, exec, s[8:9]
	s_add_i32 s11, s11, 8
	s_add_i32 s10, s10, -8
	s_cmp_lt_u32 s11, s21
	v_add_u32_e32 v7, 0x1000, v7
	s_cbranch_scc0 .LBB71_26
.LBB71_24:                              ; =>This Inner Loop Header: Depth=1
	s_and_saveexec_b64 s[8:9], s[6:7]
	s_cbranch_execz .LBB71_23
; %bb.25:                               ;   in Loop: Header=BB71_24 Depth=1
	s_min_u32 s18, s10, 8
	v_lshrrev_b32_sdwa v8, s11, v2 dst_sel:DWORD dst_unused:UNUSED_PAD src0_sel:DWORD src1_sel:WORD_0
	v_bfe_u32 v8, v8, 0, s18
	v_lshl_add_u32 v8, v8, 4, v7
	ds_add_u32 v8, v6
	s_branch .LBB71_23
.LBB71_26:
	s_movk_i32 s6, 0x8000
	v_xor_b32_sdwa v2, v3, s6 dst_sel:DWORD dst_unused:UNUSED_PAD src0_sel:WORD_1 src1_sel:DWORD
	v_mov_b32_e32 v3, 1
	s_mov_b32 s8, s22
	v_mov_b32_e32 v6, v5
	s_mov_b32 s9, s20
	s_branch .LBB71_28
.LBB71_27:                              ;   in Loop: Header=BB71_28 Depth=1
	s_or_b64 exec, exec, s[6:7]
	s_add_i32 s9, s9, 8
	s_add_i32 s8, s8, -8
	s_cmp_lt_u32 s9, s21
	v_add_u32_e32 v6, 0x1000, v6
	s_cbranch_scc0 .LBB71_30
.LBB71_28:                              ; =>This Inner Loop Header: Depth=1
	s_and_saveexec_b64 s[6:7], s[4:5]
	s_cbranch_execz .LBB71_27
; %bb.29:                               ;   in Loop: Header=BB71_28 Depth=1
	s_min_u32 s10, s8, 8
	v_lshrrev_b32_sdwa v7, s9, v2 dst_sel:DWORD dst_unused:UNUSED_PAD src0_sel:DWORD src1_sel:WORD_0
	v_bfe_u32 v7, v7, 0, s10
	v_lshl_add_u32 v7, v7, 4, v6
	ds_add_u32 v7, v3
	s_branch .LBB71_27
.LBB71_30:
	v_xor_b32_e32 v2, 0xffff8000, v4
	v_mov_b32_e32 v3, 1
	s_mov_b32 s6, s22
	v_mov_b32_e32 v6, v5
	s_mov_b32 s7, s20
	s_branch .LBB71_32
.LBB71_31:                              ;   in Loop: Header=BB71_32 Depth=1
	s_or_b64 exec, exec, s[4:5]
	s_add_i32 s7, s7, 8
	s_add_i32 s6, s6, -8
	s_cmp_lt_u32 s7, s21
	v_add_u32_e32 v6, 0x1000, v6
	s_cbranch_scc0 .LBB71_34
.LBB71_32:                              ; =>This Inner Loop Header: Depth=1
	s_and_saveexec_b64 s[4:5], s[2:3]
	s_cbranch_execz .LBB71_31
; %bb.33:                               ;   in Loop: Header=BB71_32 Depth=1
	s_min_u32 s8, s6, 8
	v_lshrrev_b32_sdwa v7, s7, v2 dst_sel:DWORD dst_unused:UNUSED_PAD src0_sel:DWORD src1_sel:WORD_0
	v_bfe_u32 v7, v7, 0, s8
	v_lshl_add_u32 v7, v7, 4, v6
	ds_add_u32 v7, v3
	s_branch .LBB71_31
.LBB71_34:
	s_movk_i32 s2, 0x8000
	v_xor_b32_sdwa v2, v4, s2 dst_sel:DWORD dst_unused:UNUSED_PAD src0_sel:WORD_1 src1_sel:DWORD
	v_mov_b32_e32 v3, 1
	s_mov_b32 s4, s20
	s_branch .LBB71_36
.LBB71_35:                              ;   in Loop: Header=BB71_36 Depth=1
	s_or_b64 exec, exec, s[2:3]
	s_add_i32 s4, s4, 8
	s_add_i32 s22, s22, -8
	s_cmp_lt_u32 s4, s21
	v_add_u32_e32 v5, 0x1000, v5
	s_cbranch_scc0 .LBB71_38
.LBB71_36:                              ; =>This Inner Loop Header: Depth=1
	s_and_saveexec_b64 s[2:3], s[0:1]
	s_cbranch_execz .LBB71_35
; %bb.37:                               ;   in Loop: Header=BB71_36 Depth=1
	s_min_u32 s5, s22, 8
	v_lshrrev_b32_sdwa v4, s4, v2 dst_sel:DWORD dst_unused:UNUSED_PAD src0_sel:DWORD src1_sel:WORD_0
	v_bfe_u32 v4, v4, 0, s5
	v_lshl_add_u32 v4, v4, 4, v5
	ds_add_u32 v4, v3
	s_branch .LBB71_35
.LBB71_38:
	s_and_b64 vcc, exec, s[16:17]
	s_waitcnt lgkmcnt(0)
	s_barrier
	s_cbranch_vccz .LBB71_43
; %bb.39:
	s_movk_i32 s0, 0x100
	v_cmp_gt_u32_e32 vcc, s0, v0
	v_lshlrev_b32_e32 v4, 4, v0
	v_mov_b32_e32 v3, 0
	s_waitcnt vmcnt(0)
	v_mov_b32_e32 v2, v0
	s_mov_b32 s4, s20
	s_branch .LBB71_41
.LBB71_40:                              ;   in Loop: Header=BB71_41 Depth=1
	s_or_b64 exec, exec, s[2:3]
	s_add_i32 s4, s4, 8
	v_add_u32_e32 v2, 0x100, v2
	s_cmp_lt_u32 s4, s21
	v_add_u32_e32 v4, 0x1000, v4
	s_cbranch_scc0 .LBB71_43
.LBB71_41:                              ; =>This Inner Loop Header: Depth=1
	s_and_saveexec_b64 s[2:3], vcc
	s_cbranch_execz .LBB71_40
; %bb.42:                               ;   in Loop: Header=BB71_41 Depth=1
	ds_read2_b32 v[6:7], v4 offset1:1
	ds_read2_b32 v[8:9], v4 offset0:2 offset1:3
	v_lshlrev_b64 v[10:11], 3, v[2:3]
	v_mov_b32_e32 v5, s15
	s_waitcnt lgkmcnt(1)
	v_add_u32_e32 v6, v7, v6
	s_waitcnt lgkmcnt(0)
	v_add3_u32 v6, v6, v8, v9
	v_add_co_u32_e64 v8, s[0:1], s14, v10
	v_addc_co_u32_e64 v9, s[0:1], v5, v11, s[0:1]
	v_mov_b32_e32 v7, v3
	global_atomic_add_x2 v[8:9], v[6:7], off
	s_branch .LBB71_40
.LBB71_43:
	s_mov_b64 s[0:1], 0
.LBB71_44:
	s_and_b64 vcc, exec, s[0:1]
	s_cbranch_vccz .LBB71_68
; %bb.45:
	s_waitcnt vmcnt(0)
	v_mov_b32_e32 v2, s13
	v_add_co_u32_e32 v5, vcc, s12, v1
	v_addc_co_u32_e32 v6, vcc, 0, v2, vcc
	v_add_co_u32_e32 v2, vcc, 0x1000, v5
	v_addc_co_u32_e32 v3, vcc, 0, v6, vcc
	v_add_co_u32_e32 v10, vcc, 0x2000, v5
	global_load_ushort v4, v1, s[12:13] offset:2048
	v_addc_co_u32_e32 v11, vcc, 0, v6, vcc
	global_load_ushort v5, v[2:3], off
	global_load_ushort v6, v[2:3], off offset:2048
	global_load_ushort v7, v[10:11], off
	global_load_ushort v9, v1, s[12:13]
	global_load_ushort v8, v[10:11], off offset:2048
	s_cmp_eq_u32 s20, 0
	s_cselect_b64 s[0:1], -1, 0
	s_cmp_eq_u32 s21, 16
	s_cselect_b64 s[2:3], -1, 0
	s_and_b64 s[2:3], s[0:1], s[2:3]
	v_mov_b32_e32 v2, 0
	v_lshlrev_b32_e32 v1, 2, v0
	s_mov_b64 s[0:1], -1
	s_and_b64 vcc, exec, s[2:3]
	ds_write2st64_b32 v1, v2, v2 offset1:16
	s_waitcnt lgkmcnt(0)
	s_cbranch_vccnz .LBB71_65
; %bb.46:
	s_cmp_gt_u32 s21, s20
	s_cselect_b64 s[0:1], -1, 0
	s_and_b64 vcc, exec, s[0:1]
	s_barrier
	s_cbranch_vccz .LBB71_59
; %bb.47:
	v_and_b32_e32 v2, 3, v0
	v_lshlrev_b32_e32 v2, 2, v2
	s_sub_i32 s2, s21, s20
	s_waitcnt vmcnt(1)
	v_xor_b32_e32 v3, 0xffff8000, v9
	v_mov_b32_e32 v10, 1
	s_mov_b32 s3, s2
	v_mov_b32_e32 v11, v2
	s_mov_b32 s4, s20
.LBB71_48:                              ; =>This Inner Loop Header: Depth=1
	s_min_u32 s5, s3, 8
	v_lshrrev_b32_sdwa v12, s4, v3 dst_sel:DWORD dst_unused:UNUSED_PAD src0_sel:DWORD src1_sel:WORD_0
	v_bfe_u32 v12, v12, 0, s5
	v_lshl_add_u32 v12, v12, 4, v11
	ds_add_u32 v12, v10
	s_add_i32 s4, s4, 8
	s_add_i32 s3, s3, -8
	s_cmp_ge_u32 s4, s21
	v_add_u32_e32 v11, 0x1000, v11
	s_cbranch_scc0 .LBB71_48
; %bb.49:
	v_xor_b32_e32 v3, 0xffff8000, v4
	v_mov_b32_e32 v10, 1
	s_mov_b32 s3, s2
	v_mov_b32_e32 v11, v2
	s_mov_b32 s4, s20
.LBB71_50:                              ; =>This Inner Loop Header: Depth=1
	s_min_u32 s5, s3, 8
	v_lshrrev_b32_sdwa v12, s4, v3 dst_sel:DWORD dst_unused:UNUSED_PAD src0_sel:DWORD src1_sel:WORD_0
	v_bfe_u32 v12, v12, 0, s5
	v_lshl_add_u32 v12, v12, 4, v11
	ds_add_u32 v12, v10
	s_add_i32 s4, s4, 8
	s_add_i32 s3, s3, -8
	s_cmp_lt_u32 s4, s21
	v_add_u32_e32 v11, 0x1000, v11
	s_cbranch_scc1 .LBB71_50
; %bb.51:
	v_xor_b32_e32 v3, 0xffff8000, v5
	v_mov_b32_e32 v10, 1
	s_mov_b32 s3, s2
	v_mov_b32_e32 v11, v2
	s_mov_b32 s4, s20
.LBB71_52:                              ; =>This Inner Loop Header: Depth=1
	s_min_u32 s5, s3, 8
	v_lshrrev_b32_sdwa v12, s4, v3 dst_sel:DWORD dst_unused:UNUSED_PAD src0_sel:DWORD src1_sel:WORD_0
	v_bfe_u32 v12, v12, 0, s5
	v_lshl_add_u32 v12, v12, 4, v11
	ds_add_u32 v12, v10
	s_add_i32 s4, s4, 8
	s_add_i32 s3, s3, -8
	s_cmp_lt_u32 s4, s21
	v_add_u32_e32 v11, 0x1000, v11
	s_cbranch_scc1 .LBB71_52
; %bb.53:
	v_xor_b32_e32 v3, 0xffff8000, v6
	v_mov_b32_e32 v10, 1
	s_mov_b32 s3, s2
	v_mov_b32_e32 v11, v2
	s_mov_b32 s4, s20
.LBB71_54:                              ; =>This Inner Loop Header: Depth=1
	s_min_u32 s5, s3, 8
	v_lshrrev_b32_sdwa v12, s4, v3 dst_sel:DWORD dst_unused:UNUSED_PAD src0_sel:DWORD src1_sel:WORD_0
	v_bfe_u32 v12, v12, 0, s5
	v_lshl_add_u32 v12, v12, 4, v11
	ds_add_u32 v12, v10
	s_add_i32 s4, s4, 8
	s_add_i32 s3, s3, -8
	s_cmp_lt_u32 s4, s21
	v_add_u32_e32 v11, 0x1000, v11
	s_cbranch_scc1 .LBB71_54
; %bb.55:
	v_xor_b32_e32 v3, 0xffff8000, v7
	v_mov_b32_e32 v10, 1
	s_mov_b32 s3, s2
	v_mov_b32_e32 v11, v2
	s_mov_b32 s4, s20
.LBB71_56:                              ; =>This Inner Loop Header: Depth=1
	s_min_u32 s5, s3, 8
	v_lshrrev_b32_sdwa v12, s4, v3 dst_sel:DWORD dst_unused:UNUSED_PAD src0_sel:DWORD src1_sel:WORD_0
	v_bfe_u32 v12, v12, 0, s5
	v_lshl_add_u32 v12, v12, 4, v11
	ds_add_u32 v12, v10
	s_add_i32 s4, s4, 8
	s_add_i32 s3, s3, -8
	s_cmp_lt_u32 s4, s21
	v_add_u32_e32 v11, 0x1000, v11
	s_cbranch_scc1 .LBB71_56
; %bb.57:
	s_waitcnt vmcnt(0)
	v_xor_b32_e32 v3, 0xffff8000, v8
	v_mov_b32_e32 v10, 1
	s_mov_b32 s3, s20
.LBB71_58:                              ; =>This Inner Loop Header: Depth=1
	s_min_u32 s4, s2, 8
	v_lshrrev_b32_sdwa v11, s3, v3 dst_sel:DWORD dst_unused:UNUSED_PAD src0_sel:DWORD src1_sel:WORD_0
	v_bfe_u32 v11, v11, 0, s4
	v_lshl_add_u32 v11, v11, 4, v2
	ds_add_u32 v11, v10
	s_add_i32 s3, s3, 8
	s_add_i32 s2, s2, -8
	s_cmp_lt_u32 s3, s21
	v_add_u32_e32 v2, 0x1000, v2
	s_cbranch_scc1 .LBB71_58
.LBB71_59:
	s_and_b64 vcc, exec, s[0:1]
	s_waitcnt lgkmcnt(0)
	s_barrier
	s_cbranch_vccz .LBB71_64
; %bb.60:
	s_movk_i32 s0, 0x100
	v_cmp_gt_u32_e32 vcc, s0, v0
	v_lshlrev_b32_e32 v10, 4, v0
	v_mov_b32_e32 v3, 0
	v_mov_b32_e32 v2, v0
	s_branch .LBB71_62
.LBB71_61:                              ;   in Loop: Header=BB71_62 Depth=1
	s_or_b64 exec, exec, s[2:3]
	s_add_i32 s20, s20, 8
	v_add_u32_e32 v2, 0x100, v2
	s_cmp_ge_u32 s20, s21
	v_add_u32_e32 v10, 0x1000, v10
	s_cbranch_scc1 .LBB71_64
.LBB71_62:                              ; =>This Inner Loop Header: Depth=1
	s_and_saveexec_b64 s[2:3], vcc
	s_cbranch_execz .LBB71_61
; %bb.63:                               ;   in Loop: Header=BB71_62 Depth=1
	ds_read2_b32 v[12:13], v10 offset1:1
	ds_read2_b32 v[14:15], v10 offset0:2 offset1:3
	v_lshlrev_b64 v[16:17], 3, v[2:3]
	v_mov_b32_e32 v11, s15
	s_waitcnt lgkmcnt(1)
	v_add_u32_e32 v12, v13, v12
	s_waitcnt lgkmcnt(0)
	v_add3_u32 v12, v12, v14, v15
	v_add_co_u32_e64 v14, s[0:1], s14, v16
	v_addc_co_u32_e64 v15, s[0:1], v11, v17, s[0:1]
	v_mov_b32_e32 v13, v3
	global_atomic_add_x2 v[14:15], v[12:13], off
	s_branch .LBB71_61
.LBB71_64:
	s_mov_b64 s[0:1], 0
.LBB71_65:
	s_and_b64 vcc, exec, s[0:1]
	s_cbranch_vccz .LBB71_68
; %bb.66:
	s_waitcnt vmcnt(1)
	v_xor_b32_e32 v2, 0xffff8000, v9
	v_and_b32_e32 v2, 0xffff, v2
	v_xor_b32_e32 v3, 0xffff8000, v4
	v_xor_b32_e32 v4, 0xffff8000, v5
	;; [unrolled: 1-line block ×4, first 2 shown]
	s_waitcnt vmcnt(0)
	v_xor_b32_e32 v7, 0xffff8000, v8
	v_and_b32_e32 v8, 3, v0
	v_lshlrev_b32_e32 v9, 2, v2
	s_movk_i32 s0, 0x3fc
	v_and_or_b32 v9, v9, s0, v8
	v_bfe_u32 v2, v2, 8, 8
	v_lshlrev_b32_e32 v9, 2, v9
	v_mov_b32_e32 v10, 1
	v_lshl_or_b32 v2, v2, 2, v8
	s_barrier
	ds_add_u32 v9, v10
	v_lshlrev_b32_e32 v2, 2, v2
	ds_add_u32 v2, v10 offset:4096
	v_and_b32_e32 v2, 0xffff, v3
	v_lshlrev_b32_e32 v3, 2, v2
	v_and_or_b32 v3, v3, s0, v8
	v_bfe_u32 v2, v2, 8, 8
	v_lshlrev_b32_e32 v3, 2, v3
	v_lshl_or_b32 v2, v2, 2, v8
	ds_add_u32 v3, v10
	v_lshlrev_b32_e32 v2, 2, v2
	ds_add_u32 v2, v10 offset:4096
	v_and_b32_e32 v2, 0xffff, v4
	v_lshlrev_b32_e32 v3, 2, v2
	v_and_or_b32 v3, v3, s0, v8
	v_bfe_u32 v2, v2, 8, 8
	v_lshlrev_b32_e32 v3, 2, v3
	v_lshl_or_b32 v2, v2, 2, v8
	;; [unrolled: 9-line block ×5, first 2 shown]
	ds_add_u32 v3, v10
	v_lshlrev_b32_e32 v2, 2, v2
	ds_add_u32 v2, v10 offset:4096
	s_movk_i32 s0, 0x100
	v_cmp_gt_u32_e32 vcc, s0, v0
	s_waitcnt lgkmcnt(0)
	s_barrier
	s_and_saveexec_b64 s[0:1], vcc
	s_cbranch_execz .LBB71_68
; %bb.67:
	v_mad_u32_u24 v6, v0, 12, v1
	ds_read2_b32 v[2:3], v6 offset1:1
	ds_read2_b32 v[4:5], v6 offset0:2 offset1:3
	v_lshlrev_b32_e32 v7, 3, v0
	v_mov_b32_e32 v1, 0
	v_add_u32_e32 v8, 0x1000, v6
	s_waitcnt lgkmcnt(1)
	v_add_u32_e32 v0, v3, v2
	s_waitcnt lgkmcnt(0)
	v_add3_u32 v0, v0, v4, v5
	global_atomic_add_x2 v7, v[0:1], s[14:15]
	v_add_u32_e32 v0, 0x1008, v6
	ds_read2_b32 v[2:3], v8 offset1:1
	ds_read2_b32 v[4:5], v0 offset1:1
	s_waitcnt lgkmcnt(1)
	v_add_u32_e32 v0, v3, v2
	s_waitcnt lgkmcnt(0)
	v_add3_u32 v0, v0, v4, v5
	global_atomic_add_x2 v7, v[0:1], s[14:15] offset:2048
.LBB71_68:
	s_endpgm
	.section	.rodata,"a",@progbits
	.p2align	6, 0x0
	.amdhsa_kernel _ZN7rocprim17ROCPRIM_304000_NS6detail26onesweep_histograms_kernelINS1_34wrapped_radix_sort_onesweep_configINS0_14default_configEsN2at4cuda3cub6detail10OpaqueTypeILi8EEEEELb0EPKsmNS0_19identity_decomposerEEEvT1_PT2_SG_SG_T3_jj
		.amdhsa_group_segment_fixed_size 8192
		.amdhsa_private_segment_fixed_size 0
		.amdhsa_kernarg_size 44
		.amdhsa_user_sgpr_count 6
		.amdhsa_user_sgpr_private_segment_buffer 1
		.amdhsa_user_sgpr_dispatch_ptr 0
		.amdhsa_user_sgpr_queue_ptr 0
		.amdhsa_user_sgpr_kernarg_segment_ptr 1
		.amdhsa_user_sgpr_dispatch_id 0
		.amdhsa_user_sgpr_flat_scratch_init 0
		.amdhsa_user_sgpr_kernarg_preload_length 0
		.amdhsa_user_sgpr_kernarg_preload_offset 0
		.amdhsa_user_sgpr_private_segment_size 0
		.amdhsa_uses_dynamic_stack 0
		.amdhsa_system_sgpr_private_segment_wavefront_offset 0
		.amdhsa_system_sgpr_workgroup_id_x 1
		.amdhsa_system_sgpr_workgroup_id_y 0
		.amdhsa_system_sgpr_workgroup_id_z 0
		.amdhsa_system_sgpr_workgroup_info 0
		.amdhsa_system_vgpr_workitem_id 0
		.amdhsa_next_free_vgpr 18
		.amdhsa_next_free_sgpr 26
		.amdhsa_accum_offset 20
		.amdhsa_reserve_vcc 1
		.amdhsa_reserve_flat_scratch 0
		.amdhsa_float_round_mode_32 0
		.amdhsa_float_round_mode_16_64 0
		.amdhsa_float_denorm_mode_32 3
		.amdhsa_float_denorm_mode_16_64 3
		.amdhsa_dx10_clamp 1
		.amdhsa_ieee_mode 1
		.amdhsa_fp16_overflow 0
		.amdhsa_tg_split 0
		.amdhsa_exception_fp_ieee_invalid_op 0
		.amdhsa_exception_fp_denorm_src 0
		.amdhsa_exception_fp_ieee_div_zero 0
		.amdhsa_exception_fp_ieee_overflow 0
		.amdhsa_exception_fp_ieee_underflow 0
		.amdhsa_exception_fp_ieee_inexact 0
		.amdhsa_exception_int_div_zero 0
	.end_amdhsa_kernel
	.section	.text._ZN7rocprim17ROCPRIM_304000_NS6detail26onesweep_histograms_kernelINS1_34wrapped_radix_sort_onesweep_configINS0_14default_configEsN2at4cuda3cub6detail10OpaqueTypeILi8EEEEELb0EPKsmNS0_19identity_decomposerEEEvT1_PT2_SG_SG_T3_jj,"axG",@progbits,_ZN7rocprim17ROCPRIM_304000_NS6detail26onesweep_histograms_kernelINS1_34wrapped_radix_sort_onesweep_configINS0_14default_configEsN2at4cuda3cub6detail10OpaqueTypeILi8EEEEELb0EPKsmNS0_19identity_decomposerEEEvT1_PT2_SG_SG_T3_jj,comdat
.Lfunc_end71:
	.size	_ZN7rocprim17ROCPRIM_304000_NS6detail26onesweep_histograms_kernelINS1_34wrapped_radix_sort_onesweep_configINS0_14default_configEsN2at4cuda3cub6detail10OpaqueTypeILi8EEEEELb0EPKsmNS0_19identity_decomposerEEEvT1_PT2_SG_SG_T3_jj, .Lfunc_end71-_ZN7rocprim17ROCPRIM_304000_NS6detail26onesweep_histograms_kernelINS1_34wrapped_radix_sort_onesweep_configINS0_14default_configEsN2at4cuda3cub6detail10OpaqueTypeILi8EEEEELb0EPKsmNS0_19identity_decomposerEEEvT1_PT2_SG_SG_T3_jj
                                        ; -- End function
	.section	.AMDGPU.csdata,"",@progbits
; Kernel info:
; codeLenInByte = 2744
; NumSgprs: 30
; NumVgprs: 18
; NumAgprs: 0
; TotalNumVgprs: 18
; ScratchSize: 0
; MemoryBound: 0
; FloatMode: 240
; IeeeMode: 1
; LDSByteSize: 8192 bytes/workgroup (compile time only)
; SGPRBlocks: 3
; VGPRBlocks: 2
; NumSGPRsForWavesPerEU: 30
; NumVGPRsForWavesPerEU: 18
; AccumOffset: 20
; Occupancy: 8
; WaveLimiterHint : 1
; COMPUTE_PGM_RSRC2:SCRATCH_EN: 0
; COMPUTE_PGM_RSRC2:USER_SGPR: 6
; COMPUTE_PGM_RSRC2:TRAP_HANDLER: 0
; COMPUTE_PGM_RSRC2:TGID_X_EN: 1
; COMPUTE_PGM_RSRC2:TGID_Y_EN: 0
; COMPUTE_PGM_RSRC2:TGID_Z_EN: 0
; COMPUTE_PGM_RSRC2:TIDIG_COMP_CNT: 0
; COMPUTE_PGM_RSRC3_GFX90A:ACCUM_OFFSET: 4
; COMPUTE_PGM_RSRC3_GFX90A:TG_SPLIT: 0
	.section	.text._ZN7rocprim17ROCPRIM_304000_NS6detail25onesweep_iteration_kernelINS1_34wrapped_radix_sort_onesweep_configINS0_14default_configEsN2at4cuda3cub6detail10OpaqueTypeILi8EEEEELb0EPKsPsPKSA_PSA_mNS0_19identity_decomposerEEEvT1_T2_T3_T4_jPT5_SO_PNS1_23onesweep_lookback_stateET6_jjj,"axG",@progbits,_ZN7rocprim17ROCPRIM_304000_NS6detail25onesweep_iteration_kernelINS1_34wrapped_radix_sort_onesweep_configINS0_14default_configEsN2at4cuda3cub6detail10OpaqueTypeILi8EEEEELb0EPKsPsPKSA_PSA_mNS0_19identity_decomposerEEEvT1_T2_T3_T4_jPT5_SO_PNS1_23onesweep_lookback_stateET6_jjj,comdat
	.protected	_ZN7rocprim17ROCPRIM_304000_NS6detail25onesweep_iteration_kernelINS1_34wrapped_radix_sort_onesweep_configINS0_14default_configEsN2at4cuda3cub6detail10OpaqueTypeILi8EEEEELb0EPKsPsPKSA_PSA_mNS0_19identity_decomposerEEEvT1_T2_T3_T4_jPT5_SO_PNS1_23onesweep_lookback_stateET6_jjj ; -- Begin function _ZN7rocprim17ROCPRIM_304000_NS6detail25onesweep_iteration_kernelINS1_34wrapped_radix_sort_onesweep_configINS0_14default_configEsN2at4cuda3cub6detail10OpaqueTypeILi8EEEEELb0EPKsPsPKSA_PSA_mNS0_19identity_decomposerEEEvT1_T2_T3_T4_jPT5_SO_PNS1_23onesweep_lookback_stateET6_jjj
	.globl	_ZN7rocprim17ROCPRIM_304000_NS6detail25onesweep_iteration_kernelINS1_34wrapped_radix_sort_onesweep_configINS0_14default_configEsN2at4cuda3cub6detail10OpaqueTypeILi8EEEEELb0EPKsPsPKSA_PSA_mNS0_19identity_decomposerEEEvT1_T2_T3_T4_jPT5_SO_PNS1_23onesweep_lookback_stateET6_jjj
	.p2align	8
	.type	_ZN7rocprim17ROCPRIM_304000_NS6detail25onesweep_iteration_kernelINS1_34wrapped_radix_sort_onesweep_configINS0_14default_configEsN2at4cuda3cub6detail10OpaqueTypeILi8EEEEELb0EPKsPsPKSA_PSA_mNS0_19identity_decomposerEEEvT1_T2_T3_T4_jPT5_SO_PNS1_23onesweep_lookback_stateET6_jjj,@function
_ZN7rocprim17ROCPRIM_304000_NS6detail25onesweep_iteration_kernelINS1_34wrapped_radix_sort_onesweep_configINS0_14default_configEsN2at4cuda3cub6detail10OpaqueTypeILi8EEEEELb0EPKsPsPKSA_PSA_mNS0_19identity_decomposerEEEvT1_T2_T3_T4_jPT5_SO_PNS1_23onesweep_lookback_stateET6_jjj: ; @_ZN7rocprim17ROCPRIM_304000_NS6detail25onesweep_iteration_kernelINS1_34wrapped_radix_sort_onesweep_configINS0_14default_configEsN2at4cuda3cub6detail10OpaqueTypeILi8EEEEELb0EPKsPsPKSA_PSA_mNS0_19identity_decomposerEEEvT1_T2_T3_T4_jPT5_SO_PNS1_23onesweep_lookback_stateET6_jjj
; %bb.0:
	s_load_dwordx4 s[48:51], s[4:5], 0x44
	s_load_dwordx8 s[36:43], s[4:5], 0x0
	s_load_dwordx4 s[44:47], s[4:5], 0x28
	s_load_dwordx2 s[34:35], s[4:5], 0x38
	s_mul_i32 s30, s6, 0x1800
	s_waitcnt lgkmcnt(0)
	s_cmp_ge_u32 s6, s50
	v_mbcnt_lo_u32_b32 v1, -1, 0
	s_cbranch_scc0 .LBB72_86
; %bb.1:
	s_load_dword s2, s[4:5], 0x20
	s_mulk_i32 s50, 0xe800
	s_mov_b32 s31, 0
	v_and_b32_e32 v6, 0x3ff, v0
	s_lshl_b64 s[0:1], s[30:31], 1
	s_waitcnt lgkmcnt(0)
	s_add_i32 s50, s50, s2
	s_add_u32 s0, s36, s0
	v_mbcnt_hi_u32_b32 v12, -1, v1
	v_and_b32_e32 v2, 0x3c0, v6
	s_addc_u32 s1, s37, s1
	v_mul_u32_u24_e32 v7, 6, v2
	v_lshlrev_b32_e32 v2, 1, v12
	v_mov_b32_e32 v3, s1
	v_add_co_u32_e32 v2, vcc, s0, v2
	v_addc_co_u32_e32 v3, vcc, 0, v3, vcc
	v_lshlrev_b32_e32 v4, 1, v7
	s_mov_b32 s0, 0x7fff7fff
	v_add_co_u32_e32 v8, vcc, v2, v4
	s_mov_b32 s2, s0
	v_addc_co_u32_e32 v9, vcc, 0, v3, vcc
	v_or_b32_e32 v10, v12, v7
	s_mov_b32 s1, s0
	v_pk_mov_b32 v[4:5], s[2:3], s[2:3] op_sel:[0,1]
	v_cmp_gt_u32_e32 vcc, s50, v10
	v_pk_mov_b32 v[2:3], s[0:1], s[0:1] op_sel:[0,1]
	s_and_saveexec_b64 s[0:1], vcc
	s_cbranch_execz .LBB72_3
; %bb.2:
	global_load_ushort v2, v[8:9], off
	s_movk_i32 s2, 0x7fff
	v_mov_b32_e32 v4, 0x5040100
	v_mov_b32_e32 v3, 0x7fff7fff
	s_waitcnt vmcnt(0)
	v_perm_b32 v2, s2, v2, v4
	v_mov_b32_e32 v4, v3
.LBB72_3:
	s_or_b64 exec, exec, s[0:1]
	v_add_u32_e32 v5, 64, v10
	v_cmp_gt_u32_e64 s[0:1], s50, v5
	s_and_saveexec_b64 s[2:3], s[0:1]
	s_cbranch_execz .LBB72_5
; %bb.4:
	global_load_ushort v5, v[8:9], off offset:128
	s_mov_b32 s7, 0x5040100
	s_waitcnt vmcnt(0)
	v_perm_b32 v2, v5, v2, s7
.LBB72_5:
	s_or_b64 exec, exec, s[2:3]
	v_add_u32_e32 v5, 0x80, v10
	v_cmp_gt_u32_e64 s[2:3], s50, v5
	s_and_saveexec_b64 s[8:9], s[2:3]
	s_cbranch_execz .LBB72_7
; %bb.6:
	global_load_ushort v5, v[8:9], off offset:256
	s_mov_b32 s7, 0xffff
	s_waitcnt vmcnt(0)
	v_bfi_b32 v3, s7, v5, v3
.LBB72_7:
	s_or_b64 exec, exec, s[8:9]
	v_add_u32_e32 v5, 0xc0, v10
	v_cmp_gt_u32_e64 s[26:27], s50, v5
	s_and_saveexec_b64 s[8:9], s[26:27]
	s_cbranch_execz .LBB72_9
; %bb.8:
	global_load_ushort v5, v[8:9], off offset:384
	s_mov_b32 s7, 0x5040100
	s_waitcnt vmcnt(0)
	v_perm_b32 v3, v5, v3, s7
.LBB72_9:
	s_or_b64 exec, exec, s[8:9]
	v_add_u32_e32 v5, 0x100, v10
	v_cmp_gt_u32_e64 s[8:9], s50, v5
	s_and_saveexec_b64 s[10:11], s[8:9]
	s_cbranch_execz .LBB72_11
; %bb.10:
	global_load_ushort v5, v[8:9], off offset:512
	s_mov_b32 s7, 0xffff
	s_waitcnt vmcnt(0)
	v_bfi_b32 v4, s7, v5, v4
.LBB72_11:
	s_or_b64 exec, exec, s[10:11]
	v_add_u32_e32 v5, 0x140, v10
	v_cmp_gt_u32_e64 s[10:11], s50, v5
	s_and_saveexec_b64 s[12:13], s[10:11]
	s_cbranch_execz .LBB72_13
; %bb.12:
	global_load_ushort v5, v[8:9], off offset:640
	s_mov_b32 s7, 0x5040100
	s_waitcnt vmcnt(0)
	v_perm_b32 v4, v5, v4, s7
.LBB72_13:
	s_or_b64 exec, exec, s[12:13]
	s_load_dword s12, s[4:5], 0x5c
	s_load_dword s7, s[4:5], 0x50
	s_add_u32 s13, s4, 0x50
	s_addc_u32 s14, s5, 0
	v_mov_b32_e32 v8, 0
	s_waitcnt lgkmcnt(0)
	s_lshr_b32 s15, s12, 16
	s_cmp_lt_u32 s6, s7
	s_cselect_b32 s12, 12, 18
	s_add_u32 s12, s13, s12
	s_addc_u32 s13, s14, 0
	global_load_ushort v5, v8, s[12:13]
	v_xor_b32_e32 v13, 0xffff8000, v2
	v_mul_u32_u24_e32 v11, 5, v6
	s_lshl_b32 s12, -1, s49
	v_lshlrev_b32_e32 v14, 2, v11
	v_lshrrev_b32_sdwa v11, s48, v13 dst_sel:DWORD dst_unused:UNUSED_PAD src0_sel:DWORD src1_sel:WORD_0
	s_not_b32 s33, s12
	v_and_b32_e32 v11, s33, v11
	v_and_b32_e32 v16, 1, v11
	v_bfe_u32 v9, v0, 10, 10
	v_bfe_u32 v10, v0, 20, 10
	v_add_co_u32_e64 v17, s[12:13], -1, v16
	v_mad_u32_u24 v10, v10, s15, v9
	v_lshlrev_b32_e32 v9, 30, v11
	v_addc_co_u32_e64 v18, s[12:13], 0, -1, s[12:13]
	v_cmp_ne_u32_e64 s[12:13], 0, v16
	v_cmp_gt_i64_e64 s[14:15], 0, v[8:9]
	v_not_b32_e32 v16, v9
	v_lshlrev_b32_e32 v9, 29, v11
	v_xor_b32_e32 v18, s13, v18
	v_xor_b32_e32 v17, s12, v17
	v_ashrrev_i32_e32 v16, 31, v16
	v_cmp_gt_i64_e64 s[12:13], 0, v[8:9]
	v_not_b32_e32 v19, v9
	v_lshlrev_b32_e32 v9, 28, v11
	v_and_b32_e32 v18, exec_hi, v18
	v_and_b32_e32 v17, exec_lo, v17
	v_xor_b32_e32 v20, s15, v16
	v_xor_b32_e32 v16, s14, v16
	v_ashrrev_i32_e32 v19, 31, v19
	v_cmp_gt_i64_e64 s[14:15], 0, v[8:9]
	v_not_b32_e32 v21, v9
	v_lshlrev_b32_e32 v9, 27, v11
	v_and_b32_e32 v18, v18, v20
	v_and_b32_e32 v16, v17, v16
	v_xor_b32_e32 v17, s13, v19
	v_xor_b32_e32 v19, s12, v19
	v_ashrrev_i32_e32 v20, 31, v21
	v_cmp_gt_i64_e64 s[12:13], 0, v[8:9]
	v_not_b32_e32 v21, v9
	v_lshlrev_b32_e32 v9, 26, v11
	v_and_b32_e32 v17, v18, v17
	v_and_b32_e32 v16, v16, v19
	;; [unrolled: 8-line block ×3, first 2 shown]
	v_xor_b32_e32 v18, s13, v20
	v_xor_b32_e32 v19, s12, v20
	v_ashrrev_i32_e32 v20, 31, v21
	v_not_b32_e32 v21, v9
	v_mul_u32_u24_e32 v15, 17, v11
	v_cmp_gt_i64_e64 s[12:13], 0, v[8:9]
	v_lshlrev_b32_e32 v9, 24, v11
	v_and_b32_e32 v11, v17, v18
	v_and_b32_e32 v16, v16, v19
	v_xor_b32_e32 v17, s15, v20
	v_ashrrev_i32_e32 v19, 31, v21
	v_xor_b32_e32 v18, s14, v20
	v_cmp_gt_i64_e64 s[14:15], 0, v[8:9]
	v_and_b32_e32 v11, v11, v17
	v_xor_b32_e32 v17, s13, v19
	v_not_b32_e32 v9, v9
	v_and_b32_e32 v16, v16, v18
	v_xor_b32_e32 v18, s12, v19
	v_and_b32_e32 v17, v11, v17
	v_ashrrev_i32_e32 v9, 31, v9
	v_and_b32_e32 v16, v16, v18
	s_movk_i32 s16, 0x8000
	ds_write2_b32 v14, v8, v8 offset0:16 offset1:17
	ds_write2_b32 v14, v8, v8 offset0:18 offset1:19
	ds_write_b32 v14, v8 offset:80
	s_waitcnt lgkmcnt(0)
	s_barrier
	s_waitcnt vmcnt(0)
	v_mad_u64_u32 v[10:11], s[12:13], v10, v5, v[6:7]
	v_lshrrev_b32_e32 v5, 6, v10
	v_xor_b32_e32 v10, s15, v9
	v_xor_b32_e32 v9, s14, v9
	v_and_b32_e32 v11, v17, v10
	v_and_b32_e32 v10, v16, v9
	v_mbcnt_lo_u32_b32 v9, v10, 0
	v_add_lshl_u32 v18, v5, v15, 2
	v_mbcnt_hi_u32_b32 v15, v11, v9
	v_cmp_eq_u32_e64 s[12:13], 0, v15
	v_cmp_ne_u64_e64 s[14:15], 0, v[10:11]
	s_and_b64 s[14:15], s[14:15], s[12:13]
	; wave barrier
	s_and_saveexec_b64 s[12:13], s[14:15]
	s_cbranch_execz .LBB72_15
; %bb.14:
	v_bcnt_u32_b32 v9, v10, 0
	v_bcnt_u32_b32 v9, v11, v9
	ds_write_b32 v18, v9 offset:64
.LBB72_15:
	s_or_b64 exec, exec, s[12:13]
	v_xor_b32_sdwa v16, v2, s16 dst_sel:DWORD dst_unused:UNUSED_PAD src0_sel:WORD_1 src1_sel:DWORD
	v_lshrrev_b32_sdwa v2, s48, v16 dst_sel:DWORD dst_unused:UNUSED_PAD src0_sel:DWORD src1_sel:WORD_0
	v_and_b32_e32 v2, s33, v2
	v_mul_u32_u24_e32 v9, 17, v2
	v_add_lshl_u32 v19, v5, v9, 2
	v_and_b32_e32 v9, 1, v2
	v_add_co_u32_e64 v10, s[12:13], -1, v9
	v_addc_co_u32_e64 v11, s[12:13], 0, -1, s[12:13]
	v_cmp_ne_u32_e64 s[12:13], 0, v9
	v_xor_b32_e32 v9, s13, v11
	v_and_b32_e32 v11, exec_hi, v9
	v_lshlrev_b32_e32 v9, 30, v2
	v_xor_b32_e32 v10, s12, v10
	v_cmp_gt_i64_e64 s[12:13], 0, v[8:9]
	v_not_b32_e32 v9, v9
	v_ashrrev_i32_e32 v9, 31, v9
	v_and_b32_e32 v10, exec_lo, v10
	v_xor_b32_e32 v20, s13, v9
	v_xor_b32_e32 v9, s12, v9
	v_and_b32_e32 v10, v10, v9
	v_lshlrev_b32_e32 v9, 29, v2
	v_cmp_gt_i64_e64 s[12:13], 0, v[8:9]
	v_not_b32_e32 v9, v9
	v_ashrrev_i32_e32 v9, 31, v9
	v_and_b32_e32 v11, v11, v20
	v_xor_b32_e32 v20, s13, v9
	v_xor_b32_e32 v9, s12, v9
	v_and_b32_e32 v10, v10, v9
	v_lshlrev_b32_e32 v9, 28, v2
	v_cmp_gt_i64_e64 s[12:13], 0, v[8:9]
	v_not_b32_e32 v9, v9
	v_ashrrev_i32_e32 v9, 31, v9
	v_and_b32_e32 v11, v11, v20
	;; [unrolled: 8-line block ×5, first 2 shown]
	v_xor_b32_e32 v20, s13, v9
	v_xor_b32_e32 v9, s12, v9
	v_and_b32_e32 v10, v10, v9
	v_lshlrev_b32_e32 v9, 24, v2
	v_not_b32_e32 v2, v9
	v_cmp_gt_i64_e64 s[12:13], 0, v[8:9]
	v_ashrrev_i32_e32 v2, 31, v2
	v_and_b32_e32 v11, v11, v20
	v_xor_b32_e32 v8, s13, v2
	v_xor_b32_e32 v2, s12, v2
	; wave barrier
	ds_read_b32 v17, v19 offset:64
	v_and_b32_e32 v9, v11, v8
	v_and_b32_e32 v8, v10, v2
	v_mbcnt_lo_u32_b32 v2, v8, 0
	v_mbcnt_hi_u32_b32 v21, v9, v2
	v_cmp_eq_u32_e64 s[12:13], 0, v21
	v_cmp_ne_u64_e64 s[14:15], 0, v[8:9]
	s_and_b64 s[14:15], s[14:15], s[12:13]
	; wave barrier
	s_and_saveexec_b64 s[12:13], s[14:15]
	s_cbranch_execz .LBB72_17
; %bb.16:
	v_bcnt_u32_b32 v2, v8, 0
	v_bcnt_u32_b32 v2, v9, v2
	s_waitcnt lgkmcnt(0)
	v_add_u32_e32 v2, v17, v2
	ds_write_b32 v19, v2 offset:64
.LBB72_17:
	s_or_b64 exec, exec, s[12:13]
	v_xor_b32_e32 v22, 0xffff8000, v3
	v_lshrrev_b32_sdwa v2, s48, v22 dst_sel:DWORD dst_unused:UNUSED_PAD src0_sel:DWORD src1_sel:WORD_0
	v_and_b32_e32 v2, s33, v2
	v_and_b32_e32 v9, 1, v2
	v_add_co_u32_e64 v10, s[12:13], -1, v9
	v_addc_co_u32_e64 v11, s[12:13], 0, -1, s[12:13]
	v_cmp_ne_u32_e64 s[12:13], 0, v9
	v_mul_u32_u24_e32 v8, 17, v2
	v_xor_b32_e32 v9, s13, v11
	v_add_lshl_u32 v20, v5, v8, 2
	v_mov_b32_e32 v8, 0
	v_and_b32_e32 v11, exec_hi, v9
	v_lshlrev_b32_e32 v9, 30, v2
	v_xor_b32_e32 v10, s12, v10
	v_cmp_gt_i64_e64 s[12:13], 0, v[8:9]
	v_not_b32_e32 v9, v9
	v_ashrrev_i32_e32 v9, 31, v9
	v_and_b32_e32 v10, exec_lo, v10
	v_xor_b32_e32 v24, s13, v9
	v_xor_b32_e32 v9, s12, v9
	v_and_b32_e32 v10, v10, v9
	v_lshlrev_b32_e32 v9, 29, v2
	v_cmp_gt_i64_e64 s[12:13], 0, v[8:9]
	v_not_b32_e32 v9, v9
	v_ashrrev_i32_e32 v9, 31, v9
	v_and_b32_e32 v11, v11, v24
	v_xor_b32_e32 v24, s13, v9
	v_xor_b32_e32 v9, s12, v9
	v_and_b32_e32 v10, v10, v9
	v_lshlrev_b32_e32 v9, 28, v2
	v_cmp_gt_i64_e64 s[12:13], 0, v[8:9]
	v_not_b32_e32 v9, v9
	v_ashrrev_i32_e32 v9, 31, v9
	v_and_b32_e32 v11, v11, v24
	;; [unrolled: 8-line block ×5, first 2 shown]
	v_xor_b32_e32 v24, s13, v9
	v_xor_b32_e32 v9, s12, v9
	v_and_b32_e32 v10, v10, v9
	v_lshlrev_b32_e32 v9, 24, v2
	v_not_b32_e32 v2, v9
	v_cmp_gt_i64_e64 s[12:13], 0, v[8:9]
	v_ashrrev_i32_e32 v2, 31, v2
	v_xor_b32_e32 v9, s13, v2
	v_xor_b32_e32 v2, s12, v2
	; wave barrier
	ds_read_b32 v23, v20 offset:64
	v_and_b32_e32 v11, v11, v24
	v_and_b32_e32 v10, v10, v2
	;; [unrolled: 1-line block ×3, first 2 shown]
	v_mbcnt_lo_u32_b32 v2, v10, 0
	v_mbcnt_hi_u32_b32 v24, v11, v2
	v_cmp_eq_u32_e64 s[12:13], 0, v24
	v_cmp_ne_u64_e64 s[14:15], 0, v[10:11]
	s_and_b64 s[14:15], s[14:15], s[12:13]
	; wave barrier
	s_and_saveexec_b64 s[12:13], s[14:15]
	s_cbranch_execz .LBB72_19
; %bb.18:
	v_bcnt_u32_b32 v2, v10, 0
	v_bcnt_u32_b32 v2, v11, v2
	s_waitcnt lgkmcnt(0)
	v_add_u32_e32 v2, v23, v2
	ds_write_b32 v20, v2 offset:64
.LBB72_19:
	s_or_b64 exec, exec, s[12:13]
	v_xor_b32_sdwa v10, v3, s16 dst_sel:DWORD dst_unused:UNUSED_PAD src0_sel:WORD_1 src1_sel:DWORD
	v_lshrrev_b32_sdwa v2, s48, v10 dst_sel:DWORD dst_unused:UNUSED_PAD src0_sel:DWORD src1_sel:WORD_0
	v_and_b32_e32 v2, s33, v2
	v_mul_u32_u24_e32 v3, 17, v2
	v_add_lshl_u32 v25, v5, v3, 2
	v_and_b32_e32 v3, 1, v2
	v_add_co_u32_e64 v9, s[12:13], -1, v3
	v_addc_co_u32_e64 v26, s[12:13], 0, -1, s[12:13]
	v_cmp_ne_u32_e64 s[12:13], 0, v3
	v_xor_b32_e32 v9, s12, v9
	v_xor_b32_e32 v3, s13, v26
	v_and_b32_e32 v26, exec_lo, v9
	v_lshlrev_b32_e32 v9, 30, v2
	v_cmp_gt_i64_e64 s[12:13], 0, v[8:9]
	v_not_b32_e32 v9, v9
	v_ashrrev_i32_e32 v9, 31, v9
	v_xor_b32_e32 v27, s13, v9
	v_xor_b32_e32 v9, s12, v9
	v_and_b32_e32 v26, v26, v9
	v_lshlrev_b32_e32 v9, 29, v2
	v_cmp_gt_i64_e64 s[12:13], 0, v[8:9]
	v_not_b32_e32 v9, v9
	v_and_b32_e32 v3, exec_hi, v3
	v_ashrrev_i32_e32 v9, 31, v9
	v_and_b32_e32 v3, v3, v27
	v_xor_b32_e32 v27, s13, v9
	v_xor_b32_e32 v9, s12, v9
	v_and_b32_e32 v26, v26, v9
	v_lshlrev_b32_e32 v9, 28, v2
	v_cmp_gt_i64_e64 s[12:13], 0, v[8:9]
	v_not_b32_e32 v9, v9
	v_ashrrev_i32_e32 v9, 31, v9
	v_and_b32_e32 v3, v3, v27
	v_xor_b32_e32 v27, s13, v9
	v_xor_b32_e32 v9, s12, v9
	v_and_b32_e32 v26, v26, v9
	v_lshlrev_b32_e32 v9, 27, v2
	v_cmp_gt_i64_e64 s[12:13], 0, v[8:9]
	v_not_b32_e32 v9, v9
	;; [unrolled: 8-line block ×4, first 2 shown]
	v_ashrrev_i32_e32 v9, 31, v9
	v_and_b32_e32 v3, v3, v27
	v_xor_b32_e32 v27, s13, v9
	v_xor_b32_e32 v9, s12, v9
	v_and_b32_e32 v26, v26, v9
	v_lshlrev_b32_e32 v9, 24, v2
	v_not_b32_e32 v2, v9
	v_cmp_gt_i64_e64 s[12:13], 0, v[8:9]
	v_ashrrev_i32_e32 v2, 31, v2
	v_xor_b32_e32 v8, s13, v2
	v_xor_b32_e32 v2, s12, v2
	; wave barrier
	ds_read_b32 v11, v25 offset:64
	v_and_b32_e32 v3, v3, v27
	v_and_b32_e32 v2, v26, v2
	;; [unrolled: 1-line block ×3, first 2 shown]
	v_mbcnt_lo_u32_b32 v8, v2, 0
	v_mbcnt_hi_u32_b32 v28, v3, v8
	v_cmp_eq_u32_e64 s[12:13], 0, v28
	v_cmp_ne_u64_e64 s[14:15], 0, v[2:3]
	s_and_b64 s[14:15], s[14:15], s[12:13]
	; wave barrier
	s_and_saveexec_b64 s[12:13], s[14:15]
	s_cbranch_execz .LBB72_21
; %bb.20:
	v_bcnt_u32_b32 v2, v2, 0
	v_bcnt_u32_b32 v2, v3, v2
	s_waitcnt lgkmcnt(0)
	v_add_u32_e32 v2, v11, v2
	ds_write_b32 v25, v2 offset:64
.LBB72_21:
	s_or_b64 exec, exec, s[12:13]
	v_xor_b32_e32 v29, 0xffff8000, v4
	v_lshrrev_b32_sdwa v2, s48, v29 dst_sel:DWORD dst_unused:UNUSED_PAD src0_sel:DWORD src1_sel:WORD_0
	v_and_b32_e32 v8, s33, v2
	v_and_b32_e32 v3, 1, v8
	v_add_co_u32_e64 v9, s[12:13], -1, v3
	v_addc_co_u32_e64 v27, s[12:13], 0, -1, s[12:13]
	v_cmp_ne_u32_e64 s[12:13], 0, v3
	v_mul_u32_u24_e32 v2, 17, v8
	v_xor_b32_e32 v3, s13, v27
	v_add_lshl_u32 v26, v5, v2, 2
	v_mov_b32_e32 v2, 0
	v_and_b32_e32 v27, exec_hi, v3
	v_lshlrev_b32_e32 v3, 30, v8
	v_xor_b32_e32 v9, s12, v9
	v_cmp_gt_i64_e64 s[12:13], 0, v[2:3]
	v_not_b32_e32 v3, v3
	v_ashrrev_i32_e32 v3, 31, v3
	v_and_b32_e32 v9, exec_lo, v9
	v_xor_b32_e32 v31, s13, v3
	v_xor_b32_e32 v3, s12, v3
	v_and_b32_e32 v9, v9, v3
	v_lshlrev_b32_e32 v3, 29, v8
	v_cmp_gt_i64_e64 s[12:13], 0, v[2:3]
	v_not_b32_e32 v3, v3
	v_ashrrev_i32_e32 v3, 31, v3
	v_and_b32_e32 v27, v27, v31
	v_xor_b32_e32 v31, s13, v3
	v_xor_b32_e32 v3, s12, v3
	v_and_b32_e32 v9, v9, v3
	v_lshlrev_b32_e32 v3, 28, v8
	v_cmp_gt_i64_e64 s[12:13], 0, v[2:3]
	v_not_b32_e32 v3, v3
	v_ashrrev_i32_e32 v3, 31, v3
	v_and_b32_e32 v27, v27, v31
	;; [unrolled: 8-line block ×5, first 2 shown]
	v_xor_b32_e32 v31, s13, v3
	v_xor_b32_e32 v3, s12, v3
	v_and_b32_e32 v27, v27, v31
	v_and_b32_e32 v31, v9, v3
	v_lshlrev_b32_e32 v3, 24, v8
	v_cmp_gt_i64_e64 s[12:13], 0, v[2:3]
	v_not_b32_e32 v3, v3
	v_ashrrev_i32_e32 v3, 31, v3
	v_xor_b32_e32 v8, s13, v3
	v_xor_b32_e32 v3, s12, v3
	; wave barrier
	ds_read_b32 v30, v26 offset:64
	v_and_b32_e32 v9, v27, v8
	v_and_b32_e32 v8, v31, v3
	v_mbcnt_lo_u32_b32 v3, v8, 0
	v_mbcnt_hi_u32_b32 v31, v9, v3
	v_cmp_eq_u32_e64 s[12:13], 0, v31
	v_cmp_ne_u64_e64 s[14:15], 0, v[8:9]
	s_and_b64 s[14:15], s[14:15], s[12:13]
	; wave barrier
	s_and_saveexec_b64 s[12:13], s[14:15]
	s_cbranch_execz .LBB72_23
; %bb.22:
	v_bcnt_u32_b32 v3, v8, 0
	v_bcnt_u32_b32 v3, v9, v3
	s_waitcnt lgkmcnt(0)
	v_add_u32_e32 v3, v30, v3
	ds_write_b32 v26, v3 offset:64
.LBB72_23:
	s_or_b64 exec, exec, s[12:13]
	v_xor_b32_sdwa v8, v4, s16 dst_sel:DWORD dst_unused:UNUSED_PAD src0_sel:WORD_1 src1_sel:DWORD
	v_lshrrev_b32_sdwa v3, s48, v8 dst_sel:DWORD dst_unused:UNUSED_PAD src0_sel:DWORD src1_sel:WORD_0
	v_and_b32_e32 v4, s33, v3
	v_mul_u32_u24_e32 v3, 17, v4
	v_add_lshl_u32 v27, v5, v3, 2
	v_and_b32_e32 v3, 1, v4
	v_add_co_u32_e64 v5, s[12:13], -1, v3
	v_addc_co_u32_e64 v33, s[12:13], 0, -1, s[12:13]
	v_cmp_ne_u32_e64 s[12:13], 0, v3
	v_xor_b32_e32 v3, s13, v33
	v_and_b32_e32 v33, exec_hi, v3
	v_lshlrev_b32_e32 v3, 30, v4
	v_xor_b32_e32 v5, s12, v5
	v_cmp_gt_i64_e64 s[12:13], 0, v[2:3]
	v_not_b32_e32 v3, v3
	v_ashrrev_i32_e32 v3, 31, v3
	v_and_b32_e32 v5, exec_lo, v5
	v_xor_b32_e32 v34, s13, v3
	v_xor_b32_e32 v3, s12, v3
	v_and_b32_e32 v5, v5, v3
	v_lshlrev_b32_e32 v3, 29, v4
	v_cmp_gt_i64_e64 s[12:13], 0, v[2:3]
	v_not_b32_e32 v3, v3
	v_ashrrev_i32_e32 v3, 31, v3
	v_and_b32_e32 v33, v33, v34
	v_xor_b32_e32 v34, s13, v3
	v_xor_b32_e32 v3, s12, v3
	v_and_b32_e32 v5, v5, v3
	v_lshlrev_b32_e32 v3, 28, v4
	v_cmp_gt_i64_e64 s[12:13], 0, v[2:3]
	v_not_b32_e32 v3, v3
	v_ashrrev_i32_e32 v3, 31, v3
	v_and_b32_e32 v33, v33, v34
	;; [unrolled: 8-line block ×5, first 2 shown]
	v_xor_b32_e32 v34, s13, v3
	v_xor_b32_e32 v3, s12, v3
	v_and_b32_e32 v5, v5, v3
	v_lshlrev_b32_e32 v3, 24, v4
	v_cmp_gt_i64_e64 s[12:13], 0, v[2:3]
	v_not_b32_e32 v2, v3
	v_ashrrev_i32_e32 v2, 31, v2
	v_xor_b32_e32 v3, s13, v2
	v_xor_b32_e32 v2, s12, v2
	; wave barrier
	ds_read_b32 v9, v27 offset:64
	v_and_b32_e32 v33, v33, v34
	v_and_b32_e32 v2, v5, v2
	;; [unrolled: 1-line block ×3, first 2 shown]
	v_mbcnt_lo_u32_b32 v4, v2, 0
	v_mbcnt_hi_u32_b32 v33, v3, v4
	v_cmp_eq_u32_e64 s[12:13], 0, v33
	v_cmp_ne_u64_e64 s[14:15], 0, v[2:3]
	v_add_u32_e32 v32, 64, v14
	s_and_b64 s[14:15], s[14:15], s[12:13]
	; wave barrier
	s_and_saveexec_b64 s[12:13], s[14:15]
	s_cbranch_execz .LBB72_25
; %bb.24:
	v_bcnt_u32_b32 v2, v2, 0
	v_bcnt_u32_b32 v2, v3, v2
	s_waitcnt lgkmcnt(0)
	v_add_u32_e32 v2, v9, v2
	ds_write_b32 v27, v2 offset:64
.LBB72_25:
	s_or_b64 exec, exec, s[12:13]
	; wave barrier
	s_waitcnt lgkmcnt(0)
	s_barrier
	ds_read2_b32 v[4:5], v14 offset0:16 offset1:17
	ds_read2_b32 v[2:3], v32 offset0:2 offset1:3
	ds_read_b32 v34, v32 offset:16
	v_cmp_lt_u32_e64 s[20:21], 31, v12
	s_waitcnt lgkmcnt(1)
	v_add3_u32 v35, v5, v4, v2
	s_waitcnt lgkmcnt(0)
	v_add3_u32 v34, v35, v3, v34
	v_and_b32_e32 v35, 15, v12
	v_cmp_eq_u32_e64 s[12:13], 0, v35
	v_mov_b32_dpp v36, v34 row_shr:1 row_mask:0xf bank_mask:0xf
	v_cndmask_b32_e64 v36, v36, 0, s[12:13]
	v_add_u32_e32 v34, v36, v34
	v_cmp_lt_u32_e64 s[14:15], 1, v35
	v_cmp_lt_u32_e64 s[16:17], 3, v35
	v_mov_b32_dpp v36, v34 row_shr:2 row_mask:0xf bank_mask:0xf
	v_cndmask_b32_e64 v36, 0, v36, s[14:15]
	v_add_u32_e32 v34, v34, v36
	v_cmp_lt_u32_e64 s[18:19], 7, v35
	s_nop 0
	v_mov_b32_dpp v36, v34 row_shr:4 row_mask:0xf bank_mask:0xf
	v_cndmask_b32_e64 v36, 0, v36, s[16:17]
	v_add_u32_e32 v34, v34, v36
	s_nop 1
	v_mov_b32_dpp v36, v34 row_shr:8 row_mask:0xf bank_mask:0xf
	v_cndmask_b32_e64 v35, 0, v36, s[18:19]
	v_add_u32_e32 v34, v34, v35
	v_bfe_i32 v36, v12, 4, 1
	s_nop 0
	v_mov_b32_dpp v35, v34 row_bcast:15 row_mask:0xf bank_mask:0xf
	v_and_b32_e32 v35, v36, v35
	v_add_u32_e32 v34, v34, v35
	v_and_b32_e32 v36, 63, v6
	s_nop 0
	v_mov_b32_dpp v35, v34 row_bcast:31 row_mask:0xf bank_mask:0xf
	v_cndmask_b32_e64 v35, 0, v35, s[20:21]
	v_add_u32_e32 v34, v34, v35
	v_lshrrev_b32_e32 v35, 6, v6
	v_cmp_eq_u32_e64 s[20:21], 63, v36
	s_and_saveexec_b64 s[22:23], s[20:21]
	s_cbranch_execz .LBB72_27
; %bb.26:
	v_lshlrev_b32_e32 v36, 2, v35
	ds_write_b32 v36, v34
.LBB72_27:
	s_or_b64 exec, exec, s[22:23]
	v_cmp_gt_u32_e64 s[20:21], 16, v6
	s_waitcnt lgkmcnt(0)
	s_barrier
	s_and_saveexec_b64 s[22:23], s[20:21]
	s_cbranch_execz .LBB72_29
; %bb.28:
	v_lshlrev_b32_e32 v36, 2, v6
	ds_read_b32 v37, v36
	s_waitcnt lgkmcnt(0)
	s_nop 0
	v_mov_b32_dpp v38, v37 row_shr:1 row_mask:0xf bank_mask:0xf
	v_cndmask_b32_e64 v38, v38, 0, s[12:13]
	v_add_u32_e32 v37, v38, v37
	s_nop 1
	v_mov_b32_dpp v38, v37 row_shr:2 row_mask:0xf bank_mask:0xf
	v_cndmask_b32_e64 v38, 0, v38, s[14:15]
	v_add_u32_e32 v37, v37, v38
	s_nop 1
	v_mov_b32_dpp v38, v37 row_shr:4 row_mask:0xf bank_mask:0xf
	v_cndmask_b32_e64 v38, 0, v38, s[16:17]
	v_add_u32_e32 v37, v37, v38
	s_nop 1
	v_mov_b32_dpp v38, v37 row_shr:8 row_mask:0xf bank_mask:0xf
	v_cndmask_b32_e64 v38, 0, v38, s[18:19]
	v_add_u32_e32 v37, v37, v38
	ds_write_b32 v36, v37
.LBB72_29:
	s_or_b64 exec, exec, s[22:23]
	v_cmp_lt_u32_e64 s[12:13], 63, v6
	v_mov_b32_e32 v36, 0
	s_waitcnt lgkmcnt(0)
	s_barrier
	s_and_saveexec_b64 s[14:15], s[12:13]
	s_cbranch_execz .LBB72_31
; %bb.30:
	v_lshl_add_u32 v35, v35, 2, -4
	ds_read_b32 v36, v35
.LBB72_31:
	s_or_b64 exec, exec, s[14:15]
	v_add_u32_e32 v35, -1, v12
	v_and_b32_e32 v37, 64, v12
	v_cmp_lt_i32_e64 s[12:13], v35, v37
	v_cndmask_b32_e64 v35, v35, v12, s[12:13]
	s_waitcnt lgkmcnt(0)
	v_add_u32_e32 v34, v36, v34
	v_lshlrev_b32_e32 v35, 2, v35
	ds_bpermute_b32 v34, v35, v34
	v_cmp_eq_u32_e64 s[12:13], 0, v12
	s_waitcnt lgkmcnt(0)
	v_cndmask_b32_e64 v34, v34, v36, s[12:13]
	v_cmp_ne_u32_e64 s[12:13], 0, v6
	v_cndmask_b32_e64 v34, 0, v34, s[12:13]
	v_add_u32_e32 v4, v34, v4
	v_add_u32_e32 v5, v4, v5
	;; [unrolled: 1-line block ×4, first 2 shown]
	ds_write2_b32 v14, v34, v4 offset0:16 offset1:17
	ds_write2_b32 v32, v5, v2 offset0:2 offset1:3
	ds_write_b32 v32, v3 offset:16
	s_waitcnt lgkmcnt(0)
	s_barrier
	ds_read_b32 v4, v18 offset:64
	ds_read_b32 v5, v19 offset:64
	;; [unrolled: 1-line block ×6, first 2 shown]
	s_movk_i32 s12, 0x100
	v_cmp_gt_u32_e64 s[12:13], s12, v6
	v_pk_mov_b32 v[2:3], 0, 0
                                        ; implicit-def: $vgpr20
	s_and_saveexec_b64 s[16:17], s[12:13]
	s_cbranch_execz .LBB72_35
; %bb.32:
	v_mul_u32_u24_e32 v2, 17, v6
	v_lshlrev_b32_e32 v20, 2, v2
	ds_read_b32 v2, v20 offset:64
	s_movk_i32 s14, 0xff
	v_cmp_ne_u32_e64 s[14:15], s14, v6
	v_mov_b32_e32 v3, 0x1800
	s_and_saveexec_b64 s[18:19], s[14:15]
	s_cbranch_execz .LBB72_34
; %bb.33:
	ds_read_b32 v3, v20 offset:132
.LBB72_34:
	s_or_b64 exec, exec, s[18:19]
	s_waitcnt lgkmcnt(0)
	v_sub_u32_e32 v20, v3, v2
	v_mov_b32_e32 v3, 0
.LBB72_35:
	s_or_b64 exec, exec, s[16:17]
	s_waitcnt lgkmcnt(5)
	v_add_u32_e32 v27, v4, v15
	s_waitcnt lgkmcnt(4)
	v_add3_u32 v26, v21, v17, v5
	v_lshlrev_b32_e32 v4, 1, v27
	s_waitcnt lgkmcnt(3)
	v_add3_u32 v25, v24, v23, v14
	s_waitcnt lgkmcnt(0)
	s_barrier
	ds_write_b16 v4, v13 offset:2048
	v_lshlrev_b32_e32 v4, 1, v26
	v_add3_u32 v24, v28, v11, v18
	ds_write_b16 v4, v16 offset:2048
	v_lshlrev_b32_e32 v4, 1, v25
	v_add3_u32 v23, v31, v30, v19
	;; [unrolled: 3-line block ×3, first 2 shown]
	ds_write_b16 v4, v10 offset:2048
	v_lshlrev_b32_e32 v4, 1, v23
	ds_write_b16 v4, v29 offset:2048
	v_lshlrev_b32_e32 v4, 1, v21
	ds_write_b16 v4, v8 offset:2048
	s_waitcnt lgkmcnt(0)
	s_barrier
	s_and_saveexec_b64 s[16:17], s[12:13]
	s_cbranch_execz .LBB72_45
; %bb.36:
	v_lshl_or_b32 v4, s6, 8, v6
	v_mov_b32_e32 v5, 0
	v_lshlrev_b64 v[8:9], 2, v[4:5]
	v_mov_b32_e32 v13, s35
	v_add_co_u32_e64 v8, s[14:15], s34, v8
	v_addc_co_u32_e64 v9, s[14:15], v13, v9, s[14:15]
	v_or_b32_e32 v4, 2.0, v20
	s_mov_b64 s[18:19], 0
	s_brev_b32 s24, 1
	s_mov_b32 s25, s6
	v_mov_b32_e32 v14, 0
	global_store_dword v[8:9], v4, off
                                        ; implicit-def: $sgpr14_sgpr15
	s_branch .LBB72_38
.LBB72_37:                              ;   in Loop: Header=BB72_38 Depth=1
	s_or_b64 exec, exec, s[20:21]
	v_and_b32_e32 v10, 0x3fffffff, v15
	v_add_u32_e32 v14, v10, v14
	v_cmp_eq_u32_e64 s[14:15], s24, v4
	s_and_b64 s[20:21], exec, s[14:15]
	s_or_b64 s[18:19], s[20:21], s[18:19]
	s_andn2_b64 exec, exec, s[18:19]
	s_cbranch_execz .LBB72_44
.LBB72_38:                              ; =>This Loop Header: Depth=1
                                        ;     Child Loop BB72_41 Depth 2
	s_or_b64 s[14:15], s[14:15], exec
	s_cmp_eq_u32 s25, 0
	s_cbranch_scc1 .LBB72_43
; %bb.39:                               ;   in Loop: Header=BB72_38 Depth=1
	s_add_i32 s25, s25, -1
	v_lshl_or_b32 v4, s25, 8, v6
	v_lshlrev_b64 v[10:11], 2, v[4:5]
	v_add_co_u32_e64 v10, s[14:15], s34, v10
	v_addc_co_u32_e64 v11, s[14:15], v13, v11, s[14:15]
	global_load_dword v15, v[10:11], off glc
	s_waitcnt vmcnt(0)
	v_and_b32_e32 v4, -2.0, v15
	v_cmp_eq_u32_e64 s[14:15], 0, v4
	s_and_saveexec_b64 s[20:21], s[14:15]
	s_cbranch_execz .LBB72_37
; %bb.40:                               ;   in Loop: Header=BB72_38 Depth=1
	s_mov_b64 s[22:23], 0
.LBB72_41:                              ;   Parent Loop BB72_38 Depth=1
                                        ; =>  This Inner Loop Header: Depth=2
	global_load_dword v15, v[10:11], off glc
	s_waitcnt vmcnt(0)
	v_and_b32_e32 v4, -2.0, v15
	v_cmp_ne_u32_e64 s[14:15], 0, v4
	s_or_b64 s[22:23], s[14:15], s[22:23]
	s_andn2_b64 exec, exec, s[22:23]
	s_cbranch_execnz .LBB72_41
; %bb.42:                               ;   in Loop: Header=BB72_38 Depth=1
	s_or_b64 exec, exec, s[22:23]
	s_branch .LBB72_37
.LBB72_43:                              ;   in Loop: Header=BB72_38 Depth=1
                                        ; implicit-def: $sgpr25
	s_and_b64 s[20:21], exec, s[14:15]
	s_or_b64 s[18:19], s[20:21], s[18:19]
	s_andn2_b64 exec, exec, s[18:19]
	s_cbranch_execnz .LBB72_38
.LBB72_44:
	s_or_b64 exec, exec, s[18:19]
	v_add_u32_e32 v4, v14, v20
	v_or_b32_e32 v4, 0x80000000, v4
	global_store_dword v[8:9], v4, off
	v_lshlrev_b32_e32 v8, 3, v6
	global_load_dwordx2 v[4:5], v8, s[44:45]
	v_sub_co_u32_e64 v9, s[14:15], v14, v2
	v_subb_co_u32_e64 v10, s[14:15], 0, v3, s[14:15]
	s_waitcnt vmcnt(0)
	v_add_co_u32_e64 v4, s[14:15], v9, v4
	v_addc_co_u32_e64 v5, s[14:15], v10, v5, s[14:15]
	ds_write_b64 v8, v[4:5]
.LBB72_45:
	s_or_b64 exec, exec, s[16:17]
	v_cmp_gt_u32_e64 s[14:15], s50, v6
	v_lshlrev_b32_e32 v32, 1, v6
	s_waitcnt lgkmcnt(0)
	s_barrier
	s_and_saveexec_b64 s[18:19], s[14:15]
	s_cbranch_execz .LBB72_47
; %bb.46:
	ds_read_u16 v8, v32 offset:2048
	v_mov_b32_e32 v9, s39
	s_waitcnt lgkmcnt(0)
	v_lshrrev_b32_sdwa v4, s48, v8 dst_sel:DWORD dst_unused:UNUSED_PAD src0_sel:DWORD src1_sel:WORD_0
	v_and_b32_e32 v4, s33, v4
	v_lshlrev_b32_e32 v4, 3, v4
	ds_read_b64 v[4:5], v4
	v_xor_b32_e32 v8, 0xffff8000, v8
	s_waitcnt lgkmcnt(0)
	v_lshlrev_b64 v[4:5], 1, v[4:5]
	v_add_co_u32_e64 v4, s[16:17], s38, v4
	v_addc_co_u32_e64 v5, s[16:17], v9, v5, s[16:17]
	v_add_co_u32_e64 v4, s[16:17], v4, v32
	v_addc_co_u32_e64 v5, s[16:17], 0, v5, s[16:17]
	global_store_short v[4:5], v8, off
.LBB72_47:
	s_or_b64 exec, exec, s[18:19]
	v_or_b32_e32 v22, 0x400, v6
	v_cmp_gt_u32_e64 s[16:17], s50, v22
	s_and_saveexec_b64 s[20:21], s[16:17]
	s_cbranch_execz .LBB72_49
; %bb.48:
	ds_read_u16 v8, v32 offset:4096
	v_mov_b32_e32 v9, s39
	s_waitcnt lgkmcnt(0)
	v_lshrrev_b32_sdwa v4, s48, v8 dst_sel:DWORD dst_unused:UNUSED_PAD src0_sel:DWORD src1_sel:WORD_0
	v_and_b32_e32 v4, s33, v4
	v_lshlrev_b32_e32 v4, 3, v4
	ds_read_b64 v[4:5], v4
	v_xor_b32_e32 v8, 0xffff8000, v8
	s_waitcnt lgkmcnt(0)
	v_lshlrev_b64 v[4:5], 1, v[4:5]
	v_add_co_u32_e64 v4, s[18:19], s38, v4
	v_addc_co_u32_e64 v5, s[18:19], v9, v5, s[18:19]
	v_add_co_u32_e64 v4, s[18:19], v4, v32
	v_addc_co_u32_e64 v5, s[18:19], 0, v5, s[18:19]
	global_store_short v[4:5], v8, off offset:2048
.LBB72_49:
	s_or_b64 exec, exec, s[20:21]
	v_or_b32_e32 v28, 0x800, v6
	v_cmp_gt_u32_e64 s[18:19], s50, v28
	s_and_saveexec_b64 s[22:23], s[18:19]
	s_cbranch_execz .LBB72_51
; %bb.50:
	ds_read_u16 v8, v32 offset:6144
	v_mov_b32_e32 v9, s39
	v_lshlrev_b32_e32 v10, 1, v28
	s_waitcnt lgkmcnt(0)
	v_lshrrev_b32_sdwa v4, s48, v8 dst_sel:DWORD dst_unused:UNUSED_PAD src0_sel:DWORD src1_sel:WORD_0
	v_and_b32_e32 v4, s33, v4
	v_lshlrev_b32_e32 v4, 3, v4
	ds_read_b64 v[4:5], v4
	v_xor_b32_e32 v8, 0xffff8000, v8
	s_waitcnt lgkmcnt(0)
	v_lshlrev_b64 v[4:5], 1, v[4:5]
	v_add_co_u32_e64 v4, s[20:21], s38, v4
	v_addc_co_u32_e64 v5, s[20:21], v9, v5, s[20:21]
	v_add_co_u32_e64 v4, s[20:21], v4, v10
	v_addc_co_u32_e64 v5, s[20:21], 0, v5, s[20:21]
	global_store_short v[4:5], v8, off
.LBB72_51:
	s_or_b64 exec, exec, s[22:23]
	v_or_b32_e32 v29, 0xc00, v6
	v_cmp_gt_u32_e64 s[20:21], s50, v29
	s_and_saveexec_b64 s[24:25], s[20:21]
	s_cbranch_execz .LBB72_53
; %bb.52:
	ds_read_u16 v8, v32 offset:8192
	v_mov_b32_e32 v9, s39
	v_lshlrev_b32_e32 v10, 1, v29
	s_waitcnt lgkmcnt(0)
	v_lshrrev_b32_sdwa v4, s48, v8 dst_sel:DWORD dst_unused:UNUSED_PAD src0_sel:DWORD src1_sel:WORD_0
	v_and_b32_e32 v4, s33, v4
	v_lshlrev_b32_e32 v4, 3, v4
	ds_read_b64 v[4:5], v4
	v_xor_b32_e32 v8, 0xffff8000, v8
	s_waitcnt lgkmcnt(0)
	v_lshlrev_b64 v[4:5], 1, v[4:5]
	v_add_co_u32_e64 v4, s[22:23], s38, v4
	v_addc_co_u32_e64 v5, s[22:23], v9, v5, s[22:23]
	v_add_co_u32_e64 v4, s[22:23], v4, v10
	v_addc_co_u32_e64 v5, s[22:23], 0, v5, s[22:23]
	global_store_short v[4:5], v8, off
.LBB72_53:
	;; [unrolled: 23-line block ×4, first 2 shown]
	s_or_b64 exec, exec, s[50:51]
	s_lshl_b64 s[28:29], s[30:31], 3
	s_add_u32 s28, s40, s28
	s_addc_u32 s29, s41, s29
	v_lshlrev_b32_e32 v4, 3, v12
	v_mov_b32_e32 v5, s29
	v_add_co_u32_e64 v4, s[28:29], s28, v4
	v_addc_co_u32_e64 v5, s[28:29], 0, v5, s[28:29]
	v_lshlrev_b32_e32 v7, 3, v7
	v_add_co_u32_e64 v18, s[28:29], v4, v7
	v_addc_co_u32_e64 v19, s[28:29], 0, v5, s[28:29]
                                        ; implicit-def: $vgpr4_vgpr5
	s_and_saveexec_b64 s[28:29], vcc
	s_xor_b64 s[28:29], exec, s[28:29]
	s_cbranch_execnz .LBB72_127
; %bb.58:
	s_or_b64 exec, exec, s[28:29]
                                        ; implicit-def: $vgpr8_vgpr9
	s_and_saveexec_b64 s[28:29], s[0:1]
	s_cbranch_execnz .LBB72_128
.LBB72_59:
	s_or_b64 exec, exec, s[28:29]
                                        ; implicit-def: $vgpr10_vgpr11
	s_and_saveexec_b64 s[0:1], s[2:3]
	s_cbranch_execnz .LBB72_129
.LBB72_60:
	s_or_b64 exec, exec, s[0:1]
                                        ; implicit-def: $vgpr12_vgpr13
	s_and_saveexec_b64 s[0:1], s[26:27]
	s_cbranch_execnz .LBB72_130
.LBB72_61:
	s_or_b64 exec, exec, s[0:1]
                                        ; implicit-def: $vgpr14_vgpr15
	s_and_saveexec_b64 s[0:1], s[8:9]
	s_cbranch_execnz .LBB72_131
.LBB72_62:
	s_or_b64 exec, exec, s[0:1]
                                        ; implicit-def: $vgpr16_vgpr17
	s_and_saveexec_b64 s[0:1], s[10:11]
	s_cbranch_execz .LBB72_64
.LBB72_63:
	global_load_dwordx2 v[16:17], v[18:19], off offset:2560
.LBB72_64:
	s_or_b64 exec, exec, s[0:1]
	v_mov_b32_e32 v33, 0
	v_mov_b32_e32 v35, 0
	s_and_saveexec_b64 s[0:1], s[14:15]
	s_cbranch_execz .LBB72_66
; %bb.65:
	ds_read_u16 v7, v32 offset:2048
	s_waitcnt lgkmcnt(0)
	v_lshrrev_b32_e32 v7, s48, v7
	v_and_b32_e32 v35, s33, v7
.LBB72_66:
	s_or_b64 exec, exec, s[0:1]
	s_and_saveexec_b64 s[0:1], s[16:17]
	s_cbranch_execz .LBB72_68
; %bb.67:
	ds_read_u16 v7, v32 offset:4096
	s_waitcnt lgkmcnt(0)
	v_lshrrev_b32_e32 v7, s48, v7
	v_and_b32_e32 v33, s33, v7
.LBB72_68:
	s_or_b64 exec, exec, s[0:1]
	v_mov_b32_e32 v18, 0
	v_mov_b32_e32 v34, 0
	s_and_saveexec_b64 s[0:1], s[18:19]
	s_cbranch_execz .LBB72_70
; %bb.69:
	ds_read_u16 v7, v32 offset:6144
	s_waitcnt lgkmcnt(0)
	v_lshrrev_b32_e32 v7, s48, v7
	v_and_b32_e32 v34, s33, v7
.LBB72_70:
	s_or_b64 exec, exec, s[0:1]
	s_and_saveexec_b64 s[0:1], s[20:21]
	s_cbranch_execz .LBB72_72
; %bb.71:
	ds_read_u16 v7, v32 offset:8192
	s_waitcnt lgkmcnt(0)
	v_lshrrev_b32_e32 v7, s48, v7
	v_and_b32_e32 v18, s33, v7
.LBB72_72:
	s_or_b64 exec, exec, s[0:1]
	v_mov_b32_e32 v7, 0
	v_mov_b32_e32 v19, 0
	s_and_saveexec_b64 s[0:1], s[22:23]
	s_cbranch_execz .LBB72_74
; %bb.73:
	ds_read_u16 v19, v32 offset:10240
	s_waitcnt lgkmcnt(0)
	v_lshrrev_b32_e32 v19, s48, v19
	v_and_b32_e32 v19, s33, v19
.LBB72_74:
	s_or_b64 exec, exec, s[0:1]
	s_and_saveexec_b64 s[0:1], s[24:25]
	s_cbranch_execz .LBB72_76
; %bb.75:
	ds_read_u16 v7, v32 offset:12288
	s_waitcnt lgkmcnt(0)
	v_lshrrev_b32_e32 v7, s48, v7
	v_and_b32_e32 v7, s33, v7
.LBB72_76:
	s_or_b64 exec, exec, s[0:1]
	v_lshlrev_b32_e32 v27, 3, v27
	s_barrier
	s_waitcnt vmcnt(0)
	ds_write_b64 v27, v[4:5] offset:2048
	v_lshlrev_b32_e32 v4, 3, v26
	ds_write_b64 v4, v[8:9] offset:2048
	v_lshlrev_b32_e32 v4, 3, v25
	;; [unrolled: 2-line block ×6, first 2 shown]
	s_waitcnt lgkmcnt(0)
	s_barrier
	s_and_saveexec_b64 s[0:1], s[14:15]
	s_cbranch_execnz .LBB72_132
; %bb.77:
	s_or_b64 exec, exec, s[0:1]
	s_and_saveexec_b64 s[0:1], s[16:17]
	s_cbranch_execnz .LBB72_133
.LBB72_78:
	s_or_b64 exec, exec, s[0:1]
	s_and_saveexec_b64 s[0:1], s[18:19]
	s_cbranch_execnz .LBB72_134
.LBB72_79:
	s_or_b64 exec, exec, s[0:1]
	s_and_saveexec_b64 s[0:1], s[20:21]
	s_cbranch_execnz .LBB72_135
.LBB72_80:
	s_or_b64 exec, exec, s[0:1]
	s_and_saveexec_b64 s[0:1], s[22:23]
	s_cbranch_execnz .LBB72_136
.LBB72_81:
	s_or_b64 exec, exec, s[0:1]
	s_and_saveexec_b64 s[0:1], s[24:25]
	s_cbranch_execz .LBB72_83
.LBB72_82:
	v_lshlrev_b32_e32 v5, 3, v7
	ds_read_b64 v[8:9], v5
	ds_read_b64 v[4:5], v4 offset:43008
	v_mov_b32_e32 v7, s43
	s_waitcnt lgkmcnt(1)
	v_lshlrev_b64 v[8:9], 3, v[8:9]
	v_add_co_u32_e32 v8, vcc, s42, v8
	v_addc_co_u32_e32 v7, vcc, v7, v9, vcc
	v_lshlrev_b32_e32 v9, 3, v31
	v_add_co_u32_e32 v8, vcc, v8, v9
	v_addc_co_u32_e32 v9, vcc, 0, v7, vcc
	s_waitcnt lgkmcnt(0)
	global_store_dwordx2 v[8:9], v[4:5], off
.LBB72_83:
	s_or_b64 exec, exec, s[0:1]
	s_add_i32 s7, s7, -1
	s_cmp_eq_u32 s6, s7
	s_cselect_b64 s[0:1], -1, 0
	s_and_b64 s[2:3], s[12:13], s[0:1]
	s_mov_b64 s[0:1], 0
	s_mov_b64 s[10:11], 0
                                        ; implicit-def: $vgpr4_vgpr5
	s_and_saveexec_b64 s[8:9], s[2:3]
	s_xor_b64 s[2:3], exec, s[8:9]
; %bb.84:
	v_add_co_u32_e32 v4, vcc, v2, v20
	s_mov_b64 s[10:11], exec
	v_mov_b32_e32 v7, 0
	v_addc_co_u32_e32 v5, vcc, 0, v3, vcc
; %bb.85:
	s_or_b64 exec, exec, s[2:3]
	s_and_b64 vcc, exec, s[0:1]
	s_cbranch_vccnz .LBB72_87
	s_branch .LBB72_124
.LBB72_86:
	s_mov_b64 s[10:11], 0
                                        ; implicit-def: $vgpr4_vgpr5
                                        ; implicit-def: $vgpr6_vgpr7
	s_cbranch_execz .LBB72_124
.LBB72_87:
	v_and_b32_e32 v6, 0x3ff, v0
	s_mov_b32 s31, 0
	s_lshl_b64 s[0:1], s[30:31], 1
	v_mbcnt_hi_u32_b32 v11, -1, v1
	v_and_b32_e32 v1, 0x3c0, v6
	s_add_u32 s0, s36, s0
	v_mul_u32_u24_e32 v10, 6, v1
	v_lshlrev_b32_e32 v1, 1, v11
	v_add_co_u32_e32 v1, vcc, s0, v1
	s_load_dword s7, s[4:5], 0x50
	s_load_dword s0, s[4:5], 0x5c
	s_addc_u32 s1, s37, s1
	v_mov_b32_e32 v3, s1
	v_addc_co_u32_e32 v3, vcc, 0, v3, vcc
	v_lshlrev_b32_e32 v4, 1, v10
	s_add_u32 s1, s4, 0x50
	v_add_co_u32_e32 v12, vcc, v1, v4
	s_addc_u32 s2, s5, 0
	s_waitcnt lgkmcnt(0)
	s_lshr_b32 s3, s0, 16
	v_addc_co_u32_e32 v13, vcc, 0, v3, vcc
	s_cmp_lt_u32 s6, s7
	global_load_ushort v1, v[12:13], off
	s_cselect_b32 s0, 12, 18
	s_add_u32 s0, s1, s0
	v_mov_b32_e32 v2, 0
	s_addc_u32 s1, s2, 0
	global_load_ushort v3, v2, s[0:1]
	v_mul_u32_u24_e32 v5, 5, v6
	v_lshlrev_b32_e32 v5, 2, v5
	ds_write2_b32 v5, v2, v2 offset0:16 offset1:17
	ds_write2_b32 v5, v2, v2 offset0:18 offset1:19
	ds_write_b32 v5, v2 offset:80
	global_load_ushort v9, v[12:13], off offset:128
	global_load_ushort v15, v[12:13], off offset:256
	global_load_ushort v21, v[12:13], off offset:384
	global_load_ushort v23, v[12:13], off offset:512
	global_load_ushort v17, v[12:13], off offset:640
	v_bfe_u32 v4, v0, 10, 10
	v_bfe_u32 v0, v0, 20, 10
	v_mad_u32_u24 v0, v0, s3, v4
	s_lshl_b32 s0, -1, s49
	s_not_b32 s14, s0
	s_waitcnt lgkmcnt(0)
	s_barrier
	s_waitcnt lgkmcnt(0)
	; wave barrier
	s_waitcnt vmcnt(6)
	v_xor_b32_e32 v4, 0xffff8000, v1
	v_lshrrev_b32_sdwa v1, s48, v4 dst_sel:DWORD dst_unused:UNUSED_PAD src0_sel:DWORD src1_sel:WORD_0
	v_and_b32_e32 v8, s14, v1
	s_waitcnt vmcnt(5)
	v_mad_u64_u32 v[0:1], s[0:1], v0, v3, v[6:7]
	v_and_b32_e32 v7, 1, v8
	v_lshrrev_b32_e32 v18, 6, v0
	v_add_co_u32_e32 v0, vcc, -1, v7
	v_lshlrev_b32_e32 v3, 30, v8
	v_addc_co_u32_e64 v12, s[0:1], 0, -1, vcc
	v_mul_u32_u24_e32 v1, 17, v8
	v_cmp_ne_u32_e32 vcc, 0, v7
	v_cmp_gt_i64_e64 s[0:1], 0, v[2:3]
	v_not_b32_e32 v13, v3
	v_lshlrev_b32_e32 v3, 29, v8
	v_add_lshl_u32 v7, v18, v1, 2
	v_xor_b32_e32 v1, vcc_hi, v12
	v_xor_b32_e32 v0, vcc_lo, v0
	v_ashrrev_i32_e32 v12, 31, v13
	v_cmp_gt_i64_e32 vcc, 0, v[2:3]
	v_not_b32_e32 v13, v3
	v_lshlrev_b32_e32 v3, 28, v8
	v_and_b32_e32 v1, exec_hi, v1
	v_and_b32_e32 v0, exec_lo, v0
	v_xor_b32_e32 v14, s1, v12
	v_xor_b32_e32 v12, s0, v12
	v_ashrrev_i32_e32 v13, 31, v13
	v_cmp_gt_i64_e64 s[0:1], 0, v[2:3]
	v_not_b32_e32 v16, v3
	v_lshlrev_b32_e32 v3, 27, v8
	v_and_b32_e32 v1, v1, v14
	v_and_b32_e32 v0, v0, v12
	v_xor_b32_e32 v12, vcc_hi, v13
	v_xor_b32_e32 v13, vcc_lo, v13
	v_ashrrev_i32_e32 v14, 31, v16
	v_cmp_gt_i64_e32 vcc, 0, v[2:3]
	v_not_b32_e32 v3, v3
	v_and_b32_e32 v1, v1, v12
	v_and_b32_e32 v0, v0, v13
	v_xor_b32_e32 v12, s1, v14
	v_xor_b32_e32 v13, s0, v14
	v_ashrrev_i32_e32 v3, 31, v3
	v_and_b32_e32 v1, v1, v12
	v_and_b32_e32 v0, v0, v13
	v_xor_b32_e32 v12, vcc_hi, v3
	v_xor_b32_e32 v3, vcc_lo, v3
	v_and_b32_e32 v0, v0, v3
	v_lshlrev_b32_e32 v3, 26, v8
	v_cmp_gt_i64_e32 vcc, 0, v[2:3]
	v_not_b32_e32 v3, v3
	v_ashrrev_i32_e32 v3, 31, v3
	v_and_b32_e32 v1, v1, v12
	v_xor_b32_e32 v12, vcc_hi, v3
	v_xor_b32_e32 v3, vcc_lo, v3
	v_and_b32_e32 v0, v0, v3
	v_lshlrev_b32_e32 v3, 25, v8
	v_cmp_gt_i64_e32 vcc, 0, v[2:3]
	v_not_b32_e32 v3, v3
	v_ashrrev_i32_e32 v3, 31, v3
	;; [unrolled: 8-line block ×3, first 2 shown]
	v_xor_b32_e32 v8, vcc_hi, v3
	v_xor_b32_e32 v3, vcc_lo, v3
	v_and_b32_e32 v1, v1, v12
	v_and_b32_e32 v0, v0, v3
	;; [unrolled: 1-line block ×3, first 2 shown]
	v_mbcnt_lo_u32_b32 v3, v0, 0
	v_mbcnt_hi_u32_b32 v8, v1, v3
	v_cmp_eq_u32_e32 vcc, 0, v8
	v_cmp_ne_u64_e64 s[0:1], 0, v[0:1]
	s_and_b64 s[2:3], s[0:1], vcc
	s_and_saveexec_b64 s[0:1], s[2:3]
	s_cbranch_execz .LBB72_89
; %bb.88:
	v_bcnt_u32_b32 v0, v0, 0
	v_bcnt_u32_b32 v0, v1, v0
	ds_write_b32 v7, v0 offset:64
.LBB72_89:
	s_or_b64 exec, exec, s[0:1]
	s_waitcnt vmcnt(4)
	v_xor_b32_e32 v9, 0xffff8000, v9
	v_lshrrev_b32_sdwa v0, s48, v9 dst_sel:DWORD dst_unused:UNUSED_PAD src0_sel:DWORD src1_sel:WORD_0
	v_and_b32_e32 v0, s14, v0
	v_mul_u32_u24_e32 v1, 17, v0
	v_add_lshl_u32 v13, v18, v1, 2
	v_and_b32_e32 v1, 1, v0
	v_add_co_u32_e32 v3, vcc, -1, v1
	v_addc_co_u32_e64 v14, s[0:1], 0, -1, vcc
	v_cmp_ne_u32_e32 vcc, 0, v1
	v_xor_b32_e32 v3, vcc_lo, v3
	v_xor_b32_e32 v1, vcc_hi, v14
	v_and_b32_e32 v14, exec_lo, v3
	v_lshlrev_b32_e32 v3, 30, v0
	v_cmp_gt_i64_e32 vcc, 0, v[2:3]
	v_not_b32_e32 v3, v3
	v_ashrrev_i32_e32 v3, 31, v3
	v_xor_b32_e32 v16, vcc_hi, v3
	v_xor_b32_e32 v3, vcc_lo, v3
	v_and_b32_e32 v14, v14, v3
	v_lshlrev_b32_e32 v3, 29, v0
	v_cmp_gt_i64_e32 vcc, 0, v[2:3]
	v_not_b32_e32 v3, v3
	v_and_b32_e32 v1, exec_hi, v1
	v_ashrrev_i32_e32 v3, 31, v3
	v_and_b32_e32 v1, v1, v16
	v_xor_b32_e32 v16, vcc_hi, v3
	v_xor_b32_e32 v3, vcc_lo, v3
	v_and_b32_e32 v14, v14, v3
	v_lshlrev_b32_e32 v3, 28, v0
	v_cmp_gt_i64_e32 vcc, 0, v[2:3]
	v_not_b32_e32 v3, v3
	v_ashrrev_i32_e32 v3, 31, v3
	v_and_b32_e32 v1, v1, v16
	v_xor_b32_e32 v16, vcc_hi, v3
	v_xor_b32_e32 v3, vcc_lo, v3
	v_and_b32_e32 v14, v14, v3
	v_lshlrev_b32_e32 v3, 27, v0
	v_cmp_gt_i64_e32 vcc, 0, v[2:3]
	v_not_b32_e32 v3, v3
	;; [unrolled: 8-line block ×4, first 2 shown]
	v_ashrrev_i32_e32 v3, 31, v3
	v_and_b32_e32 v1, v1, v16
	v_xor_b32_e32 v16, vcc_hi, v3
	v_xor_b32_e32 v3, vcc_lo, v3
	v_and_b32_e32 v14, v14, v3
	v_lshlrev_b32_e32 v3, 24, v0
	v_not_b32_e32 v0, v3
	v_cmp_gt_i64_e32 vcc, 0, v[2:3]
	v_ashrrev_i32_e32 v0, 31, v0
	v_xor_b32_e32 v2, vcc_hi, v0
	v_xor_b32_e32 v0, vcc_lo, v0
	; wave barrier
	ds_read_b32 v12, v13 offset:64
	v_and_b32_e32 v1, v1, v16
	v_and_b32_e32 v0, v14, v0
	;; [unrolled: 1-line block ×3, first 2 shown]
	v_mbcnt_lo_u32_b32 v2, v0, 0
	v_mbcnt_hi_u32_b32 v14, v1, v2
	v_cmp_eq_u32_e32 vcc, 0, v14
	v_cmp_ne_u64_e64 s[0:1], 0, v[0:1]
	s_and_b64 s[2:3], s[0:1], vcc
	; wave barrier
	s_and_saveexec_b64 s[0:1], s[2:3]
	s_cbranch_execz .LBB72_91
; %bb.90:
	v_bcnt_u32_b32 v0, v0, 0
	v_bcnt_u32_b32 v0, v1, v0
	s_waitcnt lgkmcnt(0)
	v_add_u32_e32 v0, v12, v0
	ds_write_b32 v13, v0 offset:64
.LBB72_91:
	s_or_b64 exec, exec, s[0:1]
	s_waitcnt vmcnt(3)
	v_xor_b32_e32 v15, 0xffff8000, v15
	v_lshrrev_b32_sdwa v0, s48, v15 dst_sel:DWORD dst_unused:UNUSED_PAD src0_sel:DWORD src1_sel:WORD_0
	v_and_b32_e32 v2, s14, v0
	v_and_b32_e32 v1, 1, v2
	v_add_co_u32_e32 v3, vcc, -1, v1
	v_addc_co_u32_e64 v20, s[0:1], 0, -1, vcc
	v_cmp_ne_u32_e32 vcc, 0, v1
	v_mul_u32_u24_e32 v0, 17, v2
	v_xor_b32_e32 v1, vcc_hi, v20
	v_add_lshl_u32 v19, v18, v0, 2
	v_mov_b32_e32 v0, 0
	v_and_b32_e32 v20, exec_hi, v1
	v_lshlrev_b32_e32 v1, 30, v2
	v_xor_b32_e32 v3, vcc_lo, v3
	v_cmp_gt_i64_e32 vcc, 0, v[0:1]
	v_not_b32_e32 v1, v1
	v_ashrrev_i32_e32 v1, 31, v1
	v_and_b32_e32 v3, exec_lo, v3
	v_xor_b32_e32 v22, vcc_hi, v1
	v_xor_b32_e32 v1, vcc_lo, v1
	v_and_b32_e32 v3, v3, v1
	v_lshlrev_b32_e32 v1, 29, v2
	v_cmp_gt_i64_e32 vcc, 0, v[0:1]
	v_not_b32_e32 v1, v1
	v_ashrrev_i32_e32 v1, 31, v1
	v_and_b32_e32 v20, v20, v22
	v_xor_b32_e32 v22, vcc_hi, v1
	v_xor_b32_e32 v1, vcc_lo, v1
	v_and_b32_e32 v3, v3, v1
	v_lshlrev_b32_e32 v1, 28, v2
	v_cmp_gt_i64_e32 vcc, 0, v[0:1]
	v_not_b32_e32 v1, v1
	v_ashrrev_i32_e32 v1, 31, v1
	v_and_b32_e32 v20, v20, v22
	v_xor_b32_e32 v22, vcc_hi, v1
	v_xor_b32_e32 v1, vcc_lo, v1
	v_and_b32_e32 v3, v3, v1
	v_lshlrev_b32_e32 v1, 27, v2
	v_cmp_gt_i64_e32 vcc, 0, v[0:1]
	v_not_b32_e32 v1, v1
	v_ashrrev_i32_e32 v1, 31, v1
	v_and_b32_e32 v20, v20, v22
	v_xor_b32_e32 v22, vcc_hi, v1
	v_xor_b32_e32 v1, vcc_lo, v1
	v_and_b32_e32 v3, v3, v1
	v_lshlrev_b32_e32 v1, 26, v2
	v_cmp_gt_i64_e32 vcc, 0, v[0:1]
	v_not_b32_e32 v1, v1
	v_ashrrev_i32_e32 v1, 31, v1
	v_and_b32_e32 v20, v20, v22
	v_xor_b32_e32 v22, vcc_hi, v1
	v_xor_b32_e32 v1, vcc_lo, v1
	v_and_b32_e32 v3, v3, v1
	v_lshlrev_b32_e32 v1, 25, v2
	v_cmp_gt_i64_e32 vcc, 0, v[0:1]
	v_not_b32_e32 v1, v1
	v_ashrrev_i32_e32 v1, 31, v1
	v_and_b32_e32 v20, v20, v22
	v_xor_b32_e32 v22, vcc_hi, v1
	v_xor_b32_e32 v1, vcc_lo, v1
	v_and_b32_e32 v20, v20, v22
	v_and_b32_e32 v22, v3, v1
	v_lshlrev_b32_e32 v1, 24, v2
	v_cmp_gt_i64_e32 vcc, 0, v[0:1]
	v_not_b32_e32 v1, v1
	v_ashrrev_i32_e32 v1, 31, v1
	v_xor_b32_e32 v2, vcc_hi, v1
	v_xor_b32_e32 v1, vcc_lo, v1
	; wave barrier
	ds_read_b32 v16, v19 offset:64
	v_and_b32_e32 v3, v20, v2
	v_and_b32_e32 v2, v22, v1
	v_mbcnt_lo_u32_b32 v1, v2, 0
	v_mbcnt_hi_u32_b32 v20, v3, v1
	v_cmp_eq_u32_e32 vcc, 0, v20
	v_cmp_ne_u64_e64 s[0:1], 0, v[2:3]
	s_and_b64 s[2:3], s[0:1], vcc
	; wave barrier
	s_and_saveexec_b64 s[0:1], s[2:3]
	s_cbranch_execz .LBB72_93
; %bb.92:
	v_bcnt_u32_b32 v1, v2, 0
	v_bcnt_u32_b32 v1, v3, v1
	s_waitcnt lgkmcnt(0)
	v_add_u32_e32 v1, v16, v1
	ds_write_b32 v19, v1 offset:64
.LBB72_93:
	s_or_b64 exec, exec, s[0:1]
	s_waitcnt vmcnt(2)
	v_xor_b32_e32 v21, 0xffff8000, v21
	v_lshrrev_b32_sdwa v1, s48, v21 dst_sel:DWORD dst_unused:UNUSED_PAD src0_sel:DWORD src1_sel:WORD_0
	v_and_b32_e32 v2, s14, v1
	v_mul_u32_u24_e32 v1, 17, v2
	v_add_lshl_u32 v24, v18, v1, 2
	v_and_b32_e32 v1, 1, v2
	v_add_co_u32_e32 v3, vcc, -1, v1
	v_addc_co_u32_e64 v25, s[0:1], 0, -1, vcc
	v_cmp_ne_u32_e32 vcc, 0, v1
	v_xor_b32_e32 v1, vcc_hi, v25
	v_and_b32_e32 v25, exec_hi, v1
	v_lshlrev_b32_e32 v1, 30, v2
	v_xor_b32_e32 v3, vcc_lo, v3
	v_cmp_gt_i64_e32 vcc, 0, v[0:1]
	v_not_b32_e32 v1, v1
	v_ashrrev_i32_e32 v1, 31, v1
	v_and_b32_e32 v3, exec_lo, v3
	v_xor_b32_e32 v26, vcc_hi, v1
	v_xor_b32_e32 v1, vcc_lo, v1
	v_and_b32_e32 v3, v3, v1
	v_lshlrev_b32_e32 v1, 29, v2
	v_cmp_gt_i64_e32 vcc, 0, v[0:1]
	v_not_b32_e32 v1, v1
	v_ashrrev_i32_e32 v1, 31, v1
	v_and_b32_e32 v25, v25, v26
	v_xor_b32_e32 v26, vcc_hi, v1
	v_xor_b32_e32 v1, vcc_lo, v1
	v_and_b32_e32 v3, v3, v1
	v_lshlrev_b32_e32 v1, 28, v2
	v_cmp_gt_i64_e32 vcc, 0, v[0:1]
	v_not_b32_e32 v1, v1
	v_ashrrev_i32_e32 v1, 31, v1
	v_and_b32_e32 v25, v25, v26
	;; [unrolled: 8-line block ×5, first 2 shown]
	v_xor_b32_e32 v26, vcc_hi, v1
	v_xor_b32_e32 v1, vcc_lo, v1
	v_and_b32_e32 v3, v3, v1
	v_lshlrev_b32_e32 v1, 24, v2
	v_cmp_gt_i64_e32 vcc, 0, v[0:1]
	v_not_b32_e32 v0, v1
	v_ashrrev_i32_e32 v0, 31, v0
	v_xor_b32_e32 v1, vcc_hi, v0
	v_xor_b32_e32 v0, vcc_lo, v0
	; wave barrier
	ds_read_b32 v22, v24 offset:64
	v_and_b32_e32 v25, v25, v26
	v_and_b32_e32 v0, v3, v0
	;; [unrolled: 1-line block ×3, first 2 shown]
	v_mbcnt_lo_u32_b32 v2, v0, 0
	v_mbcnt_hi_u32_b32 v25, v1, v2
	v_cmp_eq_u32_e32 vcc, 0, v25
	v_cmp_ne_u64_e64 s[0:1], 0, v[0:1]
	s_and_b64 s[2:3], s[0:1], vcc
	; wave barrier
	s_and_saveexec_b64 s[0:1], s[2:3]
	s_cbranch_execz .LBB72_95
; %bb.94:
	v_bcnt_u32_b32 v0, v0, 0
	v_bcnt_u32_b32 v0, v1, v0
	s_waitcnt lgkmcnt(0)
	v_add_u32_e32 v0, v22, v0
	ds_write_b32 v24, v0 offset:64
.LBB72_95:
	s_or_b64 exec, exec, s[0:1]
	s_waitcnt vmcnt(1)
	v_xor_b32_e32 v23, 0xffff8000, v23
	v_lshrrev_b32_sdwa v0, s48, v23 dst_sel:DWORD dst_unused:UNUSED_PAD src0_sel:DWORD src1_sel:WORD_0
	v_and_b32_e32 v2, s14, v0
	v_and_b32_e32 v1, 1, v2
	v_add_co_u32_e32 v3, vcc, -1, v1
	v_addc_co_u32_e64 v28, s[0:1], 0, -1, vcc
	v_cmp_ne_u32_e32 vcc, 0, v1
	v_mul_u32_u24_e32 v0, 17, v2
	v_xor_b32_e32 v1, vcc_hi, v28
	v_add_lshl_u32 v27, v18, v0, 2
	v_mov_b32_e32 v0, 0
	v_and_b32_e32 v28, exec_hi, v1
	v_lshlrev_b32_e32 v1, 30, v2
	v_xor_b32_e32 v3, vcc_lo, v3
	v_cmp_gt_i64_e32 vcc, 0, v[0:1]
	v_not_b32_e32 v1, v1
	v_ashrrev_i32_e32 v1, 31, v1
	v_and_b32_e32 v3, exec_lo, v3
	v_xor_b32_e32 v29, vcc_hi, v1
	v_xor_b32_e32 v1, vcc_lo, v1
	v_and_b32_e32 v3, v3, v1
	v_lshlrev_b32_e32 v1, 29, v2
	v_cmp_gt_i64_e32 vcc, 0, v[0:1]
	v_not_b32_e32 v1, v1
	v_ashrrev_i32_e32 v1, 31, v1
	v_and_b32_e32 v28, v28, v29
	v_xor_b32_e32 v29, vcc_hi, v1
	v_xor_b32_e32 v1, vcc_lo, v1
	v_and_b32_e32 v3, v3, v1
	v_lshlrev_b32_e32 v1, 28, v2
	v_cmp_gt_i64_e32 vcc, 0, v[0:1]
	v_not_b32_e32 v1, v1
	v_ashrrev_i32_e32 v1, 31, v1
	v_and_b32_e32 v28, v28, v29
	;; [unrolled: 8-line block ×5, first 2 shown]
	v_xor_b32_e32 v29, vcc_hi, v1
	v_xor_b32_e32 v1, vcc_lo, v1
	v_and_b32_e32 v28, v28, v29
	v_and_b32_e32 v29, v3, v1
	v_lshlrev_b32_e32 v1, 24, v2
	v_cmp_gt_i64_e32 vcc, 0, v[0:1]
	v_not_b32_e32 v1, v1
	v_ashrrev_i32_e32 v1, 31, v1
	v_xor_b32_e32 v2, vcc_hi, v1
	v_xor_b32_e32 v1, vcc_lo, v1
	; wave barrier
	ds_read_b32 v26, v27 offset:64
	v_and_b32_e32 v3, v28, v2
	v_and_b32_e32 v2, v29, v1
	v_mbcnt_lo_u32_b32 v1, v2, 0
	v_mbcnt_hi_u32_b32 v28, v3, v1
	v_cmp_eq_u32_e32 vcc, 0, v28
	v_cmp_ne_u64_e64 s[0:1], 0, v[2:3]
	s_and_b64 s[2:3], s[0:1], vcc
	; wave barrier
	s_and_saveexec_b64 s[0:1], s[2:3]
	s_cbranch_execz .LBB72_97
; %bb.96:
	v_bcnt_u32_b32 v1, v2, 0
	v_bcnt_u32_b32 v1, v3, v1
	s_waitcnt lgkmcnt(0)
	v_add_u32_e32 v1, v26, v1
	ds_write_b32 v27, v1 offset:64
.LBB72_97:
	s_or_b64 exec, exec, s[0:1]
	s_waitcnt vmcnt(0)
	v_xor_b32_e32 v29, 0xffff8000, v17
	v_lshrrev_b32_sdwa v1, s48, v29 dst_sel:DWORD dst_unused:UNUSED_PAD src0_sel:DWORD src1_sel:WORD_0
	v_and_b32_e32 v2, s14, v1
	v_mul_u32_u24_e32 v1, 17, v2
	v_add_lshl_u32 v17, v18, v1, 2
	v_and_b32_e32 v1, 1, v2
	v_add_co_u32_e32 v3, vcc, -1, v1
	v_addc_co_u32_e64 v18, s[0:1], 0, -1, vcc
	v_cmp_ne_u32_e32 vcc, 0, v1
	v_xor_b32_e32 v1, vcc_hi, v18
	v_and_b32_e32 v18, exec_hi, v1
	v_lshlrev_b32_e32 v1, 30, v2
	v_xor_b32_e32 v3, vcc_lo, v3
	v_cmp_gt_i64_e32 vcc, 0, v[0:1]
	v_not_b32_e32 v1, v1
	v_ashrrev_i32_e32 v1, 31, v1
	v_and_b32_e32 v3, exec_lo, v3
	v_xor_b32_e32 v32, vcc_hi, v1
	v_xor_b32_e32 v1, vcc_lo, v1
	v_and_b32_e32 v3, v3, v1
	v_lshlrev_b32_e32 v1, 29, v2
	v_cmp_gt_i64_e32 vcc, 0, v[0:1]
	v_not_b32_e32 v1, v1
	v_ashrrev_i32_e32 v1, 31, v1
	v_and_b32_e32 v18, v18, v32
	v_xor_b32_e32 v32, vcc_hi, v1
	v_xor_b32_e32 v1, vcc_lo, v1
	v_and_b32_e32 v3, v3, v1
	v_lshlrev_b32_e32 v1, 28, v2
	v_cmp_gt_i64_e32 vcc, 0, v[0:1]
	v_not_b32_e32 v1, v1
	v_ashrrev_i32_e32 v1, 31, v1
	v_and_b32_e32 v18, v18, v32
	v_xor_b32_e32 v32, vcc_hi, v1
	v_xor_b32_e32 v1, vcc_lo, v1
	v_and_b32_e32 v3, v3, v1
	v_lshlrev_b32_e32 v1, 27, v2
	v_cmp_gt_i64_e32 vcc, 0, v[0:1]
	v_not_b32_e32 v1, v1
	v_ashrrev_i32_e32 v1, 31, v1
	v_and_b32_e32 v18, v18, v32
	v_xor_b32_e32 v32, vcc_hi, v1
	v_xor_b32_e32 v1, vcc_lo, v1
	v_and_b32_e32 v3, v3, v1
	v_lshlrev_b32_e32 v1, 26, v2
	v_cmp_gt_i64_e32 vcc, 0, v[0:1]
	v_not_b32_e32 v1, v1
	v_ashrrev_i32_e32 v1, 31, v1
	v_and_b32_e32 v18, v18, v32
	v_xor_b32_e32 v32, vcc_hi, v1
	v_xor_b32_e32 v1, vcc_lo, v1
	v_and_b32_e32 v3, v3, v1
	v_lshlrev_b32_e32 v1, 25, v2
	v_cmp_gt_i64_e32 vcc, 0, v[0:1]
	v_not_b32_e32 v1, v1
	v_ashrrev_i32_e32 v1, 31, v1
	v_and_b32_e32 v18, v18, v32
	v_xor_b32_e32 v32, vcc_hi, v1
	v_xor_b32_e32 v1, vcc_lo, v1
	v_and_b32_e32 v3, v3, v1
	v_lshlrev_b32_e32 v1, 24, v2
	v_cmp_gt_i64_e32 vcc, 0, v[0:1]
	v_not_b32_e32 v0, v1
	v_ashrrev_i32_e32 v0, 31, v0
	v_xor_b32_e32 v1, vcc_hi, v0
	v_xor_b32_e32 v0, vcc_lo, v0
	; wave barrier
	ds_read_b32 v30, v17 offset:64
	v_and_b32_e32 v18, v18, v32
	v_and_b32_e32 v0, v3, v0
	v_and_b32_e32 v1, v18, v1
	v_mbcnt_lo_u32_b32 v2, v0, 0
	v_mbcnt_hi_u32_b32 v32, v1, v2
	v_cmp_eq_u32_e32 vcc, 0, v32
	v_cmp_ne_u64_e64 s[0:1], 0, v[0:1]
	v_add_u32_e32 v31, 64, v5
	s_and_b64 s[2:3], s[0:1], vcc
	; wave barrier
	s_and_saveexec_b64 s[0:1], s[2:3]
	s_cbranch_execz .LBB72_99
; %bb.98:
	v_bcnt_u32_b32 v0, v0, 0
	v_bcnt_u32_b32 v0, v1, v0
	s_waitcnt lgkmcnt(0)
	v_add_u32_e32 v0, v30, v0
	ds_write_b32 v17, v0 offset:64
.LBB72_99:
	s_or_b64 exec, exec, s[0:1]
	; wave barrier
	s_waitcnt lgkmcnt(0)
	s_barrier
	ds_read2_b32 v[2:3], v5 offset0:16 offset1:17
	ds_read2_b32 v[0:1], v31 offset0:2 offset1:3
	ds_read_b32 v18, v31 offset:16
	v_cmp_lt_u32_e64 s[8:9], 31, v11
	s_waitcnt lgkmcnt(1)
	v_add3_u32 v33, v3, v2, v0
	s_waitcnt lgkmcnt(0)
	v_add3_u32 v18, v33, v1, v18
	v_and_b32_e32 v33, 15, v11
	v_cmp_eq_u32_e32 vcc, 0, v33
	v_mov_b32_dpp v34, v18 row_shr:1 row_mask:0xf bank_mask:0xf
	v_cndmask_b32_e64 v34, v34, 0, vcc
	v_add_u32_e32 v18, v34, v18
	v_cmp_lt_u32_e64 s[0:1], 1, v33
	v_cmp_lt_u32_e64 s[2:3], 3, v33
	v_mov_b32_dpp v34, v18 row_shr:2 row_mask:0xf bank_mask:0xf
	v_cndmask_b32_e64 v34, 0, v34, s[0:1]
	v_add_u32_e32 v18, v18, v34
	v_cmp_lt_u32_e64 s[4:5], 7, v33
	s_nop 0
	v_mov_b32_dpp v34, v18 row_shr:4 row_mask:0xf bank_mask:0xf
	v_cndmask_b32_e64 v34, 0, v34, s[2:3]
	v_add_u32_e32 v18, v18, v34
	s_nop 1
	v_mov_b32_dpp v34, v18 row_shr:8 row_mask:0xf bank_mask:0xf
	v_cndmask_b32_e64 v33, 0, v34, s[4:5]
	v_add_u32_e32 v18, v18, v33
	v_bfe_i32 v34, v11, 4, 1
	s_nop 0
	v_mov_b32_dpp v33, v18 row_bcast:15 row_mask:0xf bank_mask:0xf
	v_and_b32_e32 v33, v34, v33
	v_add_u32_e32 v18, v18, v33
	v_and_b32_e32 v34, 63, v6
	s_nop 0
	v_mov_b32_dpp v33, v18 row_bcast:31 row_mask:0xf bank_mask:0xf
	v_cndmask_b32_e64 v33, 0, v33, s[8:9]
	v_add_u32_e32 v18, v18, v33
	v_lshrrev_b32_e32 v33, 6, v6
	v_cmp_eq_u32_e64 s[8:9], 63, v34
	s_and_saveexec_b64 s[12:13], s[8:9]
	s_cbranch_execz .LBB72_101
; %bb.100:
	v_lshlrev_b32_e32 v34, 2, v33
	ds_write_b32 v34, v18
.LBB72_101:
	s_or_b64 exec, exec, s[12:13]
	v_cmp_gt_u32_e64 s[8:9], 16, v6
	s_waitcnt lgkmcnt(0)
	s_barrier
	s_and_saveexec_b64 s[12:13], s[8:9]
	s_cbranch_execz .LBB72_103
; %bb.102:
	v_lshlrev_b32_e32 v34, 2, v6
	ds_read_b32 v35, v34
	s_waitcnt lgkmcnt(0)
	s_nop 0
	v_mov_b32_dpp v36, v35 row_shr:1 row_mask:0xf bank_mask:0xf
	v_cndmask_b32_e64 v36, v36, 0, vcc
	v_add_u32_e32 v35, v36, v35
	s_nop 1
	v_mov_b32_dpp v36, v35 row_shr:2 row_mask:0xf bank_mask:0xf
	v_cndmask_b32_e64 v36, 0, v36, s[0:1]
	v_add_u32_e32 v35, v35, v36
	s_nop 1
	v_mov_b32_dpp v36, v35 row_shr:4 row_mask:0xf bank_mask:0xf
	v_cndmask_b32_e64 v36, 0, v36, s[2:3]
	;; [unrolled: 4-line block ×3, first 2 shown]
	v_add_u32_e32 v35, v35, v36
	ds_write_b32 v34, v35
.LBB72_103:
	s_or_b64 exec, exec, s[12:13]
	v_cmp_lt_u32_e32 vcc, 63, v6
	v_mov_b32_e32 v34, 0
	s_waitcnt lgkmcnt(0)
	s_barrier
	s_and_saveexec_b64 s[0:1], vcc
	s_cbranch_execz .LBB72_105
; %bb.104:
	v_lshl_add_u32 v33, v33, 2, -4
	ds_read_b32 v34, v33
.LBB72_105:
	s_or_b64 exec, exec, s[0:1]
	v_add_u32_e32 v33, -1, v11
	v_and_b32_e32 v35, 64, v11
	v_cmp_lt_i32_e32 vcc, v33, v35
	v_cndmask_b32_e32 v33, v33, v11, vcc
	s_waitcnt lgkmcnt(0)
	v_add_u32_e32 v18, v34, v18
	v_lshlrev_b32_e32 v33, 2, v33
	ds_bpermute_b32 v18, v33, v18
	v_cmp_eq_u32_e32 vcc, 0, v11
	s_movk_i32 s2, 0xff
	s_movk_i32 s3, 0x100
	v_cmp_lt_u32_e64 s[0:1], s2, v6
	s_waitcnt lgkmcnt(0)
	v_cndmask_b32_e32 v18, v18, v34, vcc
	v_cmp_ne_u32_e32 vcc, 0, v6
	v_cndmask_b32_e32 v18, 0, v18, vcc
	v_add_u32_e32 v2, v18, v2
	v_add_u32_e32 v3, v2, v3
	;; [unrolled: 1-line block ×4, first 2 shown]
	ds_write2_b32 v5, v18, v2 offset0:16 offset1:17
	ds_write2_b32 v31, v3, v0 offset0:2 offset1:3
	ds_write_b32 v31, v1 offset:16
	s_waitcnt lgkmcnt(0)
	s_barrier
	ds_read_b32 v2, v7 offset:64
	ds_read_b32 v3, v13 offset:64
	;; [unrolled: 1-line block ×6, first 2 shown]
	v_cmp_gt_u32_e32 vcc, s3, v6
	v_pk_mov_b32 v[0:1], 0, 0
                                        ; implicit-def: $vgpr13
	s_and_saveexec_b64 s[4:5], vcc
	s_cbranch_execz .LBB72_109
; %bb.106:
	v_mul_u32_u24_e32 v0, 17, v6
	v_lshlrev_b32_e32 v13, 2, v0
	ds_read_b32 v0, v13 offset:64
	v_cmp_ne_u32_e64 s[2:3], s2, v6
	v_mov_b32_e32 v1, 0x1800
	s_and_saveexec_b64 s[8:9], s[2:3]
	s_cbranch_execz .LBB72_108
; %bb.107:
	ds_read_b32 v1, v13 offset:132
.LBB72_108:
	s_or_b64 exec, exec, s[8:9]
	s_waitcnt lgkmcnt(0)
	v_sub_u32_e32 v13, v1, v0
	v_mov_b32_e32 v1, 0
.LBB72_109:
	s_or_b64 exec, exec, s[4:5]
	s_waitcnt lgkmcnt(5)
	v_add_u32_e32 v19, v2, v8
	s_waitcnt lgkmcnt(4)
	v_add3_u32 v18, v14, v12, v3
	v_lshlrev_b32_e32 v2, 1, v19
	s_waitcnt lgkmcnt(3)
	v_add3_u32 v17, v20, v16, v5
	s_waitcnt lgkmcnt(0)
	s_barrier
	ds_write_b16 v2, v4 offset:2048
	v_lshlrev_b32_e32 v2, 1, v18
	v_add3_u32 v16, v25, v22, v7
	ds_write_b16 v2, v9 offset:2048
	v_lshlrev_b32_e32 v2, 1, v17
	v_add3_u32 v14, v28, v26, v24
	;; [unrolled: 3-line block ×3, first 2 shown]
	ds_write_b16 v2, v21 offset:2048
	v_lshlrev_b32_e32 v2, 1, v14
	ds_write_b16 v2, v23 offset:2048
	v_lshlrev_b32_e32 v2, 1, v12
	ds_write_b16 v2, v29 offset:2048
	s_waitcnt lgkmcnt(0)
	s_barrier
	s_and_saveexec_b64 s[2:3], s[0:1]
	s_xor_b64 s[0:1], exec, s[2:3]
; %bb.110:
	v_mov_b32_e32 v7, 0
; %bb.111:
	s_andn2_saveexec_b64 s[2:3], s[0:1]
	s_cbranch_execz .LBB72_121
; %bb.112:
	v_lshl_or_b32 v2, s6, 8, v6
	v_mov_b32_e32 v3, 0
	v_lshlrev_b64 v[4:5], 2, v[2:3]
	v_mov_b32_e32 v7, s35
	v_add_co_u32_e64 v4, s[0:1], s34, v4
	v_addc_co_u32_e64 v5, s[0:1], v7, v5, s[0:1]
	v_or_b32_e32 v2, 2.0, v13
	s_mov_b64 s[4:5], 0
	s_brev_b32 s15, 1
	s_mov_b32 s16, s6
	v_mov_b32_e32 v15, 0
	global_store_dword v[4:5], v2, off
                                        ; implicit-def: $sgpr0_sgpr1
	s_branch .LBB72_115
.LBB72_113:                             ;   in Loop: Header=BB72_115 Depth=1
	s_or_b64 exec, exec, s[12:13]
.LBB72_114:                             ;   in Loop: Header=BB72_115 Depth=1
	s_or_b64 exec, exec, s[8:9]
	v_and_b32_e32 v8, 0x3fffffff, v20
	v_add_u32_e32 v15, v8, v15
	v_cmp_eq_u32_e64 s[0:1], s15, v2
	s_and_b64 s[8:9], exec, s[0:1]
	s_or_b64 s[4:5], s[8:9], s[4:5]
	s_andn2_b64 exec, exec, s[4:5]
	s_cbranch_execz .LBB72_120
.LBB72_115:                             ; =>This Loop Header: Depth=1
                                        ;     Child Loop BB72_118 Depth 2
	s_or_b64 s[0:1], s[0:1], exec
	s_cmp_eq_u32 s16, 0
	s_cbranch_scc1 .LBB72_119
; %bb.116:                              ;   in Loop: Header=BB72_115 Depth=1
	s_add_i32 s16, s16, -1
	v_lshl_or_b32 v2, s16, 8, v6
	v_lshlrev_b64 v[8:9], 2, v[2:3]
	v_add_co_u32_e64 v8, s[0:1], s34, v8
	v_addc_co_u32_e64 v9, s[0:1], v7, v9, s[0:1]
	global_load_dword v20, v[8:9], off glc
	s_waitcnt vmcnt(0)
	v_and_b32_e32 v2, -2.0, v20
	v_cmp_eq_u32_e64 s[0:1], 0, v2
	s_and_saveexec_b64 s[8:9], s[0:1]
	s_cbranch_execz .LBB72_114
; %bb.117:                              ;   in Loop: Header=BB72_115 Depth=1
	s_mov_b64 s[12:13], 0
.LBB72_118:                             ;   Parent Loop BB72_115 Depth=1
                                        ; =>  This Inner Loop Header: Depth=2
	global_load_dword v20, v[8:9], off glc
	s_waitcnt vmcnt(0)
	v_and_b32_e32 v2, -2.0, v20
	v_cmp_ne_u32_e64 s[0:1], 0, v2
	s_or_b64 s[12:13], s[0:1], s[12:13]
	s_andn2_b64 exec, exec, s[12:13]
	s_cbranch_execnz .LBB72_118
	s_branch .LBB72_113
.LBB72_119:                             ;   in Loop: Header=BB72_115 Depth=1
                                        ; implicit-def: $sgpr16
	s_and_b64 s[8:9], exec, s[0:1]
	s_or_b64 s[4:5], s[8:9], s[4:5]
	s_andn2_b64 exec, exec, s[4:5]
	s_cbranch_execnz .LBB72_115
.LBB72_120:
	s_or_b64 exec, exec, s[4:5]
	v_add_u32_e32 v2, v15, v13
	v_or_b32_e32 v2, 0x80000000, v2
	global_store_dword v[4:5], v2, off
	v_lshlrev_b32_e32 v4, 3, v6
	global_load_dwordx2 v[2:3], v4, s[44:45]
	v_sub_co_u32_e64 v5, s[0:1], v15, v0
	v_subb_co_u32_e64 v8, s[0:1], 0, v1, s[0:1]
	v_mov_b32_e32 v7, 0
	s_waitcnt vmcnt(0)
	v_add_co_u32_e64 v2, s[0:1], v5, v2
	v_addc_co_u32_e64 v3, s[0:1], v8, v3, s[0:1]
	ds_write_b64 v4, v[2:3]
.LBB72_121:
	s_or_b64 exec, exec, s[2:3]
	v_lshlrev_b32_e32 v2, 1, v6
	s_waitcnt lgkmcnt(0)
	s_barrier
	ds_read_u16 v2, v2 offset:2048
	v_lshlrev_b32_e32 v15, 1, v6
	ds_read_u16 v20, v15 offset:4096
	ds_read_u16 v32, v15 offset:8192
	;; [unrolled: 1-line block ×3, first 2 shown]
	v_mov_b32_e32 v8, s39
	v_or_b32_e32 v37, 0x800, v15
	s_waitcnt lgkmcnt(3)
	v_lshrrev_b32_sdwa v3, s48, v2 dst_sel:DWORD dst_unused:UNUSED_PAD src0_sel:DWORD src1_sel:WORD_0
	v_and_b32_e32 v3, s14, v3
	v_xor_b32_e32 v21, 0xffff8000, v2
	v_lshlrev_b32_e32 v34, 3, v3
	s_waitcnt lgkmcnt(2)
	v_lshrrev_b32_sdwa v2, s48, v20 dst_sel:DWORD dst_unused:UNUSED_PAD src0_sel:DWORD src1_sel:WORD_0
	v_and_b32_e32 v4, s14, v2
	ds_read_b64 v[2:3], v34
	v_lshlrev_b32_e32 v35, 3, v4
	ds_read_u16 v22, v15 offset:6144
	ds_read_b64 v[4:5], v35
	ds_read_u16 v36, v15 offset:10240
	s_waitcnt lgkmcnt(5)
	v_lshrrev_b32_sdwa v24, s48, v32 dst_sel:DWORD dst_unused:UNUSED_PAD src0_sel:DWORD src1_sel:WORD_0
	v_and_b32_e32 v24, s14, v24
	s_waitcnt lgkmcnt(3)
	v_lshlrev_b64 v[2:3], 1, v[2:3]
	v_add_co_u32_e64 v9, s[0:1], s38, v2
	v_addc_co_u32_e64 v23, s[0:1], v8, v3, s[0:1]
	v_lshlrev_b64 v[2:3], 1, v[6:7]
	v_add_co_u32_e64 v8, s[0:1], v9, v2
	v_addc_co_u32_e64 v9, s[0:1], v23, v3, s[0:1]
	s_waitcnt lgkmcnt(1)
	v_lshlrev_b64 v[4:5], 1, v[4:5]
	global_store_short v[8:9], v21, off
	v_mov_b32_e32 v9, s39
	v_add_co_u32_e64 v4, s[0:1], s38, v4
	v_addc_co_u32_e64 v5, s[0:1], v9, v5, s[0:1]
	v_add_co_u32_e64 v2, s[0:1], v4, v2
	v_addc_co_u32_e64 v3, s[0:1], v5, v3, s[0:1]
	s_lshl_b64 s[0:1], s[30:31], 3
	v_xor_b32_e32 v8, 0xffff8000, v20
	s_add_u32 s0, s40, s0
	global_store_short v[2:3], v8, off offset:2048
	s_addc_u32 s1, s41, s1
	v_lshlrev_b32_e32 v2, 3, v11
	v_mov_b32_e32 v3, s1
	v_add_co_u32_e64 v2, s[0:1], s0, v2
	v_addc_co_u32_e64 v3, s[0:1], 0, v3, s[0:1]
	v_lshlrev_b32_e32 v4, 3, v10
	v_add_co_u32_e64 v2, s[0:1], v2, v4
	v_addc_co_u32_e64 v3, s[0:1], 0, v3, s[0:1]
	v_lshrrev_b32_sdwa v8, s48, v22 dst_sel:DWORD dst_unused:UNUSED_PAD src0_sel:DWORD src1_sel:WORD_0
	global_load_dwordx2 v[4:5], v[2:3], off
	v_and_b32_e32 v15, s14, v8
	global_load_dwordx2 v[8:9], v[2:3], off offset:512
	global_load_dwordx2 v[10:11], v[2:3], off offset:1024
	global_load_dwordx2 v[20:21], v[2:3], off offset:1536
	v_xor_b32_e32 v39, 0xffff8000, v22
	global_load_dwordx2 v[22:23], v[2:3], off offset:2048
	v_lshlrev_b32_e32 v40, 3, v24
	global_load_dwordx2 v[2:3], v[2:3], off offset:2560
	s_waitcnt lgkmcnt(0)
	v_lshrrev_b32_sdwa v24, s48, v36 dst_sel:DWORD dst_unused:UNUSED_PAD src0_sel:DWORD src1_sel:WORD_0
	v_and_b32_e32 v24, s14, v24
	v_lshlrev_b32_e32 v15, 3, v15
	v_lshlrev_b32_e32 v41, 3, v24
	v_lshrrev_b32_sdwa v24, s48, v33 dst_sel:DWORD dst_unused:UNUSED_PAD src0_sel:DWORD src1_sel:WORD_0
	v_and_b32_e32 v26, s14, v24
	ds_read_b64 v[24:25], v15
	v_or_b32_e32 v38, 0x800, v6
	v_mov_b32_e32 v43, s39
	v_lshlrev_b32_e32 v42, 3, v26
	ds_read_b64 v[26:27], v40
	ds_read_b64 v[28:29], v41
	;; [unrolled: 1-line block ×3, first 2 shown]
	s_waitcnt lgkmcnt(3)
	v_lshlrev_b64 v[24:25], 1, v[24:25]
	v_add_co_u32_e64 v24, s[0:1], s38, v24
	v_addc_co_u32_e64 v25, s[0:1], v43, v25, s[0:1]
	v_lshlrev_b32_e32 v43, 1, v38
	v_add_co_u32_e64 v24, s[0:1], v24, v43
	v_addc_co_u32_e64 v25, s[0:1], 0, v25, s[0:1]
	global_store_short v[24:25], v39, off
	s_waitcnt lgkmcnt(2)
	v_lshlrev_b64 v[24:25], 1, v[26:27]
	v_or_b32_e32 v39, 0xc00, v6
	v_mov_b32_e32 v26, s39
	v_add_co_u32_e64 v24, s[0:1], s38, v24
	v_addc_co_u32_e64 v25, s[0:1], v26, v25, s[0:1]
	v_lshlrev_b32_e32 v26, 1, v39
	v_add_co_u32_e64 v24, s[0:1], v24, v26
	v_xor_b32_e32 v32, 0xffff8000, v32
	v_addc_co_u32_e64 v25, s[0:1], 0, v25, s[0:1]
	global_store_short v[24:25], v32, off
	s_waitcnt lgkmcnt(1)
	v_lshlrev_b64 v[24:25], 1, v[28:29]
	v_or_b32_e32 v26, 0x1000, v6
	v_mov_b32_e32 v28, s39
	v_add_co_u32_e64 v24, s[0:1], s38, v24
	v_addc_co_u32_e64 v25, s[0:1], v28, v25, s[0:1]
	v_lshlrev_b32_e32 v28, 1, v26
	v_add_co_u32_e64 v24, s[0:1], v24, v28
	v_xor_b32_e32 v27, 0xffff8000, v36
	;; [unrolled: 11-line block ×3, first 2 shown]
	v_addc_co_u32_e64 v25, s[0:1], 0, v25, s[0:1]
	v_lshlrev_b32_e32 v19, 3, v19
	global_store_short v[24:25], v28, off
	s_barrier
	s_add_i32 s7, s7, -1
	s_cmp_eq_u32 s6, s7
	s_waitcnt vmcnt(9)
	ds_write_b64 v19, v[4:5] offset:2048
	v_lshlrev_b32_e32 v4, 3, v18
	s_waitcnt vmcnt(8)
	ds_write_b64 v4, v[8:9] offset:2048
	v_lshlrev_b32_e32 v4, 3, v17
	;; [unrolled: 3-line block ×5, first 2 shown]
	s_waitcnt vmcnt(4)
	ds_write_b64 v4, v[2:3] offset:2048
	s_waitcnt lgkmcnt(0)
	s_barrier
	ds_read_b64 v[2:3], v34
	v_mov_b32_e32 v5, s43
	v_lshlrev_b32_e32 v4, 3, v6
	ds_read_b64 v[8:9], v35
	ds_read_b64 v[10:11], v15
	;; [unrolled: 1-line block ×3, first 2 shown]
	v_mov_b32_e32 v22, s43
	s_waitcnt lgkmcnt(3)
	v_lshlrev_b64 v[2:3], 3, v[2:3]
	v_add_co_u32_e64 v12, s[0:1], s42, v2
	v_addc_co_u32_e64 v5, s[0:1], v5, v3, s[0:1]
	v_lshlrev_b64 v[2:3], 3, v[6:7]
	v_add_co_u32_e64 v2, s[0:1], v12, v2
	v_addc_co_u32_e64 v3, s[0:1], v5, v3, s[0:1]
	ds_read_b64 v[4:5], v4 offset:2048
	v_mad_u32_u24 v12, v6, 6, v37
	s_waitcnt lgkmcnt(3)
	v_lshlrev_b64 v[8:9], 3, v[8:9]
	ds_read_b64 v[16:17], v41
	ds_read_b64 v[18:19], v12 offset:40960
	ds_read_b64 v[20:21], v42
	v_add_co_u32_e64 v8, s[0:1], s42, v8
	s_waitcnt lgkmcnt(3)
	global_store_dwordx2 v[2:3], v[4:5], off
	ds_read2st64_b64 v[2:5], v12 offset0:16 offset1:32
	v_addc_co_u32_e64 v9, s[0:1], v22, v9, s[0:1]
	v_mov_b32_e32 v22, 0x2000
	v_lshl_or_b32 v22, v6, 3, v22
	v_add_co_u32_e64 v8, s[0:1], v8, v22
	v_addc_co_u32_e64 v9, s[0:1], 0, v9, s[0:1]
	s_waitcnt lgkmcnt(0)
	global_store_dwordx2 v[8:9], v[2:3], off
	v_lshlrev_b64 v[2:3], 3, v[10:11]
	v_mov_b32_e32 v8, s43
	v_add_co_u32_e64 v2, s[0:1], s42, v2
	v_addc_co_u32_e64 v3, s[0:1], v8, v3, s[0:1]
	v_lshlrev_b32_e32 v8, 3, v38
	v_add_co_u32_e64 v2, s[0:1], v2, v8
	v_addc_co_u32_e64 v3, s[0:1], 0, v3, s[0:1]
	global_store_dwordx2 v[2:3], v[4:5], off
	ds_read2st64_b64 v[2:5], v12 offset0:48 offset1:64
	v_lshlrev_b64 v[8:9], 3, v[14:15]
	v_mov_b32_e32 v10, s43
	v_add_co_u32_e64 v8, s[0:1], s42, v8
	v_addc_co_u32_e64 v9, s[0:1], v10, v9, s[0:1]
	v_lshlrev_b32_e32 v10, 3, v39
	v_add_co_u32_e64 v8, s[0:1], v8, v10
	v_addc_co_u32_e64 v9, s[0:1], 0, v9, s[0:1]
	s_waitcnt lgkmcnt(0)
	global_store_dwordx2 v[8:9], v[2:3], off
	v_lshlrev_b64 v[2:3], 3, v[16:17]
	v_mov_b32_e32 v8, s43
	v_add_co_u32_e64 v2, s[0:1], s42, v2
	v_addc_co_u32_e64 v3, s[0:1], v8, v3, s[0:1]
	v_lshlrev_b32_e32 v8, 3, v26
	v_add_co_u32_e64 v2, s[0:1], v2, v8
	v_addc_co_u32_e64 v3, s[0:1], 0, v3, s[0:1]
	global_store_dwordx2 v[2:3], v[4:5], off
	v_lshlrev_b64 v[2:3], 3, v[20:21]
	v_mov_b32_e32 v4, s43
	v_add_co_u32_e64 v2, s[0:1], s42, v2
	v_addc_co_u32_e64 v3, s[0:1], v4, v3, s[0:1]
	v_lshlrev_b32_e32 v4, 3, v27
	v_add_co_u32_e64 v2, s[0:1], v2, v4
	v_addc_co_u32_e64 v3, s[0:1], 0, v3, s[0:1]
	s_cselect_b64 s[0:1], -1, 0
	s_and_b64 s[2:3], vcc, s[0:1]
	global_store_dwordx2 v[2:3], v[18:19], off
                                        ; implicit-def: $vgpr4_vgpr5
	s_and_saveexec_b64 s[0:1], s[2:3]
; %bb.122:
	v_add_co_u32_e32 v4, vcc, v0, v13
	v_addc_co_u32_e32 v5, vcc, 0, v1, vcc
	s_or_b64 s[10:11], s[10:11], exec
; %bb.123:
	s_or_b64 exec, exec, s[0:1]
.LBB72_124:
	s_and_saveexec_b64 s[0:1], s[10:11]
	s_cbranch_execnz .LBB72_126
; %bb.125:
	s_endpgm
.LBB72_126:
	v_lshlrev_b32_e32 v2, 3, v6
	ds_read_b64 v[2:3], v2
	v_lshlrev_b64 v[0:1], 3, v[6:7]
	v_mov_b32_e32 v6, s47
	v_add_co_u32_e32 v0, vcc, s46, v0
	v_addc_co_u32_e32 v1, vcc, v6, v1, vcc
	s_waitcnt lgkmcnt(0)
	v_add_co_u32_e32 v2, vcc, v2, v4
	v_addc_co_u32_e32 v3, vcc, v3, v5, vcc
	global_store_dwordx2 v[0:1], v[2:3], off
	s_endpgm
.LBB72_127:
	global_load_dwordx2 v[4:5], v[18:19], off
	s_or_b64 exec, exec, s[28:29]
                                        ; implicit-def: $vgpr8_vgpr9
	s_and_saveexec_b64 s[28:29], s[0:1]
	s_cbranch_execz .LBB72_59
.LBB72_128:
	global_load_dwordx2 v[8:9], v[18:19], off offset:512
	s_or_b64 exec, exec, s[28:29]
                                        ; implicit-def: $vgpr10_vgpr11
	s_and_saveexec_b64 s[0:1], s[2:3]
	s_cbranch_execz .LBB72_60
.LBB72_129:
	global_load_dwordx2 v[10:11], v[18:19], off offset:1024
	s_or_b64 exec, exec, s[0:1]
                                        ; implicit-def: $vgpr12_vgpr13
	s_and_saveexec_b64 s[0:1], s[26:27]
	s_cbranch_execz .LBB72_61
.LBB72_130:
	global_load_dwordx2 v[12:13], v[18:19], off offset:1536
	s_or_b64 exec, exec, s[0:1]
                                        ; implicit-def: $vgpr14_vgpr15
	s_and_saveexec_b64 s[0:1], s[8:9]
	s_cbranch_execz .LBB72_62
.LBB72_131:
	global_load_dwordx2 v[14:15], v[18:19], off offset:2048
	s_or_b64 exec, exec, s[0:1]
                                        ; implicit-def: $vgpr16_vgpr17
	s_and_saveexec_b64 s[0:1], s[10:11]
	s_cbranch_execnz .LBB72_63
	s_branch .LBB72_64
.LBB72_132:
	v_lshlrev_b32_e32 v5, 3, v35
	ds_read_b64 v[8:9], v5
	ds_read_b64 v[10:11], v4 offset:2048
	v_mov_b32_e32 v5, s43
	s_waitcnt lgkmcnt(1)
	v_lshlrev_b64 v[8:9], 3, v[8:9]
	v_add_co_u32_e32 v8, vcc, s42, v8
	v_addc_co_u32_e32 v5, vcc, v5, v9, vcc
	v_add_co_u32_e32 v8, vcc, v8, v4
	v_addc_co_u32_e32 v9, vcc, 0, v5, vcc
	s_waitcnt lgkmcnt(0)
	global_store_dwordx2 v[8:9], v[10:11], off
	s_or_b64 exec, exec, s[0:1]
	s_and_saveexec_b64 s[0:1], s[16:17]
	s_cbranch_execz .LBB72_78
.LBB72_133:
	v_lshlrev_b32_e32 v5, 3, v33
	ds_read_b64 v[8:9], v5
	ds_read_b64 v[10:11], v4 offset:10240
	v_mov_b32_e32 v5, s43
	s_waitcnt lgkmcnt(1)
	v_lshlrev_b64 v[8:9], 3, v[8:9]
	v_add_co_u32_e32 v8, vcc, s42, v8
	v_addc_co_u32_e32 v5, vcc, v5, v9, vcc
	v_lshlrev_b32_e32 v9, 3, v22
	v_add_co_u32_e32 v8, vcc, v8, v9
	v_addc_co_u32_e32 v9, vcc, 0, v5, vcc
	s_waitcnt lgkmcnt(0)
	global_store_dwordx2 v[8:9], v[10:11], off
	s_or_b64 exec, exec, s[0:1]
	s_and_saveexec_b64 s[0:1], s[18:19]
	s_cbranch_execz .LBB72_79
.LBB72_134:
	v_lshlrev_b32_e32 v5, 3, v34
	ds_read_b64 v[8:9], v5
	ds_read_b64 v[10:11], v4 offset:18432
	v_mov_b32_e32 v5, s43
	s_waitcnt lgkmcnt(1)
	v_lshlrev_b64 v[8:9], 3, v[8:9]
	v_add_co_u32_e32 v8, vcc, s42, v8
	v_addc_co_u32_e32 v5, vcc, v5, v9, vcc
	v_lshlrev_b32_e32 v9, 3, v28
	v_add_co_u32_e32 v8, vcc, v8, v9
	v_addc_co_u32_e32 v9, vcc, 0, v5, vcc
	s_waitcnt lgkmcnt(0)
	global_store_dwordx2 v[8:9], v[10:11], off
	s_or_b64 exec, exec, s[0:1]
	s_and_saveexec_b64 s[0:1], s[20:21]
	s_cbranch_execz .LBB72_80
.LBB72_135:
	v_lshlrev_b32_e32 v5, 3, v18
	ds_read_b64 v[8:9], v5
	ds_read_b64 v[10:11], v4 offset:26624
	v_mov_b32_e32 v5, s43
	s_waitcnt lgkmcnt(1)
	v_lshlrev_b64 v[8:9], 3, v[8:9]
	v_add_co_u32_e32 v8, vcc, s42, v8
	v_addc_co_u32_e32 v5, vcc, v5, v9, vcc
	v_lshlrev_b32_e32 v9, 3, v29
	v_add_co_u32_e32 v8, vcc, v8, v9
	v_addc_co_u32_e32 v9, vcc, 0, v5, vcc
	s_waitcnt lgkmcnt(0)
	global_store_dwordx2 v[8:9], v[10:11], off
	s_or_b64 exec, exec, s[0:1]
	s_and_saveexec_b64 s[0:1], s[22:23]
	s_cbranch_execz .LBB72_81
.LBB72_136:
	v_lshlrev_b32_e32 v5, 3, v19
	ds_read_b64 v[8:9], v5
	ds_read_b64 v[10:11], v4 offset:34816
	v_mov_b32_e32 v5, s43
	s_waitcnt lgkmcnt(1)
	v_lshlrev_b64 v[8:9], 3, v[8:9]
	v_add_co_u32_e32 v8, vcc, s42, v8
	v_addc_co_u32_e32 v5, vcc, v5, v9, vcc
	v_lshlrev_b32_e32 v9, 3, v30
	v_add_co_u32_e32 v8, vcc, v8, v9
	v_addc_co_u32_e32 v9, vcc, 0, v5, vcc
	s_waitcnt lgkmcnt(0)
	global_store_dwordx2 v[8:9], v[10:11], off
	s_or_b64 exec, exec, s[0:1]
	s_and_saveexec_b64 s[0:1], s[24:25]
	s_cbranch_execnz .LBB72_82
	s_branch .LBB72_83
	.section	.rodata,"a",@progbits
	.p2align	6, 0x0
	.amdhsa_kernel _ZN7rocprim17ROCPRIM_304000_NS6detail25onesweep_iteration_kernelINS1_34wrapped_radix_sort_onesweep_configINS0_14default_configEsN2at4cuda3cub6detail10OpaqueTypeILi8EEEEELb0EPKsPsPKSA_PSA_mNS0_19identity_decomposerEEEvT1_T2_T3_T4_jPT5_SO_PNS1_23onesweep_lookback_stateET6_jjj
		.amdhsa_group_segment_fixed_size 51200
		.amdhsa_private_segment_fixed_size 0
		.amdhsa_kernarg_size 336
		.amdhsa_user_sgpr_count 6
		.amdhsa_user_sgpr_private_segment_buffer 1
		.amdhsa_user_sgpr_dispatch_ptr 0
		.amdhsa_user_sgpr_queue_ptr 0
		.amdhsa_user_sgpr_kernarg_segment_ptr 1
		.amdhsa_user_sgpr_dispatch_id 0
		.amdhsa_user_sgpr_flat_scratch_init 0
		.amdhsa_user_sgpr_kernarg_preload_length 0
		.amdhsa_user_sgpr_kernarg_preload_offset 0
		.amdhsa_user_sgpr_private_segment_size 0
		.amdhsa_uses_dynamic_stack 0
		.amdhsa_system_sgpr_private_segment_wavefront_offset 0
		.amdhsa_system_sgpr_workgroup_id_x 1
		.amdhsa_system_sgpr_workgroup_id_y 0
		.amdhsa_system_sgpr_workgroup_id_z 0
		.amdhsa_system_sgpr_workgroup_info 0
		.amdhsa_system_vgpr_workitem_id 2
		.amdhsa_next_free_vgpr 44
		.amdhsa_next_free_sgpr 52
		.amdhsa_accum_offset 44
		.amdhsa_reserve_vcc 1
		.amdhsa_reserve_flat_scratch 0
		.amdhsa_float_round_mode_32 0
		.amdhsa_float_round_mode_16_64 0
		.amdhsa_float_denorm_mode_32 3
		.amdhsa_float_denorm_mode_16_64 3
		.amdhsa_dx10_clamp 1
		.amdhsa_ieee_mode 1
		.amdhsa_fp16_overflow 0
		.amdhsa_tg_split 0
		.amdhsa_exception_fp_ieee_invalid_op 0
		.amdhsa_exception_fp_denorm_src 0
		.amdhsa_exception_fp_ieee_div_zero 0
		.amdhsa_exception_fp_ieee_overflow 0
		.amdhsa_exception_fp_ieee_underflow 0
		.amdhsa_exception_fp_ieee_inexact 0
		.amdhsa_exception_int_div_zero 0
	.end_amdhsa_kernel
	.section	.text._ZN7rocprim17ROCPRIM_304000_NS6detail25onesweep_iteration_kernelINS1_34wrapped_radix_sort_onesweep_configINS0_14default_configEsN2at4cuda3cub6detail10OpaqueTypeILi8EEEEELb0EPKsPsPKSA_PSA_mNS0_19identity_decomposerEEEvT1_T2_T3_T4_jPT5_SO_PNS1_23onesweep_lookback_stateET6_jjj,"axG",@progbits,_ZN7rocprim17ROCPRIM_304000_NS6detail25onesweep_iteration_kernelINS1_34wrapped_radix_sort_onesweep_configINS0_14default_configEsN2at4cuda3cub6detail10OpaqueTypeILi8EEEEELb0EPKsPsPKSA_PSA_mNS0_19identity_decomposerEEEvT1_T2_T3_T4_jPT5_SO_PNS1_23onesweep_lookback_stateET6_jjj,comdat
.Lfunc_end72:
	.size	_ZN7rocprim17ROCPRIM_304000_NS6detail25onesweep_iteration_kernelINS1_34wrapped_radix_sort_onesweep_configINS0_14default_configEsN2at4cuda3cub6detail10OpaqueTypeILi8EEEEELb0EPKsPsPKSA_PSA_mNS0_19identity_decomposerEEEvT1_T2_T3_T4_jPT5_SO_PNS1_23onesweep_lookback_stateET6_jjj, .Lfunc_end72-_ZN7rocprim17ROCPRIM_304000_NS6detail25onesweep_iteration_kernelINS1_34wrapped_radix_sort_onesweep_configINS0_14default_configEsN2at4cuda3cub6detail10OpaqueTypeILi8EEEEELb0EPKsPsPKSA_PSA_mNS0_19identity_decomposerEEEvT1_T2_T3_T4_jPT5_SO_PNS1_23onesweep_lookback_stateET6_jjj
                                        ; -- End function
	.section	.AMDGPU.csdata,"",@progbits
; Kernel info:
; codeLenInByte = 11612
; NumSgprs: 56
; NumVgprs: 44
; NumAgprs: 0
; TotalNumVgprs: 44
; ScratchSize: 0
; MemoryBound: 0
; FloatMode: 240
; IeeeMode: 1
; LDSByteSize: 51200 bytes/workgroup (compile time only)
; SGPRBlocks: 6
; VGPRBlocks: 5
; NumSGPRsForWavesPerEU: 56
; NumVGPRsForWavesPerEU: 44
; AccumOffset: 44
; Occupancy: 4
; WaveLimiterHint : 1
; COMPUTE_PGM_RSRC2:SCRATCH_EN: 0
; COMPUTE_PGM_RSRC2:USER_SGPR: 6
; COMPUTE_PGM_RSRC2:TRAP_HANDLER: 0
; COMPUTE_PGM_RSRC2:TGID_X_EN: 1
; COMPUTE_PGM_RSRC2:TGID_Y_EN: 0
; COMPUTE_PGM_RSRC2:TGID_Z_EN: 0
; COMPUTE_PGM_RSRC2:TIDIG_COMP_CNT: 2
; COMPUTE_PGM_RSRC3_GFX90A:ACCUM_OFFSET: 10
; COMPUTE_PGM_RSRC3_GFX90A:TG_SPLIT: 0
	.section	.text._ZN7rocprim17ROCPRIM_304000_NS6detail25onesweep_iteration_kernelINS1_34wrapped_radix_sort_onesweep_configINS0_14default_configEsN2at4cuda3cub6detail10OpaqueTypeILi8EEEEELb0EPsSC_PSA_SD_mNS0_19identity_decomposerEEEvT1_T2_T3_T4_jPT5_SK_PNS1_23onesweep_lookback_stateET6_jjj,"axG",@progbits,_ZN7rocprim17ROCPRIM_304000_NS6detail25onesweep_iteration_kernelINS1_34wrapped_radix_sort_onesweep_configINS0_14default_configEsN2at4cuda3cub6detail10OpaqueTypeILi8EEEEELb0EPsSC_PSA_SD_mNS0_19identity_decomposerEEEvT1_T2_T3_T4_jPT5_SK_PNS1_23onesweep_lookback_stateET6_jjj,comdat
	.protected	_ZN7rocprim17ROCPRIM_304000_NS6detail25onesweep_iteration_kernelINS1_34wrapped_radix_sort_onesweep_configINS0_14default_configEsN2at4cuda3cub6detail10OpaqueTypeILi8EEEEELb0EPsSC_PSA_SD_mNS0_19identity_decomposerEEEvT1_T2_T3_T4_jPT5_SK_PNS1_23onesweep_lookback_stateET6_jjj ; -- Begin function _ZN7rocprim17ROCPRIM_304000_NS6detail25onesweep_iteration_kernelINS1_34wrapped_radix_sort_onesweep_configINS0_14default_configEsN2at4cuda3cub6detail10OpaqueTypeILi8EEEEELb0EPsSC_PSA_SD_mNS0_19identity_decomposerEEEvT1_T2_T3_T4_jPT5_SK_PNS1_23onesweep_lookback_stateET6_jjj
	.globl	_ZN7rocprim17ROCPRIM_304000_NS6detail25onesweep_iteration_kernelINS1_34wrapped_radix_sort_onesweep_configINS0_14default_configEsN2at4cuda3cub6detail10OpaqueTypeILi8EEEEELb0EPsSC_PSA_SD_mNS0_19identity_decomposerEEEvT1_T2_T3_T4_jPT5_SK_PNS1_23onesweep_lookback_stateET6_jjj
	.p2align	8
	.type	_ZN7rocprim17ROCPRIM_304000_NS6detail25onesweep_iteration_kernelINS1_34wrapped_radix_sort_onesweep_configINS0_14default_configEsN2at4cuda3cub6detail10OpaqueTypeILi8EEEEELb0EPsSC_PSA_SD_mNS0_19identity_decomposerEEEvT1_T2_T3_T4_jPT5_SK_PNS1_23onesweep_lookback_stateET6_jjj,@function
_ZN7rocprim17ROCPRIM_304000_NS6detail25onesweep_iteration_kernelINS1_34wrapped_radix_sort_onesweep_configINS0_14default_configEsN2at4cuda3cub6detail10OpaqueTypeILi8EEEEELb0EPsSC_PSA_SD_mNS0_19identity_decomposerEEEvT1_T2_T3_T4_jPT5_SK_PNS1_23onesweep_lookback_stateET6_jjj: ; @_ZN7rocprim17ROCPRIM_304000_NS6detail25onesweep_iteration_kernelINS1_34wrapped_radix_sort_onesweep_configINS0_14default_configEsN2at4cuda3cub6detail10OpaqueTypeILi8EEEEELb0EPsSC_PSA_SD_mNS0_19identity_decomposerEEEvT1_T2_T3_T4_jPT5_SK_PNS1_23onesweep_lookback_stateET6_jjj
; %bb.0:
	s_load_dwordx4 s[48:51], s[4:5], 0x44
	s_load_dwordx8 s[36:43], s[4:5], 0x0
	s_load_dwordx4 s[44:47], s[4:5], 0x28
	s_load_dwordx2 s[34:35], s[4:5], 0x38
	s_mul_i32 s30, s6, 0x1800
	s_waitcnt lgkmcnt(0)
	s_cmp_ge_u32 s6, s50
	v_mbcnt_lo_u32_b32 v1, -1, 0
	s_cbranch_scc0 .LBB73_86
; %bb.1:
	s_load_dword s2, s[4:5], 0x20
	s_mulk_i32 s50, 0xe800
	s_mov_b32 s31, 0
	v_and_b32_e32 v6, 0x3ff, v0
	s_lshl_b64 s[0:1], s[30:31], 1
	s_waitcnt lgkmcnt(0)
	s_add_i32 s50, s50, s2
	s_add_u32 s0, s36, s0
	v_mbcnt_hi_u32_b32 v12, -1, v1
	v_and_b32_e32 v2, 0x3c0, v6
	s_addc_u32 s1, s37, s1
	v_mul_u32_u24_e32 v7, 6, v2
	v_lshlrev_b32_e32 v2, 1, v12
	v_mov_b32_e32 v3, s1
	v_add_co_u32_e32 v2, vcc, s0, v2
	v_addc_co_u32_e32 v3, vcc, 0, v3, vcc
	v_lshlrev_b32_e32 v4, 1, v7
	s_mov_b32 s0, 0x7fff7fff
	v_add_co_u32_e32 v8, vcc, v2, v4
	s_mov_b32 s2, s0
	v_addc_co_u32_e32 v9, vcc, 0, v3, vcc
	v_or_b32_e32 v10, v12, v7
	s_mov_b32 s1, s0
	v_pk_mov_b32 v[4:5], s[2:3], s[2:3] op_sel:[0,1]
	v_cmp_gt_u32_e32 vcc, s50, v10
	v_pk_mov_b32 v[2:3], s[0:1], s[0:1] op_sel:[0,1]
	s_and_saveexec_b64 s[0:1], vcc
	s_cbranch_execz .LBB73_3
; %bb.2:
	global_load_ushort v2, v[8:9], off
	s_movk_i32 s2, 0x7fff
	v_mov_b32_e32 v4, 0x5040100
	v_mov_b32_e32 v3, 0x7fff7fff
	s_waitcnt vmcnt(0)
	v_perm_b32 v2, s2, v2, v4
	v_mov_b32_e32 v4, v3
.LBB73_3:
	s_or_b64 exec, exec, s[0:1]
	v_add_u32_e32 v5, 64, v10
	v_cmp_gt_u32_e64 s[0:1], s50, v5
	s_and_saveexec_b64 s[2:3], s[0:1]
	s_cbranch_execz .LBB73_5
; %bb.4:
	global_load_ushort v5, v[8:9], off offset:128
	s_mov_b32 s7, 0x5040100
	s_waitcnt vmcnt(0)
	v_perm_b32 v2, v5, v2, s7
.LBB73_5:
	s_or_b64 exec, exec, s[2:3]
	v_add_u32_e32 v5, 0x80, v10
	v_cmp_gt_u32_e64 s[2:3], s50, v5
	s_and_saveexec_b64 s[8:9], s[2:3]
	s_cbranch_execz .LBB73_7
; %bb.6:
	global_load_ushort v5, v[8:9], off offset:256
	s_mov_b32 s7, 0xffff
	s_waitcnt vmcnt(0)
	v_bfi_b32 v3, s7, v5, v3
.LBB73_7:
	s_or_b64 exec, exec, s[8:9]
	v_add_u32_e32 v5, 0xc0, v10
	v_cmp_gt_u32_e64 s[26:27], s50, v5
	s_and_saveexec_b64 s[8:9], s[26:27]
	s_cbranch_execz .LBB73_9
; %bb.8:
	global_load_ushort v5, v[8:9], off offset:384
	s_mov_b32 s7, 0x5040100
	s_waitcnt vmcnt(0)
	v_perm_b32 v3, v5, v3, s7
.LBB73_9:
	s_or_b64 exec, exec, s[8:9]
	v_add_u32_e32 v5, 0x100, v10
	v_cmp_gt_u32_e64 s[8:9], s50, v5
	s_and_saveexec_b64 s[10:11], s[8:9]
	s_cbranch_execz .LBB73_11
; %bb.10:
	global_load_ushort v5, v[8:9], off offset:512
	s_mov_b32 s7, 0xffff
	s_waitcnt vmcnt(0)
	v_bfi_b32 v4, s7, v5, v4
.LBB73_11:
	s_or_b64 exec, exec, s[10:11]
	v_add_u32_e32 v5, 0x140, v10
	v_cmp_gt_u32_e64 s[10:11], s50, v5
	s_and_saveexec_b64 s[12:13], s[10:11]
	s_cbranch_execz .LBB73_13
; %bb.12:
	global_load_ushort v5, v[8:9], off offset:640
	s_mov_b32 s7, 0x5040100
	s_waitcnt vmcnt(0)
	v_perm_b32 v4, v5, v4, s7
.LBB73_13:
	s_or_b64 exec, exec, s[12:13]
	s_load_dword s12, s[4:5], 0x5c
	s_load_dword s7, s[4:5], 0x50
	s_add_u32 s13, s4, 0x50
	s_addc_u32 s14, s5, 0
	v_mov_b32_e32 v8, 0
	s_waitcnt lgkmcnt(0)
	s_lshr_b32 s15, s12, 16
	s_cmp_lt_u32 s6, s7
	s_cselect_b32 s12, 12, 18
	s_add_u32 s12, s13, s12
	s_addc_u32 s13, s14, 0
	global_load_ushort v5, v8, s[12:13]
	v_xor_b32_e32 v13, 0xffff8000, v2
	v_mul_u32_u24_e32 v11, 5, v6
	s_lshl_b32 s12, -1, s49
	v_lshlrev_b32_e32 v14, 2, v11
	v_lshrrev_b32_sdwa v11, s48, v13 dst_sel:DWORD dst_unused:UNUSED_PAD src0_sel:DWORD src1_sel:WORD_0
	s_not_b32 s33, s12
	v_and_b32_e32 v11, s33, v11
	v_and_b32_e32 v16, 1, v11
	v_bfe_u32 v9, v0, 10, 10
	v_bfe_u32 v10, v0, 20, 10
	v_add_co_u32_e64 v17, s[12:13], -1, v16
	v_mad_u32_u24 v10, v10, s15, v9
	v_lshlrev_b32_e32 v9, 30, v11
	v_addc_co_u32_e64 v18, s[12:13], 0, -1, s[12:13]
	v_cmp_ne_u32_e64 s[12:13], 0, v16
	v_cmp_gt_i64_e64 s[14:15], 0, v[8:9]
	v_not_b32_e32 v16, v9
	v_lshlrev_b32_e32 v9, 29, v11
	v_xor_b32_e32 v18, s13, v18
	v_xor_b32_e32 v17, s12, v17
	v_ashrrev_i32_e32 v16, 31, v16
	v_cmp_gt_i64_e64 s[12:13], 0, v[8:9]
	v_not_b32_e32 v19, v9
	v_lshlrev_b32_e32 v9, 28, v11
	v_and_b32_e32 v18, exec_hi, v18
	v_and_b32_e32 v17, exec_lo, v17
	v_xor_b32_e32 v20, s15, v16
	v_xor_b32_e32 v16, s14, v16
	v_ashrrev_i32_e32 v19, 31, v19
	v_cmp_gt_i64_e64 s[14:15], 0, v[8:9]
	v_not_b32_e32 v21, v9
	v_lshlrev_b32_e32 v9, 27, v11
	v_and_b32_e32 v18, v18, v20
	v_and_b32_e32 v16, v17, v16
	v_xor_b32_e32 v17, s13, v19
	v_xor_b32_e32 v19, s12, v19
	v_ashrrev_i32_e32 v20, 31, v21
	v_cmp_gt_i64_e64 s[12:13], 0, v[8:9]
	v_not_b32_e32 v21, v9
	v_lshlrev_b32_e32 v9, 26, v11
	v_and_b32_e32 v17, v18, v17
	v_and_b32_e32 v16, v16, v19
	;; [unrolled: 8-line block ×3, first 2 shown]
	v_xor_b32_e32 v18, s13, v20
	v_xor_b32_e32 v19, s12, v20
	v_ashrrev_i32_e32 v20, 31, v21
	v_not_b32_e32 v21, v9
	v_mul_u32_u24_e32 v15, 17, v11
	v_cmp_gt_i64_e64 s[12:13], 0, v[8:9]
	v_lshlrev_b32_e32 v9, 24, v11
	v_and_b32_e32 v11, v17, v18
	v_and_b32_e32 v16, v16, v19
	v_xor_b32_e32 v17, s15, v20
	v_ashrrev_i32_e32 v19, 31, v21
	v_xor_b32_e32 v18, s14, v20
	v_cmp_gt_i64_e64 s[14:15], 0, v[8:9]
	v_and_b32_e32 v11, v11, v17
	v_xor_b32_e32 v17, s13, v19
	v_not_b32_e32 v9, v9
	v_and_b32_e32 v16, v16, v18
	v_xor_b32_e32 v18, s12, v19
	v_and_b32_e32 v17, v11, v17
	v_ashrrev_i32_e32 v9, 31, v9
	v_and_b32_e32 v16, v16, v18
	s_movk_i32 s16, 0x8000
	ds_write2_b32 v14, v8, v8 offset0:16 offset1:17
	ds_write2_b32 v14, v8, v8 offset0:18 offset1:19
	ds_write_b32 v14, v8 offset:80
	s_waitcnt lgkmcnt(0)
	s_barrier
	s_waitcnt vmcnt(0)
	v_mad_u64_u32 v[10:11], s[12:13], v10, v5, v[6:7]
	v_lshrrev_b32_e32 v5, 6, v10
	v_xor_b32_e32 v10, s15, v9
	v_xor_b32_e32 v9, s14, v9
	v_and_b32_e32 v11, v17, v10
	v_and_b32_e32 v10, v16, v9
	v_mbcnt_lo_u32_b32 v9, v10, 0
	v_add_lshl_u32 v18, v5, v15, 2
	v_mbcnt_hi_u32_b32 v15, v11, v9
	v_cmp_eq_u32_e64 s[12:13], 0, v15
	v_cmp_ne_u64_e64 s[14:15], 0, v[10:11]
	s_and_b64 s[14:15], s[14:15], s[12:13]
	; wave barrier
	s_and_saveexec_b64 s[12:13], s[14:15]
	s_cbranch_execz .LBB73_15
; %bb.14:
	v_bcnt_u32_b32 v9, v10, 0
	v_bcnt_u32_b32 v9, v11, v9
	ds_write_b32 v18, v9 offset:64
.LBB73_15:
	s_or_b64 exec, exec, s[12:13]
	v_xor_b32_sdwa v16, v2, s16 dst_sel:DWORD dst_unused:UNUSED_PAD src0_sel:WORD_1 src1_sel:DWORD
	v_lshrrev_b32_sdwa v2, s48, v16 dst_sel:DWORD dst_unused:UNUSED_PAD src0_sel:DWORD src1_sel:WORD_0
	v_and_b32_e32 v2, s33, v2
	v_mul_u32_u24_e32 v9, 17, v2
	v_add_lshl_u32 v19, v5, v9, 2
	v_and_b32_e32 v9, 1, v2
	v_add_co_u32_e64 v10, s[12:13], -1, v9
	v_addc_co_u32_e64 v11, s[12:13], 0, -1, s[12:13]
	v_cmp_ne_u32_e64 s[12:13], 0, v9
	v_xor_b32_e32 v9, s13, v11
	v_and_b32_e32 v11, exec_hi, v9
	v_lshlrev_b32_e32 v9, 30, v2
	v_xor_b32_e32 v10, s12, v10
	v_cmp_gt_i64_e64 s[12:13], 0, v[8:9]
	v_not_b32_e32 v9, v9
	v_ashrrev_i32_e32 v9, 31, v9
	v_and_b32_e32 v10, exec_lo, v10
	v_xor_b32_e32 v20, s13, v9
	v_xor_b32_e32 v9, s12, v9
	v_and_b32_e32 v10, v10, v9
	v_lshlrev_b32_e32 v9, 29, v2
	v_cmp_gt_i64_e64 s[12:13], 0, v[8:9]
	v_not_b32_e32 v9, v9
	v_ashrrev_i32_e32 v9, 31, v9
	v_and_b32_e32 v11, v11, v20
	v_xor_b32_e32 v20, s13, v9
	v_xor_b32_e32 v9, s12, v9
	v_and_b32_e32 v10, v10, v9
	v_lshlrev_b32_e32 v9, 28, v2
	v_cmp_gt_i64_e64 s[12:13], 0, v[8:9]
	v_not_b32_e32 v9, v9
	v_ashrrev_i32_e32 v9, 31, v9
	v_and_b32_e32 v11, v11, v20
	;; [unrolled: 8-line block ×5, first 2 shown]
	v_xor_b32_e32 v20, s13, v9
	v_xor_b32_e32 v9, s12, v9
	v_and_b32_e32 v10, v10, v9
	v_lshlrev_b32_e32 v9, 24, v2
	v_not_b32_e32 v2, v9
	v_cmp_gt_i64_e64 s[12:13], 0, v[8:9]
	v_ashrrev_i32_e32 v2, 31, v2
	v_and_b32_e32 v11, v11, v20
	v_xor_b32_e32 v8, s13, v2
	v_xor_b32_e32 v2, s12, v2
	; wave barrier
	ds_read_b32 v17, v19 offset:64
	v_and_b32_e32 v9, v11, v8
	v_and_b32_e32 v8, v10, v2
	v_mbcnt_lo_u32_b32 v2, v8, 0
	v_mbcnt_hi_u32_b32 v21, v9, v2
	v_cmp_eq_u32_e64 s[12:13], 0, v21
	v_cmp_ne_u64_e64 s[14:15], 0, v[8:9]
	s_and_b64 s[14:15], s[14:15], s[12:13]
	; wave barrier
	s_and_saveexec_b64 s[12:13], s[14:15]
	s_cbranch_execz .LBB73_17
; %bb.16:
	v_bcnt_u32_b32 v2, v8, 0
	v_bcnt_u32_b32 v2, v9, v2
	s_waitcnt lgkmcnt(0)
	v_add_u32_e32 v2, v17, v2
	ds_write_b32 v19, v2 offset:64
.LBB73_17:
	s_or_b64 exec, exec, s[12:13]
	v_xor_b32_e32 v22, 0xffff8000, v3
	v_lshrrev_b32_sdwa v2, s48, v22 dst_sel:DWORD dst_unused:UNUSED_PAD src0_sel:DWORD src1_sel:WORD_0
	v_and_b32_e32 v2, s33, v2
	v_and_b32_e32 v9, 1, v2
	v_add_co_u32_e64 v10, s[12:13], -1, v9
	v_addc_co_u32_e64 v11, s[12:13], 0, -1, s[12:13]
	v_cmp_ne_u32_e64 s[12:13], 0, v9
	v_mul_u32_u24_e32 v8, 17, v2
	v_xor_b32_e32 v9, s13, v11
	v_add_lshl_u32 v20, v5, v8, 2
	v_mov_b32_e32 v8, 0
	v_and_b32_e32 v11, exec_hi, v9
	v_lshlrev_b32_e32 v9, 30, v2
	v_xor_b32_e32 v10, s12, v10
	v_cmp_gt_i64_e64 s[12:13], 0, v[8:9]
	v_not_b32_e32 v9, v9
	v_ashrrev_i32_e32 v9, 31, v9
	v_and_b32_e32 v10, exec_lo, v10
	v_xor_b32_e32 v24, s13, v9
	v_xor_b32_e32 v9, s12, v9
	v_and_b32_e32 v10, v10, v9
	v_lshlrev_b32_e32 v9, 29, v2
	v_cmp_gt_i64_e64 s[12:13], 0, v[8:9]
	v_not_b32_e32 v9, v9
	v_ashrrev_i32_e32 v9, 31, v9
	v_and_b32_e32 v11, v11, v24
	v_xor_b32_e32 v24, s13, v9
	v_xor_b32_e32 v9, s12, v9
	v_and_b32_e32 v10, v10, v9
	v_lshlrev_b32_e32 v9, 28, v2
	v_cmp_gt_i64_e64 s[12:13], 0, v[8:9]
	v_not_b32_e32 v9, v9
	v_ashrrev_i32_e32 v9, 31, v9
	v_and_b32_e32 v11, v11, v24
	;; [unrolled: 8-line block ×5, first 2 shown]
	v_xor_b32_e32 v24, s13, v9
	v_xor_b32_e32 v9, s12, v9
	v_and_b32_e32 v10, v10, v9
	v_lshlrev_b32_e32 v9, 24, v2
	v_not_b32_e32 v2, v9
	v_cmp_gt_i64_e64 s[12:13], 0, v[8:9]
	v_ashrrev_i32_e32 v2, 31, v2
	v_xor_b32_e32 v9, s13, v2
	v_xor_b32_e32 v2, s12, v2
	; wave barrier
	ds_read_b32 v23, v20 offset:64
	v_and_b32_e32 v11, v11, v24
	v_and_b32_e32 v10, v10, v2
	;; [unrolled: 1-line block ×3, first 2 shown]
	v_mbcnt_lo_u32_b32 v2, v10, 0
	v_mbcnt_hi_u32_b32 v24, v11, v2
	v_cmp_eq_u32_e64 s[12:13], 0, v24
	v_cmp_ne_u64_e64 s[14:15], 0, v[10:11]
	s_and_b64 s[14:15], s[14:15], s[12:13]
	; wave barrier
	s_and_saveexec_b64 s[12:13], s[14:15]
	s_cbranch_execz .LBB73_19
; %bb.18:
	v_bcnt_u32_b32 v2, v10, 0
	v_bcnt_u32_b32 v2, v11, v2
	s_waitcnt lgkmcnt(0)
	v_add_u32_e32 v2, v23, v2
	ds_write_b32 v20, v2 offset:64
.LBB73_19:
	s_or_b64 exec, exec, s[12:13]
	v_xor_b32_sdwa v10, v3, s16 dst_sel:DWORD dst_unused:UNUSED_PAD src0_sel:WORD_1 src1_sel:DWORD
	v_lshrrev_b32_sdwa v2, s48, v10 dst_sel:DWORD dst_unused:UNUSED_PAD src0_sel:DWORD src1_sel:WORD_0
	v_and_b32_e32 v2, s33, v2
	v_mul_u32_u24_e32 v3, 17, v2
	v_add_lshl_u32 v25, v5, v3, 2
	v_and_b32_e32 v3, 1, v2
	v_add_co_u32_e64 v9, s[12:13], -1, v3
	v_addc_co_u32_e64 v26, s[12:13], 0, -1, s[12:13]
	v_cmp_ne_u32_e64 s[12:13], 0, v3
	v_xor_b32_e32 v9, s12, v9
	v_xor_b32_e32 v3, s13, v26
	v_and_b32_e32 v26, exec_lo, v9
	v_lshlrev_b32_e32 v9, 30, v2
	v_cmp_gt_i64_e64 s[12:13], 0, v[8:9]
	v_not_b32_e32 v9, v9
	v_ashrrev_i32_e32 v9, 31, v9
	v_xor_b32_e32 v27, s13, v9
	v_xor_b32_e32 v9, s12, v9
	v_and_b32_e32 v26, v26, v9
	v_lshlrev_b32_e32 v9, 29, v2
	v_cmp_gt_i64_e64 s[12:13], 0, v[8:9]
	v_not_b32_e32 v9, v9
	v_and_b32_e32 v3, exec_hi, v3
	v_ashrrev_i32_e32 v9, 31, v9
	v_and_b32_e32 v3, v3, v27
	v_xor_b32_e32 v27, s13, v9
	v_xor_b32_e32 v9, s12, v9
	v_and_b32_e32 v26, v26, v9
	v_lshlrev_b32_e32 v9, 28, v2
	v_cmp_gt_i64_e64 s[12:13], 0, v[8:9]
	v_not_b32_e32 v9, v9
	v_ashrrev_i32_e32 v9, 31, v9
	v_and_b32_e32 v3, v3, v27
	v_xor_b32_e32 v27, s13, v9
	v_xor_b32_e32 v9, s12, v9
	v_and_b32_e32 v26, v26, v9
	v_lshlrev_b32_e32 v9, 27, v2
	v_cmp_gt_i64_e64 s[12:13], 0, v[8:9]
	v_not_b32_e32 v9, v9
	;; [unrolled: 8-line block ×4, first 2 shown]
	v_ashrrev_i32_e32 v9, 31, v9
	v_and_b32_e32 v3, v3, v27
	v_xor_b32_e32 v27, s13, v9
	v_xor_b32_e32 v9, s12, v9
	v_and_b32_e32 v26, v26, v9
	v_lshlrev_b32_e32 v9, 24, v2
	v_not_b32_e32 v2, v9
	v_cmp_gt_i64_e64 s[12:13], 0, v[8:9]
	v_ashrrev_i32_e32 v2, 31, v2
	v_xor_b32_e32 v8, s13, v2
	v_xor_b32_e32 v2, s12, v2
	; wave barrier
	ds_read_b32 v11, v25 offset:64
	v_and_b32_e32 v3, v3, v27
	v_and_b32_e32 v2, v26, v2
	;; [unrolled: 1-line block ×3, first 2 shown]
	v_mbcnt_lo_u32_b32 v8, v2, 0
	v_mbcnt_hi_u32_b32 v28, v3, v8
	v_cmp_eq_u32_e64 s[12:13], 0, v28
	v_cmp_ne_u64_e64 s[14:15], 0, v[2:3]
	s_and_b64 s[14:15], s[14:15], s[12:13]
	; wave barrier
	s_and_saveexec_b64 s[12:13], s[14:15]
	s_cbranch_execz .LBB73_21
; %bb.20:
	v_bcnt_u32_b32 v2, v2, 0
	v_bcnt_u32_b32 v2, v3, v2
	s_waitcnt lgkmcnt(0)
	v_add_u32_e32 v2, v11, v2
	ds_write_b32 v25, v2 offset:64
.LBB73_21:
	s_or_b64 exec, exec, s[12:13]
	v_xor_b32_e32 v29, 0xffff8000, v4
	v_lshrrev_b32_sdwa v2, s48, v29 dst_sel:DWORD dst_unused:UNUSED_PAD src0_sel:DWORD src1_sel:WORD_0
	v_and_b32_e32 v8, s33, v2
	v_and_b32_e32 v3, 1, v8
	v_add_co_u32_e64 v9, s[12:13], -1, v3
	v_addc_co_u32_e64 v27, s[12:13], 0, -1, s[12:13]
	v_cmp_ne_u32_e64 s[12:13], 0, v3
	v_mul_u32_u24_e32 v2, 17, v8
	v_xor_b32_e32 v3, s13, v27
	v_add_lshl_u32 v26, v5, v2, 2
	v_mov_b32_e32 v2, 0
	v_and_b32_e32 v27, exec_hi, v3
	v_lshlrev_b32_e32 v3, 30, v8
	v_xor_b32_e32 v9, s12, v9
	v_cmp_gt_i64_e64 s[12:13], 0, v[2:3]
	v_not_b32_e32 v3, v3
	v_ashrrev_i32_e32 v3, 31, v3
	v_and_b32_e32 v9, exec_lo, v9
	v_xor_b32_e32 v31, s13, v3
	v_xor_b32_e32 v3, s12, v3
	v_and_b32_e32 v9, v9, v3
	v_lshlrev_b32_e32 v3, 29, v8
	v_cmp_gt_i64_e64 s[12:13], 0, v[2:3]
	v_not_b32_e32 v3, v3
	v_ashrrev_i32_e32 v3, 31, v3
	v_and_b32_e32 v27, v27, v31
	v_xor_b32_e32 v31, s13, v3
	v_xor_b32_e32 v3, s12, v3
	v_and_b32_e32 v9, v9, v3
	v_lshlrev_b32_e32 v3, 28, v8
	v_cmp_gt_i64_e64 s[12:13], 0, v[2:3]
	v_not_b32_e32 v3, v3
	v_ashrrev_i32_e32 v3, 31, v3
	v_and_b32_e32 v27, v27, v31
	;; [unrolled: 8-line block ×5, first 2 shown]
	v_xor_b32_e32 v31, s13, v3
	v_xor_b32_e32 v3, s12, v3
	v_and_b32_e32 v27, v27, v31
	v_and_b32_e32 v31, v9, v3
	v_lshlrev_b32_e32 v3, 24, v8
	v_cmp_gt_i64_e64 s[12:13], 0, v[2:3]
	v_not_b32_e32 v3, v3
	v_ashrrev_i32_e32 v3, 31, v3
	v_xor_b32_e32 v8, s13, v3
	v_xor_b32_e32 v3, s12, v3
	; wave barrier
	ds_read_b32 v30, v26 offset:64
	v_and_b32_e32 v9, v27, v8
	v_and_b32_e32 v8, v31, v3
	v_mbcnt_lo_u32_b32 v3, v8, 0
	v_mbcnt_hi_u32_b32 v31, v9, v3
	v_cmp_eq_u32_e64 s[12:13], 0, v31
	v_cmp_ne_u64_e64 s[14:15], 0, v[8:9]
	s_and_b64 s[14:15], s[14:15], s[12:13]
	; wave barrier
	s_and_saveexec_b64 s[12:13], s[14:15]
	s_cbranch_execz .LBB73_23
; %bb.22:
	v_bcnt_u32_b32 v3, v8, 0
	v_bcnt_u32_b32 v3, v9, v3
	s_waitcnt lgkmcnt(0)
	v_add_u32_e32 v3, v30, v3
	ds_write_b32 v26, v3 offset:64
.LBB73_23:
	s_or_b64 exec, exec, s[12:13]
	v_xor_b32_sdwa v8, v4, s16 dst_sel:DWORD dst_unused:UNUSED_PAD src0_sel:WORD_1 src1_sel:DWORD
	v_lshrrev_b32_sdwa v3, s48, v8 dst_sel:DWORD dst_unused:UNUSED_PAD src0_sel:DWORD src1_sel:WORD_0
	v_and_b32_e32 v4, s33, v3
	v_mul_u32_u24_e32 v3, 17, v4
	v_add_lshl_u32 v27, v5, v3, 2
	v_and_b32_e32 v3, 1, v4
	v_add_co_u32_e64 v5, s[12:13], -1, v3
	v_addc_co_u32_e64 v33, s[12:13], 0, -1, s[12:13]
	v_cmp_ne_u32_e64 s[12:13], 0, v3
	v_xor_b32_e32 v3, s13, v33
	v_and_b32_e32 v33, exec_hi, v3
	v_lshlrev_b32_e32 v3, 30, v4
	v_xor_b32_e32 v5, s12, v5
	v_cmp_gt_i64_e64 s[12:13], 0, v[2:3]
	v_not_b32_e32 v3, v3
	v_ashrrev_i32_e32 v3, 31, v3
	v_and_b32_e32 v5, exec_lo, v5
	v_xor_b32_e32 v34, s13, v3
	v_xor_b32_e32 v3, s12, v3
	v_and_b32_e32 v5, v5, v3
	v_lshlrev_b32_e32 v3, 29, v4
	v_cmp_gt_i64_e64 s[12:13], 0, v[2:3]
	v_not_b32_e32 v3, v3
	v_ashrrev_i32_e32 v3, 31, v3
	v_and_b32_e32 v33, v33, v34
	v_xor_b32_e32 v34, s13, v3
	v_xor_b32_e32 v3, s12, v3
	v_and_b32_e32 v5, v5, v3
	v_lshlrev_b32_e32 v3, 28, v4
	v_cmp_gt_i64_e64 s[12:13], 0, v[2:3]
	v_not_b32_e32 v3, v3
	v_ashrrev_i32_e32 v3, 31, v3
	v_and_b32_e32 v33, v33, v34
	;; [unrolled: 8-line block ×5, first 2 shown]
	v_xor_b32_e32 v34, s13, v3
	v_xor_b32_e32 v3, s12, v3
	v_and_b32_e32 v5, v5, v3
	v_lshlrev_b32_e32 v3, 24, v4
	v_cmp_gt_i64_e64 s[12:13], 0, v[2:3]
	v_not_b32_e32 v2, v3
	v_ashrrev_i32_e32 v2, 31, v2
	v_xor_b32_e32 v3, s13, v2
	v_xor_b32_e32 v2, s12, v2
	; wave barrier
	ds_read_b32 v9, v27 offset:64
	v_and_b32_e32 v33, v33, v34
	v_and_b32_e32 v2, v5, v2
	;; [unrolled: 1-line block ×3, first 2 shown]
	v_mbcnt_lo_u32_b32 v4, v2, 0
	v_mbcnt_hi_u32_b32 v33, v3, v4
	v_cmp_eq_u32_e64 s[12:13], 0, v33
	v_cmp_ne_u64_e64 s[14:15], 0, v[2:3]
	v_add_u32_e32 v32, 64, v14
	s_and_b64 s[14:15], s[14:15], s[12:13]
	; wave barrier
	s_and_saveexec_b64 s[12:13], s[14:15]
	s_cbranch_execz .LBB73_25
; %bb.24:
	v_bcnt_u32_b32 v2, v2, 0
	v_bcnt_u32_b32 v2, v3, v2
	s_waitcnt lgkmcnt(0)
	v_add_u32_e32 v2, v9, v2
	ds_write_b32 v27, v2 offset:64
.LBB73_25:
	s_or_b64 exec, exec, s[12:13]
	; wave barrier
	s_waitcnt lgkmcnt(0)
	s_barrier
	ds_read2_b32 v[4:5], v14 offset0:16 offset1:17
	ds_read2_b32 v[2:3], v32 offset0:2 offset1:3
	ds_read_b32 v34, v32 offset:16
	v_cmp_lt_u32_e64 s[20:21], 31, v12
	s_waitcnt lgkmcnt(1)
	v_add3_u32 v35, v5, v4, v2
	s_waitcnt lgkmcnt(0)
	v_add3_u32 v34, v35, v3, v34
	v_and_b32_e32 v35, 15, v12
	v_cmp_eq_u32_e64 s[12:13], 0, v35
	v_mov_b32_dpp v36, v34 row_shr:1 row_mask:0xf bank_mask:0xf
	v_cndmask_b32_e64 v36, v36, 0, s[12:13]
	v_add_u32_e32 v34, v36, v34
	v_cmp_lt_u32_e64 s[14:15], 1, v35
	v_cmp_lt_u32_e64 s[16:17], 3, v35
	v_mov_b32_dpp v36, v34 row_shr:2 row_mask:0xf bank_mask:0xf
	v_cndmask_b32_e64 v36, 0, v36, s[14:15]
	v_add_u32_e32 v34, v34, v36
	v_cmp_lt_u32_e64 s[18:19], 7, v35
	s_nop 0
	v_mov_b32_dpp v36, v34 row_shr:4 row_mask:0xf bank_mask:0xf
	v_cndmask_b32_e64 v36, 0, v36, s[16:17]
	v_add_u32_e32 v34, v34, v36
	s_nop 1
	v_mov_b32_dpp v36, v34 row_shr:8 row_mask:0xf bank_mask:0xf
	v_cndmask_b32_e64 v35, 0, v36, s[18:19]
	v_add_u32_e32 v34, v34, v35
	v_bfe_i32 v36, v12, 4, 1
	s_nop 0
	v_mov_b32_dpp v35, v34 row_bcast:15 row_mask:0xf bank_mask:0xf
	v_and_b32_e32 v35, v36, v35
	v_add_u32_e32 v34, v34, v35
	v_and_b32_e32 v36, 63, v6
	s_nop 0
	v_mov_b32_dpp v35, v34 row_bcast:31 row_mask:0xf bank_mask:0xf
	v_cndmask_b32_e64 v35, 0, v35, s[20:21]
	v_add_u32_e32 v34, v34, v35
	v_lshrrev_b32_e32 v35, 6, v6
	v_cmp_eq_u32_e64 s[20:21], 63, v36
	s_and_saveexec_b64 s[22:23], s[20:21]
	s_cbranch_execz .LBB73_27
; %bb.26:
	v_lshlrev_b32_e32 v36, 2, v35
	ds_write_b32 v36, v34
.LBB73_27:
	s_or_b64 exec, exec, s[22:23]
	v_cmp_gt_u32_e64 s[20:21], 16, v6
	s_waitcnt lgkmcnt(0)
	s_barrier
	s_and_saveexec_b64 s[22:23], s[20:21]
	s_cbranch_execz .LBB73_29
; %bb.28:
	v_lshlrev_b32_e32 v36, 2, v6
	ds_read_b32 v37, v36
	s_waitcnt lgkmcnt(0)
	s_nop 0
	v_mov_b32_dpp v38, v37 row_shr:1 row_mask:0xf bank_mask:0xf
	v_cndmask_b32_e64 v38, v38, 0, s[12:13]
	v_add_u32_e32 v37, v38, v37
	s_nop 1
	v_mov_b32_dpp v38, v37 row_shr:2 row_mask:0xf bank_mask:0xf
	v_cndmask_b32_e64 v38, 0, v38, s[14:15]
	v_add_u32_e32 v37, v37, v38
	s_nop 1
	v_mov_b32_dpp v38, v37 row_shr:4 row_mask:0xf bank_mask:0xf
	v_cndmask_b32_e64 v38, 0, v38, s[16:17]
	v_add_u32_e32 v37, v37, v38
	s_nop 1
	v_mov_b32_dpp v38, v37 row_shr:8 row_mask:0xf bank_mask:0xf
	v_cndmask_b32_e64 v38, 0, v38, s[18:19]
	v_add_u32_e32 v37, v37, v38
	ds_write_b32 v36, v37
.LBB73_29:
	s_or_b64 exec, exec, s[22:23]
	v_cmp_lt_u32_e64 s[12:13], 63, v6
	v_mov_b32_e32 v36, 0
	s_waitcnt lgkmcnt(0)
	s_barrier
	s_and_saveexec_b64 s[14:15], s[12:13]
	s_cbranch_execz .LBB73_31
; %bb.30:
	v_lshl_add_u32 v35, v35, 2, -4
	ds_read_b32 v36, v35
.LBB73_31:
	s_or_b64 exec, exec, s[14:15]
	v_add_u32_e32 v35, -1, v12
	v_and_b32_e32 v37, 64, v12
	v_cmp_lt_i32_e64 s[12:13], v35, v37
	v_cndmask_b32_e64 v35, v35, v12, s[12:13]
	s_waitcnt lgkmcnt(0)
	v_add_u32_e32 v34, v36, v34
	v_lshlrev_b32_e32 v35, 2, v35
	ds_bpermute_b32 v34, v35, v34
	v_cmp_eq_u32_e64 s[12:13], 0, v12
	s_waitcnt lgkmcnt(0)
	v_cndmask_b32_e64 v34, v34, v36, s[12:13]
	v_cmp_ne_u32_e64 s[12:13], 0, v6
	v_cndmask_b32_e64 v34, 0, v34, s[12:13]
	v_add_u32_e32 v4, v34, v4
	v_add_u32_e32 v5, v4, v5
	;; [unrolled: 1-line block ×4, first 2 shown]
	ds_write2_b32 v14, v34, v4 offset0:16 offset1:17
	ds_write2_b32 v32, v5, v2 offset0:2 offset1:3
	ds_write_b32 v32, v3 offset:16
	s_waitcnt lgkmcnt(0)
	s_barrier
	ds_read_b32 v4, v18 offset:64
	ds_read_b32 v5, v19 offset:64
	;; [unrolled: 1-line block ×6, first 2 shown]
	s_movk_i32 s12, 0x100
	v_cmp_gt_u32_e64 s[12:13], s12, v6
	v_pk_mov_b32 v[2:3], 0, 0
                                        ; implicit-def: $vgpr20
	s_and_saveexec_b64 s[16:17], s[12:13]
	s_cbranch_execz .LBB73_35
; %bb.32:
	v_mul_u32_u24_e32 v2, 17, v6
	v_lshlrev_b32_e32 v20, 2, v2
	ds_read_b32 v2, v20 offset:64
	s_movk_i32 s14, 0xff
	v_cmp_ne_u32_e64 s[14:15], s14, v6
	v_mov_b32_e32 v3, 0x1800
	s_and_saveexec_b64 s[18:19], s[14:15]
	s_cbranch_execz .LBB73_34
; %bb.33:
	ds_read_b32 v3, v20 offset:132
.LBB73_34:
	s_or_b64 exec, exec, s[18:19]
	s_waitcnt lgkmcnt(0)
	v_sub_u32_e32 v20, v3, v2
	v_mov_b32_e32 v3, 0
.LBB73_35:
	s_or_b64 exec, exec, s[16:17]
	s_waitcnt lgkmcnt(5)
	v_add_u32_e32 v27, v4, v15
	s_waitcnt lgkmcnt(4)
	v_add3_u32 v26, v21, v17, v5
	v_lshlrev_b32_e32 v4, 1, v27
	s_waitcnt lgkmcnt(3)
	v_add3_u32 v25, v24, v23, v14
	s_waitcnt lgkmcnt(0)
	s_barrier
	ds_write_b16 v4, v13 offset:2048
	v_lshlrev_b32_e32 v4, 1, v26
	v_add3_u32 v24, v28, v11, v18
	ds_write_b16 v4, v16 offset:2048
	v_lshlrev_b32_e32 v4, 1, v25
	v_add3_u32 v23, v31, v30, v19
	;; [unrolled: 3-line block ×3, first 2 shown]
	ds_write_b16 v4, v10 offset:2048
	v_lshlrev_b32_e32 v4, 1, v23
	ds_write_b16 v4, v29 offset:2048
	v_lshlrev_b32_e32 v4, 1, v21
	ds_write_b16 v4, v8 offset:2048
	s_waitcnt lgkmcnt(0)
	s_barrier
	s_and_saveexec_b64 s[16:17], s[12:13]
	s_cbranch_execz .LBB73_45
; %bb.36:
	v_lshl_or_b32 v4, s6, 8, v6
	v_mov_b32_e32 v5, 0
	v_lshlrev_b64 v[8:9], 2, v[4:5]
	v_mov_b32_e32 v13, s35
	v_add_co_u32_e64 v8, s[14:15], s34, v8
	v_addc_co_u32_e64 v9, s[14:15], v13, v9, s[14:15]
	v_or_b32_e32 v4, 2.0, v20
	s_mov_b64 s[18:19], 0
	s_brev_b32 s24, 1
	s_mov_b32 s25, s6
	v_mov_b32_e32 v14, 0
	global_store_dword v[8:9], v4, off
                                        ; implicit-def: $sgpr14_sgpr15
	s_branch .LBB73_38
.LBB73_37:                              ;   in Loop: Header=BB73_38 Depth=1
	s_or_b64 exec, exec, s[20:21]
	v_and_b32_e32 v10, 0x3fffffff, v15
	v_add_u32_e32 v14, v10, v14
	v_cmp_eq_u32_e64 s[14:15], s24, v4
	s_and_b64 s[20:21], exec, s[14:15]
	s_or_b64 s[18:19], s[20:21], s[18:19]
	s_andn2_b64 exec, exec, s[18:19]
	s_cbranch_execz .LBB73_44
.LBB73_38:                              ; =>This Loop Header: Depth=1
                                        ;     Child Loop BB73_41 Depth 2
	s_or_b64 s[14:15], s[14:15], exec
	s_cmp_eq_u32 s25, 0
	s_cbranch_scc1 .LBB73_43
; %bb.39:                               ;   in Loop: Header=BB73_38 Depth=1
	s_add_i32 s25, s25, -1
	v_lshl_or_b32 v4, s25, 8, v6
	v_lshlrev_b64 v[10:11], 2, v[4:5]
	v_add_co_u32_e64 v10, s[14:15], s34, v10
	v_addc_co_u32_e64 v11, s[14:15], v13, v11, s[14:15]
	global_load_dword v15, v[10:11], off glc
	s_waitcnt vmcnt(0)
	v_and_b32_e32 v4, -2.0, v15
	v_cmp_eq_u32_e64 s[14:15], 0, v4
	s_and_saveexec_b64 s[20:21], s[14:15]
	s_cbranch_execz .LBB73_37
; %bb.40:                               ;   in Loop: Header=BB73_38 Depth=1
	s_mov_b64 s[22:23], 0
.LBB73_41:                              ;   Parent Loop BB73_38 Depth=1
                                        ; =>  This Inner Loop Header: Depth=2
	global_load_dword v15, v[10:11], off glc
	s_waitcnt vmcnt(0)
	v_and_b32_e32 v4, -2.0, v15
	v_cmp_ne_u32_e64 s[14:15], 0, v4
	s_or_b64 s[22:23], s[14:15], s[22:23]
	s_andn2_b64 exec, exec, s[22:23]
	s_cbranch_execnz .LBB73_41
; %bb.42:                               ;   in Loop: Header=BB73_38 Depth=1
	s_or_b64 exec, exec, s[22:23]
	s_branch .LBB73_37
.LBB73_43:                              ;   in Loop: Header=BB73_38 Depth=1
                                        ; implicit-def: $sgpr25
	s_and_b64 s[20:21], exec, s[14:15]
	s_or_b64 s[18:19], s[20:21], s[18:19]
	s_andn2_b64 exec, exec, s[18:19]
	s_cbranch_execnz .LBB73_38
.LBB73_44:
	s_or_b64 exec, exec, s[18:19]
	v_add_u32_e32 v4, v14, v20
	v_or_b32_e32 v4, 0x80000000, v4
	global_store_dword v[8:9], v4, off
	v_lshlrev_b32_e32 v8, 3, v6
	global_load_dwordx2 v[4:5], v8, s[44:45]
	v_sub_co_u32_e64 v9, s[14:15], v14, v2
	v_subb_co_u32_e64 v10, s[14:15], 0, v3, s[14:15]
	s_waitcnt vmcnt(0)
	v_add_co_u32_e64 v4, s[14:15], v9, v4
	v_addc_co_u32_e64 v5, s[14:15], v10, v5, s[14:15]
	ds_write_b64 v8, v[4:5]
.LBB73_45:
	s_or_b64 exec, exec, s[16:17]
	v_cmp_gt_u32_e64 s[14:15], s50, v6
	v_lshlrev_b32_e32 v32, 1, v6
	s_waitcnt lgkmcnt(0)
	s_barrier
	s_and_saveexec_b64 s[18:19], s[14:15]
	s_cbranch_execz .LBB73_47
; %bb.46:
	ds_read_u16 v8, v32 offset:2048
	v_mov_b32_e32 v9, s39
	s_waitcnt lgkmcnt(0)
	v_lshrrev_b32_sdwa v4, s48, v8 dst_sel:DWORD dst_unused:UNUSED_PAD src0_sel:DWORD src1_sel:WORD_0
	v_and_b32_e32 v4, s33, v4
	v_lshlrev_b32_e32 v4, 3, v4
	ds_read_b64 v[4:5], v4
	v_xor_b32_e32 v8, 0xffff8000, v8
	s_waitcnt lgkmcnt(0)
	v_lshlrev_b64 v[4:5], 1, v[4:5]
	v_add_co_u32_e64 v4, s[16:17], s38, v4
	v_addc_co_u32_e64 v5, s[16:17], v9, v5, s[16:17]
	v_add_co_u32_e64 v4, s[16:17], v4, v32
	v_addc_co_u32_e64 v5, s[16:17], 0, v5, s[16:17]
	global_store_short v[4:5], v8, off
.LBB73_47:
	s_or_b64 exec, exec, s[18:19]
	v_or_b32_e32 v22, 0x400, v6
	v_cmp_gt_u32_e64 s[16:17], s50, v22
	s_and_saveexec_b64 s[20:21], s[16:17]
	s_cbranch_execz .LBB73_49
; %bb.48:
	ds_read_u16 v8, v32 offset:4096
	v_mov_b32_e32 v9, s39
	s_waitcnt lgkmcnt(0)
	v_lshrrev_b32_sdwa v4, s48, v8 dst_sel:DWORD dst_unused:UNUSED_PAD src0_sel:DWORD src1_sel:WORD_0
	v_and_b32_e32 v4, s33, v4
	v_lshlrev_b32_e32 v4, 3, v4
	ds_read_b64 v[4:5], v4
	v_xor_b32_e32 v8, 0xffff8000, v8
	s_waitcnt lgkmcnt(0)
	v_lshlrev_b64 v[4:5], 1, v[4:5]
	v_add_co_u32_e64 v4, s[18:19], s38, v4
	v_addc_co_u32_e64 v5, s[18:19], v9, v5, s[18:19]
	v_add_co_u32_e64 v4, s[18:19], v4, v32
	v_addc_co_u32_e64 v5, s[18:19], 0, v5, s[18:19]
	global_store_short v[4:5], v8, off offset:2048
.LBB73_49:
	s_or_b64 exec, exec, s[20:21]
	v_or_b32_e32 v28, 0x800, v6
	v_cmp_gt_u32_e64 s[18:19], s50, v28
	s_and_saveexec_b64 s[22:23], s[18:19]
	s_cbranch_execz .LBB73_51
; %bb.50:
	ds_read_u16 v8, v32 offset:6144
	v_mov_b32_e32 v9, s39
	v_lshlrev_b32_e32 v10, 1, v28
	s_waitcnt lgkmcnt(0)
	v_lshrrev_b32_sdwa v4, s48, v8 dst_sel:DWORD dst_unused:UNUSED_PAD src0_sel:DWORD src1_sel:WORD_0
	v_and_b32_e32 v4, s33, v4
	v_lshlrev_b32_e32 v4, 3, v4
	ds_read_b64 v[4:5], v4
	v_xor_b32_e32 v8, 0xffff8000, v8
	s_waitcnt lgkmcnt(0)
	v_lshlrev_b64 v[4:5], 1, v[4:5]
	v_add_co_u32_e64 v4, s[20:21], s38, v4
	v_addc_co_u32_e64 v5, s[20:21], v9, v5, s[20:21]
	v_add_co_u32_e64 v4, s[20:21], v4, v10
	v_addc_co_u32_e64 v5, s[20:21], 0, v5, s[20:21]
	global_store_short v[4:5], v8, off
.LBB73_51:
	s_or_b64 exec, exec, s[22:23]
	v_or_b32_e32 v29, 0xc00, v6
	v_cmp_gt_u32_e64 s[20:21], s50, v29
	s_and_saveexec_b64 s[24:25], s[20:21]
	s_cbranch_execz .LBB73_53
; %bb.52:
	ds_read_u16 v8, v32 offset:8192
	v_mov_b32_e32 v9, s39
	v_lshlrev_b32_e32 v10, 1, v29
	s_waitcnt lgkmcnt(0)
	v_lshrrev_b32_sdwa v4, s48, v8 dst_sel:DWORD dst_unused:UNUSED_PAD src0_sel:DWORD src1_sel:WORD_0
	v_and_b32_e32 v4, s33, v4
	v_lshlrev_b32_e32 v4, 3, v4
	ds_read_b64 v[4:5], v4
	v_xor_b32_e32 v8, 0xffff8000, v8
	s_waitcnt lgkmcnt(0)
	v_lshlrev_b64 v[4:5], 1, v[4:5]
	v_add_co_u32_e64 v4, s[22:23], s38, v4
	v_addc_co_u32_e64 v5, s[22:23], v9, v5, s[22:23]
	v_add_co_u32_e64 v4, s[22:23], v4, v10
	v_addc_co_u32_e64 v5, s[22:23], 0, v5, s[22:23]
	global_store_short v[4:5], v8, off
.LBB73_53:
	;; [unrolled: 23-line block ×4, first 2 shown]
	s_or_b64 exec, exec, s[50:51]
	s_lshl_b64 s[28:29], s[30:31], 3
	s_add_u32 s28, s40, s28
	s_addc_u32 s29, s41, s29
	v_lshlrev_b32_e32 v4, 3, v12
	v_mov_b32_e32 v5, s29
	v_add_co_u32_e64 v4, s[28:29], s28, v4
	v_addc_co_u32_e64 v5, s[28:29], 0, v5, s[28:29]
	v_lshlrev_b32_e32 v7, 3, v7
	v_add_co_u32_e64 v18, s[28:29], v4, v7
	v_addc_co_u32_e64 v19, s[28:29], 0, v5, s[28:29]
                                        ; implicit-def: $vgpr4_vgpr5
	s_and_saveexec_b64 s[28:29], vcc
	s_xor_b64 s[28:29], exec, s[28:29]
	s_cbranch_execnz .LBB73_127
; %bb.58:
	s_or_b64 exec, exec, s[28:29]
                                        ; implicit-def: $vgpr8_vgpr9
	s_and_saveexec_b64 s[28:29], s[0:1]
	s_cbranch_execnz .LBB73_128
.LBB73_59:
	s_or_b64 exec, exec, s[28:29]
                                        ; implicit-def: $vgpr10_vgpr11
	s_and_saveexec_b64 s[0:1], s[2:3]
	s_cbranch_execnz .LBB73_129
.LBB73_60:
	s_or_b64 exec, exec, s[0:1]
                                        ; implicit-def: $vgpr12_vgpr13
	s_and_saveexec_b64 s[0:1], s[26:27]
	s_cbranch_execnz .LBB73_130
.LBB73_61:
	s_or_b64 exec, exec, s[0:1]
                                        ; implicit-def: $vgpr14_vgpr15
	s_and_saveexec_b64 s[0:1], s[8:9]
	s_cbranch_execnz .LBB73_131
.LBB73_62:
	s_or_b64 exec, exec, s[0:1]
                                        ; implicit-def: $vgpr16_vgpr17
	s_and_saveexec_b64 s[0:1], s[10:11]
	s_cbranch_execz .LBB73_64
.LBB73_63:
	global_load_dwordx2 v[16:17], v[18:19], off offset:2560
.LBB73_64:
	s_or_b64 exec, exec, s[0:1]
	v_mov_b32_e32 v33, 0
	v_mov_b32_e32 v35, 0
	s_and_saveexec_b64 s[0:1], s[14:15]
	s_cbranch_execz .LBB73_66
; %bb.65:
	ds_read_u16 v7, v32 offset:2048
	s_waitcnt lgkmcnt(0)
	v_lshrrev_b32_e32 v7, s48, v7
	v_and_b32_e32 v35, s33, v7
.LBB73_66:
	s_or_b64 exec, exec, s[0:1]
	s_and_saveexec_b64 s[0:1], s[16:17]
	s_cbranch_execz .LBB73_68
; %bb.67:
	ds_read_u16 v7, v32 offset:4096
	s_waitcnt lgkmcnt(0)
	v_lshrrev_b32_e32 v7, s48, v7
	v_and_b32_e32 v33, s33, v7
.LBB73_68:
	s_or_b64 exec, exec, s[0:1]
	v_mov_b32_e32 v18, 0
	v_mov_b32_e32 v34, 0
	s_and_saveexec_b64 s[0:1], s[18:19]
	s_cbranch_execz .LBB73_70
; %bb.69:
	ds_read_u16 v7, v32 offset:6144
	s_waitcnt lgkmcnt(0)
	v_lshrrev_b32_e32 v7, s48, v7
	v_and_b32_e32 v34, s33, v7
.LBB73_70:
	s_or_b64 exec, exec, s[0:1]
	s_and_saveexec_b64 s[0:1], s[20:21]
	s_cbranch_execz .LBB73_72
; %bb.71:
	ds_read_u16 v7, v32 offset:8192
	s_waitcnt lgkmcnt(0)
	v_lshrrev_b32_e32 v7, s48, v7
	v_and_b32_e32 v18, s33, v7
.LBB73_72:
	;; [unrolled: 20-line block ×3, first 2 shown]
	s_or_b64 exec, exec, s[0:1]
	v_lshlrev_b32_e32 v27, 3, v27
	s_barrier
	s_waitcnt vmcnt(0)
	ds_write_b64 v27, v[4:5] offset:2048
	v_lshlrev_b32_e32 v4, 3, v26
	ds_write_b64 v4, v[8:9] offset:2048
	v_lshlrev_b32_e32 v4, 3, v25
	ds_write_b64 v4, v[10:11] offset:2048
	v_lshlrev_b32_e32 v4, 3, v24
	ds_write_b64 v4, v[12:13] offset:2048
	v_lshlrev_b32_e32 v4, 3, v23
	ds_write_b64 v4, v[14:15] offset:2048
	v_lshlrev_b32_e32 v4, 3, v21
	ds_write_b64 v4, v[16:17] offset:2048
	v_lshlrev_b32_e32 v4, 3, v6
	s_waitcnt lgkmcnt(0)
	s_barrier
	s_and_saveexec_b64 s[0:1], s[14:15]
	s_cbranch_execnz .LBB73_132
; %bb.77:
	s_or_b64 exec, exec, s[0:1]
	s_and_saveexec_b64 s[0:1], s[16:17]
	s_cbranch_execnz .LBB73_133
.LBB73_78:
	s_or_b64 exec, exec, s[0:1]
	s_and_saveexec_b64 s[0:1], s[18:19]
	s_cbranch_execnz .LBB73_134
.LBB73_79:
	s_or_b64 exec, exec, s[0:1]
	s_and_saveexec_b64 s[0:1], s[20:21]
	s_cbranch_execnz .LBB73_135
.LBB73_80:
	s_or_b64 exec, exec, s[0:1]
	s_and_saveexec_b64 s[0:1], s[22:23]
	s_cbranch_execnz .LBB73_136
.LBB73_81:
	s_or_b64 exec, exec, s[0:1]
	s_and_saveexec_b64 s[0:1], s[24:25]
	s_cbranch_execz .LBB73_83
.LBB73_82:
	v_lshlrev_b32_e32 v5, 3, v7
	ds_read_b64 v[8:9], v5
	ds_read_b64 v[4:5], v4 offset:43008
	v_mov_b32_e32 v7, s43
	s_waitcnt lgkmcnt(1)
	v_lshlrev_b64 v[8:9], 3, v[8:9]
	v_add_co_u32_e32 v8, vcc, s42, v8
	v_addc_co_u32_e32 v7, vcc, v7, v9, vcc
	v_lshlrev_b32_e32 v9, 3, v31
	v_add_co_u32_e32 v8, vcc, v8, v9
	v_addc_co_u32_e32 v9, vcc, 0, v7, vcc
	s_waitcnt lgkmcnt(0)
	global_store_dwordx2 v[8:9], v[4:5], off
.LBB73_83:
	s_or_b64 exec, exec, s[0:1]
	s_add_i32 s7, s7, -1
	s_cmp_eq_u32 s6, s7
	s_cselect_b64 s[0:1], -1, 0
	s_and_b64 s[2:3], s[12:13], s[0:1]
	s_mov_b64 s[0:1], 0
	s_mov_b64 s[10:11], 0
                                        ; implicit-def: $vgpr4_vgpr5
	s_and_saveexec_b64 s[8:9], s[2:3]
	s_xor_b64 s[2:3], exec, s[8:9]
; %bb.84:
	v_add_co_u32_e32 v4, vcc, v2, v20
	s_mov_b64 s[10:11], exec
	v_mov_b32_e32 v7, 0
	v_addc_co_u32_e32 v5, vcc, 0, v3, vcc
; %bb.85:
	s_or_b64 exec, exec, s[2:3]
	s_and_b64 vcc, exec, s[0:1]
	s_cbranch_vccnz .LBB73_87
	s_branch .LBB73_124
.LBB73_86:
	s_mov_b64 s[10:11], 0
                                        ; implicit-def: $vgpr4_vgpr5
                                        ; implicit-def: $vgpr6_vgpr7
	s_cbranch_execz .LBB73_124
.LBB73_87:
	v_and_b32_e32 v6, 0x3ff, v0
	s_mov_b32 s31, 0
	s_lshl_b64 s[0:1], s[30:31], 1
	v_mbcnt_hi_u32_b32 v11, -1, v1
	v_and_b32_e32 v1, 0x3c0, v6
	s_add_u32 s0, s36, s0
	v_mul_u32_u24_e32 v10, 6, v1
	v_lshlrev_b32_e32 v1, 1, v11
	v_add_co_u32_e32 v1, vcc, s0, v1
	s_load_dword s7, s[4:5], 0x50
	s_load_dword s0, s[4:5], 0x5c
	s_addc_u32 s1, s37, s1
	v_mov_b32_e32 v3, s1
	v_addc_co_u32_e32 v3, vcc, 0, v3, vcc
	v_lshlrev_b32_e32 v4, 1, v10
	s_add_u32 s1, s4, 0x50
	v_add_co_u32_e32 v12, vcc, v1, v4
	s_addc_u32 s2, s5, 0
	s_waitcnt lgkmcnt(0)
	s_lshr_b32 s3, s0, 16
	v_addc_co_u32_e32 v13, vcc, 0, v3, vcc
	s_cmp_lt_u32 s6, s7
	global_load_ushort v1, v[12:13], off
	s_cselect_b32 s0, 12, 18
	s_add_u32 s0, s1, s0
	v_mov_b32_e32 v2, 0
	s_addc_u32 s1, s2, 0
	global_load_ushort v3, v2, s[0:1]
	v_mul_u32_u24_e32 v5, 5, v6
	v_lshlrev_b32_e32 v5, 2, v5
	ds_write2_b32 v5, v2, v2 offset0:16 offset1:17
	ds_write2_b32 v5, v2, v2 offset0:18 offset1:19
	ds_write_b32 v5, v2 offset:80
	global_load_ushort v9, v[12:13], off offset:128
	global_load_ushort v15, v[12:13], off offset:256
	;; [unrolled: 1-line block ×5, first 2 shown]
	v_bfe_u32 v4, v0, 10, 10
	v_bfe_u32 v0, v0, 20, 10
	v_mad_u32_u24 v0, v0, s3, v4
	s_lshl_b32 s0, -1, s49
	s_not_b32 s14, s0
	s_waitcnt lgkmcnt(0)
	s_barrier
	s_waitcnt lgkmcnt(0)
	; wave barrier
	s_waitcnt vmcnt(6)
	v_xor_b32_e32 v4, 0xffff8000, v1
	v_lshrrev_b32_sdwa v1, s48, v4 dst_sel:DWORD dst_unused:UNUSED_PAD src0_sel:DWORD src1_sel:WORD_0
	v_and_b32_e32 v8, s14, v1
	s_waitcnt vmcnt(5)
	v_mad_u64_u32 v[0:1], s[0:1], v0, v3, v[6:7]
	v_and_b32_e32 v7, 1, v8
	v_lshrrev_b32_e32 v18, 6, v0
	v_add_co_u32_e32 v0, vcc, -1, v7
	v_lshlrev_b32_e32 v3, 30, v8
	v_addc_co_u32_e64 v12, s[0:1], 0, -1, vcc
	v_mul_u32_u24_e32 v1, 17, v8
	v_cmp_ne_u32_e32 vcc, 0, v7
	v_cmp_gt_i64_e64 s[0:1], 0, v[2:3]
	v_not_b32_e32 v13, v3
	v_lshlrev_b32_e32 v3, 29, v8
	v_add_lshl_u32 v7, v18, v1, 2
	v_xor_b32_e32 v1, vcc_hi, v12
	v_xor_b32_e32 v0, vcc_lo, v0
	v_ashrrev_i32_e32 v12, 31, v13
	v_cmp_gt_i64_e32 vcc, 0, v[2:3]
	v_not_b32_e32 v13, v3
	v_lshlrev_b32_e32 v3, 28, v8
	v_and_b32_e32 v1, exec_hi, v1
	v_and_b32_e32 v0, exec_lo, v0
	v_xor_b32_e32 v14, s1, v12
	v_xor_b32_e32 v12, s0, v12
	v_ashrrev_i32_e32 v13, 31, v13
	v_cmp_gt_i64_e64 s[0:1], 0, v[2:3]
	v_not_b32_e32 v16, v3
	v_lshlrev_b32_e32 v3, 27, v8
	v_and_b32_e32 v1, v1, v14
	v_and_b32_e32 v0, v0, v12
	v_xor_b32_e32 v12, vcc_hi, v13
	v_xor_b32_e32 v13, vcc_lo, v13
	v_ashrrev_i32_e32 v14, 31, v16
	v_cmp_gt_i64_e32 vcc, 0, v[2:3]
	v_not_b32_e32 v3, v3
	v_and_b32_e32 v1, v1, v12
	v_and_b32_e32 v0, v0, v13
	v_xor_b32_e32 v12, s1, v14
	v_xor_b32_e32 v13, s0, v14
	v_ashrrev_i32_e32 v3, 31, v3
	v_and_b32_e32 v1, v1, v12
	v_and_b32_e32 v0, v0, v13
	v_xor_b32_e32 v12, vcc_hi, v3
	v_xor_b32_e32 v3, vcc_lo, v3
	v_and_b32_e32 v0, v0, v3
	v_lshlrev_b32_e32 v3, 26, v8
	v_cmp_gt_i64_e32 vcc, 0, v[2:3]
	v_not_b32_e32 v3, v3
	v_ashrrev_i32_e32 v3, 31, v3
	v_and_b32_e32 v1, v1, v12
	v_xor_b32_e32 v12, vcc_hi, v3
	v_xor_b32_e32 v3, vcc_lo, v3
	v_and_b32_e32 v0, v0, v3
	v_lshlrev_b32_e32 v3, 25, v8
	v_cmp_gt_i64_e32 vcc, 0, v[2:3]
	v_not_b32_e32 v3, v3
	v_ashrrev_i32_e32 v3, 31, v3
	;; [unrolled: 8-line block ×3, first 2 shown]
	v_xor_b32_e32 v8, vcc_hi, v3
	v_xor_b32_e32 v3, vcc_lo, v3
	v_and_b32_e32 v1, v1, v12
	v_and_b32_e32 v0, v0, v3
	;; [unrolled: 1-line block ×3, first 2 shown]
	v_mbcnt_lo_u32_b32 v3, v0, 0
	v_mbcnt_hi_u32_b32 v8, v1, v3
	v_cmp_eq_u32_e32 vcc, 0, v8
	v_cmp_ne_u64_e64 s[0:1], 0, v[0:1]
	s_and_b64 s[2:3], s[0:1], vcc
	s_and_saveexec_b64 s[0:1], s[2:3]
	s_cbranch_execz .LBB73_89
; %bb.88:
	v_bcnt_u32_b32 v0, v0, 0
	v_bcnt_u32_b32 v0, v1, v0
	ds_write_b32 v7, v0 offset:64
.LBB73_89:
	s_or_b64 exec, exec, s[0:1]
	s_waitcnt vmcnt(4)
	v_xor_b32_e32 v9, 0xffff8000, v9
	v_lshrrev_b32_sdwa v0, s48, v9 dst_sel:DWORD dst_unused:UNUSED_PAD src0_sel:DWORD src1_sel:WORD_0
	v_and_b32_e32 v0, s14, v0
	v_mul_u32_u24_e32 v1, 17, v0
	v_add_lshl_u32 v13, v18, v1, 2
	v_and_b32_e32 v1, 1, v0
	v_add_co_u32_e32 v3, vcc, -1, v1
	v_addc_co_u32_e64 v14, s[0:1], 0, -1, vcc
	v_cmp_ne_u32_e32 vcc, 0, v1
	v_xor_b32_e32 v3, vcc_lo, v3
	v_xor_b32_e32 v1, vcc_hi, v14
	v_and_b32_e32 v14, exec_lo, v3
	v_lshlrev_b32_e32 v3, 30, v0
	v_cmp_gt_i64_e32 vcc, 0, v[2:3]
	v_not_b32_e32 v3, v3
	v_ashrrev_i32_e32 v3, 31, v3
	v_xor_b32_e32 v16, vcc_hi, v3
	v_xor_b32_e32 v3, vcc_lo, v3
	v_and_b32_e32 v14, v14, v3
	v_lshlrev_b32_e32 v3, 29, v0
	v_cmp_gt_i64_e32 vcc, 0, v[2:3]
	v_not_b32_e32 v3, v3
	v_and_b32_e32 v1, exec_hi, v1
	v_ashrrev_i32_e32 v3, 31, v3
	v_and_b32_e32 v1, v1, v16
	v_xor_b32_e32 v16, vcc_hi, v3
	v_xor_b32_e32 v3, vcc_lo, v3
	v_and_b32_e32 v14, v14, v3
	v_lshlrev_b32_e32 v3, 28, v0
	v_cmp_gt_i64_e32 vcc, 0, v[2:3]
	v_not_b32_e32 v3, v3
	v_ashrrev_i32_e32 v3, 31, v3
	v_and_b32_e32 v1, v1, v16
	v_xor_b32_e32 v16, vcc_hi, v3
	v_xor_b32_e32 v3, vcc_lo, v3
	v_and_b32_e32 v14, v14, v3
	v_lshlrev_b32_e32 v3, 27, v0
	v_cmp_gt_i64_e32 vcc, 0, v[2:3]
	v_not_b32_e32 v3, v3
	;; [unrolled: 8-line block ×4, first 2 shown]
	v_ashrrev_i32_e32 v3, 31, v3
	v_and_b32_e32 v1, v1, v16
	v_xor_b32_e32 v16, vcc_hi, v3
	v_xor_b32_e32 v3, vcc_lo, v3
	v_and_b32_e32 v14, v14, v3
	v_lshlrev_b32_e32 v3, 24, v0
	v_not_b32_e32 v0, v3
	v_cmp_gt_i64_e32 vcc, 0, v[2:3]
	v_ashrrev_i32_e32 v0, 31, v0
	v_xor_b32_e32 v2, vcc_hi, v0
	v_xor_b32_e32 v0, vcc_lo, v0
	; wave barrier
	ds_read_b32 v12, v13 offset:64
	v_and_b32_e32 v1, v1, v16
	v_and_b32_e32 v0, v14, v0
	;; [unrolled: 1-line block ×3, first 2 shown]
	v_mbcnt_lo_u32_b32 v2, v0, 0
	v_mbcnt_hi_u32_b32 v14, v1, v2
	v_cmp_eq_u32_e32 vcc, 0, v14
	v_cmp_ne_u64_e64 s[0:1], 0, v[0:1]
	s_and_b64 s[2:3], s[0:1], vcc
	; wave barrier
	s_and_saveexec_b64 s[0:1], s[2:3]
	s_cbranch_execz .LBB73_91
; %bb.90:
	v_bcnt_u32_b32 v0, v0, 0
	v_bcnt_u32_b32 v0, v1, v0
	s_waitcnt lgkmcnt(0)
	v_add_u32_e32 v0, v12, v0
	ds_write_b32 v13, v0 offset:64
.LBB73_91:
	s_or_b64 exec, exec, s[0:1]
	s_waitcnt vmcnt(3)
	v_xor_b32_e32 v15, 0xffff8000, v15
	v_lshrrev_b32_sdwa v0, s48, v15 dst_sel:DWORD dst_unused:UNUSED_PAD src0_sel:DWORD src1_sel:WORD_0
	v_and_b32_e32 v2, s14, v0
	v_and_b32_e32 v1, 1, v2
	v_add_co_u32_e32 v3, vcc, -1, v1
	v_addc_co_u32_e64 v20, s[0:1], 0, -1, vcc
	v_cmp_ne_u32_e32 vcc, 0, v1
	v_mul_u32_u24_e32 v0, 17, v2
	v_xor_b32_e32 v1, vcc_hi, v20
	v_add_lshl_u32 v19, v18, v0, 2
	v_mov_b32_e32 v0, 0
	v_and_b32_e32 v20, exec_hi, v1
	v_lshlrev_b32_e32 v1, 30, v2
	v_xor_b32_e32 v3, vcc_lo, v3
	v_cmp_gt_i64_e32 vcc, 0, v[0:1]
	v_not_b32_e32 v1, v1
	v_ashrrev_i32_e32 v1, 31, v1
	v_and_b32_e32 v3, exec_lo, v3
	v_xor_b32_e32 v22, vcc_hi, v1
	v_xor_b32_e32 v1, vcc_lo, v1
	v_and_b32_e32 v3, v3, v1
	v_lshlrev_b32_e32 v1, 29, v2
	v_cmp_gt_i64_e32 vcc, 0, v[0:1]
	v_not_b32_e32 v1, v1
	v_ashrrev_i32_e32 v1, 31, v1
	v_and_b32_e32 v20, v20, v22
	v_xor_b32_e32 v22, vcc_hi, v1
	v_xor_b32_e32 v1, vcc_lo, v1
	v_and_b32_e32 v3, v3, v1
	v_lshlrev_b32_e32 v1, 28, v2
	v_cmp_gt_i64_e32 vcc, 0, v[0:1]
	v_not_b32_e32 v1, v1
	v_ashrrev_i32_e32 v1, 31, v1
	v_and_b32_e32 v20, v20, v22
	;; [unrolled: 8-line block ×5, first 2 shown]
	v_xor_b32_e32 v22, vcc_hi, v1
	v_xor_b32_e32 v1, vcc_lo, v1
	v_and_b32_e32 v20, v20, v22
	v_and_b32_e32 v22, v3, v1
	v_lshlrev_b32_e32 v1, 24, v2
	v_cmp_gt_i64_e32 vcc, 0, v[0:1]
	v_not_b32_e32 v1, v1
	v_ashrrev_i32_e32 v1, 31, v1
	v_xor_b32_e32 v2, vcc_hi, v1
	v_xor_b32_e32 v1, vcc_lo, v1
	; wave barrier
	ds_read_b32 v16, v19 offset:64
	v_and_b32_e32 v3, v20, v2
	v_and_b32_e32 v2, v22, v1
	v_mbcnt_lo_u32_b32 v1, v2, 0
	v_mbcnt_hi_u32_b32 v20, v3, v1
	v_cmp_eq_u32_e32 vcc, 0, v20
	v_cmp_ne_u64_e64 s[0:1], 0, v[2:3]
	s_and_b64 s[2:3], s[0:1], vcc
	; wave barrier
	s_and_saveexec_b64 s[0:1], s[2:3]
	s_cbranch_execz .LBB73_93
; %bb.92:
	v_bcnt_u32_b32 v1, v2, 0
	v_bcnt_u32_b32 v1, v3, v1
	s_waitcnt lgkmcnt(0)
	v_add_u32_e32 v1, v16, v1
	ds_write_b32 v19, v1 offset:64
.LBB73_93:
	s_or_b64 exec, exec, s[0:1]
	s_waitcnt vmcnt(2)
	v_xor_b32_e32 v21, 0xffff8000, v21
	v_lshrrev_b32_sdwa v1, s48, v21 dst_sel:DWORD dst_unused:UNUSED_PAD src0_sel:DWORD src1_sel:WORD_0
	v_and_b32_e32 v2, s14, v1
	v_mul_u32_u24_e32 v1, 17, v2
	v_add_lshl_u32 v24, v18, v1, 2
	v_and_b32_e32 v1, 1, v2
	v_add_co_u32_e32 v3, vcc, -1, v1
	v_addc_co_u32_e64 v25, s[0:1], 0, -1, vcc
	v_cmp_ne_u32_e32 vcc, 0, v1
	v_xor_b32_e32 v1, vcc_hi, v25
	v_and_b32_e32 v25, exec_hi, v1
	v_lshlrev_b32_e32 v1, 30, v2
	v_xor_b32_e32 v3, vcc_lo, v3
	v_cmp_gt_i64_e32 vcc, 0, v[0:1]
	v_not_b32_e32 v1, v1
	v_ashrrev_i32_e32 v1, 31, v1
	v_and_b32_e32 v3, exec_lo, v3
	v_xor_b32_e32 v26, vcc_hi, v1
	v_xor_b32_e32 v1, vcc_lo, v1
	v_and_b32_e32 v3, v3, v1
	v_lshlrev_b32_e32 v1, 29, v2
	v_cmp_gt_i64_e32 vcc, 0, v[0:1]
	v_not_b32_e32 v1, v1
	v_ashrrev_i32_e32 v1, 31, v1
	v_and_b32_e32 v25, v25, v26
	v_xor_b32_e32 v26, vcc_hi, v1
	v_xor_b32_e32 v1, vcc_lo, v1
	v_and_b32_e32 v3, v3, v1
	v_lshlrev_b32_e32 v1, 28, v2
	v_cmp_gt_i64_e32 vcc, 0, v[0:1]
	v_not_b32_e32 v1, v1
	v_ashrrev_i32_e32 v1, 31, v1
	v_and_b32_e32 v25, v25, v26
	;; [unrolled: 8-line block ×5, first 2 shown]
	v_xor_b32_e32 v26, vcc_hi, v1
	v_xor_b32_e32 v1, vcc_lo, v1
	v_and_b32_e32 v3, v3, v1
	v_lshlrev_b32_e32 v1, 24, v2
	v_cmp_gt_i64_e32 vcc, 0, v[0:1]
	v_not_b32_e32 v0, v1
	v_ashrrev_i32_e32 v0, 31, v0
	v_xor_b32_e32 v1, vcc_hi, v0
	v_xor_b32_e32 v0, vcc_lo, v0
	; wave barrier
	ds_read_b32 v22, v24 offset:64
	v_and_b32_e32 v25, v25, v26
	v_and_b32_e32 v0, v3, v0
	;; [unrolled: 1-line block ×3, first 2 shown]
	v_mbcnt_lo_u32_b32 v2, v0, 0
	v_mbcnt_hi_u32_b32 v25, v1, v2
	v_cmp_eq_u32_e32 vcc, 0, v25
	v_cmp_ne_u64_e64 s[0:1], 0, v[0:1]
	s_and_b64 s[2:3], s[0:1], vcc
	; wave barrier
	s_and_saveexec_b64 s[0:1], s[2:3]
	s_cbranch_execz .LBB73_95
; %bb.94:
	v_bcnt_u32_b32 v0, v0, 0
	v_bcnt_u32_b32 v0, v1, v0
	s_waitcnt lgkmcnt(0)
	v_add_u32_e32 v0, v22, v0
	ds_write_b32 v24, v0 offset:64
.LBB73_95:
	s_or_b64 exec, exec, s[0:1]
	s_waitcnt vmcnt(1)
	v_xor_b32_e32 v23, 0xffff8000, v23
	v_lshrrev_b32_sdwa v0, s48, v23 dst_sel:DWORD dst_unused:UNUSED_PAD src0_sel:DWORD src1_sel:WORD_0
	v_and_b32_e32 v2, s14, v0
	v_and_b32_e32 v1, 1, v2
	v_add_co_u32_e32 v3, vcc, -1, v1
	v_addc_co_u32_e64 v28, s[0:1], 0, -1, vcc
	v_cmp_ne_u32_e32 vcc, 0, v1
	v_mul_u32_u24_e32 v0, 17, v2
	v_xor_b32_e32 v1, vcc_hi, v28
	v_add_lshl_u32 v27, v18, v0, 2
	v_mov_b32_e32 v0, 0
	v_and_b32_e32 v28, exec_hi, v1
	v_lshlrev_b32_e32 v1, 30, v2
	v_xor_b32_e32 v3, vcc_lo, v3
	v_cmp_gt_i64_e32 vcc, 0, v[0:1]
	v_not_b32_e32 v1, v1
	v_ashrrev_i32_e32 v1, 31, v1
	v_and_b32_e32 v3, exec_lo, v3
	v_xor_b32_e32 v29, vcc_hi, v1
	v_xor_b32_e32 v1, vcc_lo, v1
	v_and_b32_e32 v3, v3, v1
	v_lshlrev_b32_e32 v1, 29, v2
	v_cmp_gt_i64_e32 vcc, 0, v[0:1]
	v_not_b32_e32 v1, v1
	v_ashrrev_i32_e32 v1, 31, v1
	v_and_b32_e32 v28, v28, v29
	v_xor_b32_e32 v29, vcc_hi, v1
	v_xor_b32_e32 v1, vcc_lo, v1
	v_and_b32_e32 v3, v3, v1
	v_lshlrev_b32_e32 v1, 28, v2
	v_cmp_gt_i64_e32 vcc, 0, v[0:1]
	v_not_b32_e32 v1, v1
	v_ashrrev_i32_e32 v1, 31, v1
	v_and_b32_e32 v28, v28, v29
	;; [unrolled: 8-line block ×5, first 2 shown]
	v_xor_b32_e32 v29, vcc_hi, v1
	v_xor_b32_e32 v1, vcc_lo, v1
	v_and_b32_e32 v28, v28, v29
	v_and_b32_e32 v29, v3, v1
	v_lshlrev_b32_e32 v1, 24, v2
	v_cmp_gt_i64_e32 vcc, 0, v[0:1]
	v_not_b32_e32 v1, v1
	v_ashrrev_i32_e32 v1, 31, v1
	v_xor_b32_e32 v2, vcc_hi, v1
	v_xor_b32_e32 v1, vcc_lo, v1
	; wave barrier
	ds_read_b32 v26, v27 offset:64
	v_and_b32_e32 v3, v28, v2
	v_and_b32_e32 v2, v29, v1
	v_mbcnt_lo_u32_b32 v1, v2, 0
	v_mbcnt_hi_u32_b32 v28, v3, v1
	v_cmp_eq_u32_e32 vcc, 0, v28
	v_cmp_ne_u64_e64 s[0:1], 0, v[2:3]
	s_and_b64 s[2:3], s[0:1], vcc
	; wave barrier
	s_and_saveexec_b64 s[0:1], s[2:3]
	s_cbranch_execz .LBB73_97
; %bb.96:
	v_bcnt_u32_b32 v1, v2, 0
	v_bcnt_u32_b32 v1, v3, v1
	s_waitcnt lgkmcnt(0)
	v_add_u32_e32 v1, v26, v1
	ds_write_b32 v27, v1 offset:64
.LBB73_97:
	s_or_b64 exec, exec, s[0:1]
	s_waitcnt vmcnt(0)
	v_xor_b32_e32 v29, 0xffff8000, v17
	v_lshrrev_b32_sdwa v1, s48, v29 dst_sel:DWORD dst_unused:UNUSED_PAD src0_sel:DWORD src1_sel:WORD_0
	v_and_b32_e32 v2, s14, v1
	v_mul_u32_u24_e32 v1, 17, v2
	v_add_lshl_u32 v17, v18, v1, 2
	v_and_b32_e32 v1, 1, v2
	v_add_co_u32_e32 v3, vcc, -1, v1
	v_addc_co_u32_e64 v18, s[0:1], 0, -1, vcc
	v_cmp_ne_u32_e32 vcc, 0, v1
	v_xor_b32_e32 v1, vcc_hi, v18
	v_and_b32_e32 v18, exec_hi, v1
	v_lshlrev_b32_e32 v1, 30, v2
	v_xor_b32_e32 v3, vcc_lo, v3
	v_cmp_gt_i64_e32 vcc, 0, v[0:1]
	v_not_b32_e32 v1, v1
	v_ashrrev_i32_e32 v1, 31, v1
	v_and_b32_e32 v3, exec_lo, v3
	v_xor_b32_e32 v32, vcc_hi, v1
	v_xor_b32_e32 v1, vcc_lo, v1
	v_and_b32_e32 v3, v3, v1
	v_lshlrev_b32_e32 v1, 29, v2
	v_cmp_gt_i64_e32 vcc, 0, v[0:1]
	v_not_b32_e32 v1, v1
	v_ashrrev_i32_e32 v1, 31, v1
	v_and_b32_e32 v18, v18, v32
	v_xor_b32_e32 v32, vcc_hi, v1
	v_xor_b32_e32 v1, vcc_lo, v1
	v_and_b32_e32 v3, v3, v1
	v_lshlrev_b32_e32 v1, 28, v2
	v_cmp_gt_i64_e32 vcc, 0, v[0:1]
	v_not_b32_e32 v1, v1
	v_ashrrev_i32_e32 v1, 31, v1
	v_and_b32_e32 v18, v18, v32
	;; [unrolled: 8-line block ×5, first 2 shown]
	v_xor_b32_e32 v32, vcc_hi, v1
	v_xor_b32_e32 v1, vcc_lo, v1
	v_and_b32_e32 v3, v3, v1
	v_lshlrev_b32_e32 v1, 24, v2
	v_cmp_gt_i64_e32 vcc, 0, v[0:1]
	v_not_b32_e32 v0, v1
	v_ashrrev_i32_e32 v0, 31, v0
	v_xor_b32_e32 v1, vcc_hi, v0
	v_xor_b32_e32 v0, vcc_lo, v0
	; wave barrier
	ds_read_b32 v30, v17 offset:64
	v_and_b32_e32 v18, v18, v32
	v_and_b32_e32 v0, v3, v0
	;; [unrolled: 1-line block ×3, first 2 shown]
	v_mbcnt_lo_u32_b32 v2, v0, 0
	v_mbcnt_hi_u32_b32 v32, v1, v2
	v_cmp_eq_u32_e32 vcc, 0, v32
	v_cmp_ne_u64_e64 s[0:1], 0, v[0:1]
	v_add_u32_e32 v31, 64, v5
	s_and_b64 s[2:3], s[0:1], vcc
	; wave barrier
	s_and_saveexec_b64 s[0:1], s[2:3]
	s_cbranch_execz .LBB73_99
; %bb.98:
	v_bcnt_u32_b32 v0, v0, 0
	v_bcnt_u32_b32 v0, v1, v0
	s_waitcnt lgkmcnt(0)
	v_add_u32_e32 v0, v30, v0
	ds_write_b32 v17, v0 offset:64
.LBB73_99:
	s_or_b64 exec, exec, s[0:1]
	; wave barrier
	s_waitcnt lgkmcnt(0)
	s_barrier
	ds_read2_b32 v[2:3], v5 offset0:16 offset1:17
	ds_read2_b32 v[0:1], v31 offset0:2 offset1:3
	ds_read_b32 v18, v31 offset:16
	v_cmp_lt_u32_e64 s[8:9], 31, v11
	s_waitcnt lgkmcnt(1)
	v_add3_u32 v33, v3, v2, v0
	s_waitcnt lgkmcnt(0)
	v_add3_u32 v18, v33, v1, v18
	v_and_b32_e32 v33, 15, v11
	v_cmp_eq_u32_e32 vcc, 0, v33
	v_mov_b32_dpp v34, v18 row_shr:1 row_mask:0xf bank_mask:0xf
	v_cndmask_b32_e64 v34, v34, 0, vcc
	v_add_u32_e32 v18, v34, v18
	v_cmp_lt_u32_e64 s[0:1], 1, v33
	v_cmp_lt_u32_e64 s[2:3], 3, v33
	v_mov_b32_dpp v34, v18 row_shr:2 row_mask:0xf bank_mask:0xf
	v_cndmask_b32_e64 v34, 0, v34, s[0:1]
	v_add_u32_e32 v18, v18, v34
	v_cmp_lt_u32_e64 s[4:5], 7, v33
	s_nop 0
	v_mov_b32_dpp v34, v18 row_shr:4 row_mask:0xf bank_mask:0xf
	v_cndmask_b32_e64 v34, 0, v34, s[2:3]
	v_add_u32_e32 v18, v18, v34
	s_nop 1
	v_mov_b32_dpp v34, v18 row_shr:8 row_mask:0xf bank_mask:0xf
	v_cndmask_b32_e64 v33, 0, v34, s[4:5]
	v_add_u32_e32 v18, v18, v33
	v_bfe_i32 v34, v11, 4, 1
	s_nop 0
	v_mov_b32_dpp v33, v18 row_bcast:15 row_mask:0xf bank_mask:0xf
	v_and_b32_e32 v33, v34, v33
	v_add_u32_e32 v18, v18, v33
	v_and_b32_e32 v34, 63, v6
	s_nop 0
	v_mov_b32_dpp v33, v18 row_bcast:31 row_mask:0xf bank_mask:0xf
	v_cndmask_b32_e64 v33, 0, v33, s[8:9]
	v_add_u32_e32 v18, v18, v33
	v_lshrrev_b32_e32 v33, 6, v6
	v_cmp_eq_u32_e64 s[8:9], 63, v34
	s_and_saveexec_b64 s[12:13], s[8:9]
	s_cbranch_execz .LBB73_101
; %bb.100:
	v_lshlrev_b32_e32 v34, 2, v33
	ds_write_b32 v34, v18
.LBB73_101:
	s_or_b64 exec, exec, s[12:13]
	v_cmp_gt_u32_e64 s[8:9], 16, v6
	s_waitcnt lgkmcnt(0)
	s_barrier
	s_and_saveexec_b64 s[12:13], s[8:9]
	s_cbranch_execz .LBB73_103
; %bb.102:
	v_lshlrev_b32_e32 v34, 2, v6
	ds_read_b32 v35, v34
	s_waitcnt lgkmcnt(0)
	s_nop 0
	v_mov_b32_dpp v36, v35 row_shr:1 row_mask:0xf bank_mask:0xf
	v_cndmask_b32_e64 v36, v36, 0, vcc
	v_add_u32_e32 v35, v36, v35
	s_nop 1
	v_mov_b32_dpp v36, v35 row_shr:2 row_mask:0xf bank_mask:0xf
	v_cndmask_b32_e64 v36, 0, v36, s[0:1]
	v_add_u32_e32 v35, v35, v36
	s_nop 1
	v_mov_b32_dpp v36, v35 row_shr:4 row_mask:0xf bank_mask:0xf
	v_cndmask_b32_e64 v36, 0, v36, s[2:3]
	;; [unrolled: 4-line block ×3, first 2 shown]
	v_add_u32_e32 v35, v35, v36
	ds_write_b32 v34, v35
.LBB73_103:
	s_or_b64 exec, exec, s[12:13]
	v_cmp_lt_u32_e32 vcc, 63, v6
	v_mov_b32_e32 v34, 0
	s_waitcnt lgkmcnt(0)
	s_barrier
	s_and_saveexec_b64 s[0:1], vcc
	s_cbranch_execz .LBB73_105
; %bb.104:
	v_lshl_add_u32 v33, v33, 2, -4
	ds_read_b32 v34, v33
.LBB73_105:
	s_or_b64 exec, exec, s[0:1]
	v_add_u32_e32 v33, -1, v11
	v_and_b32_e32 v35, 64, v11
	v_cmp_lt_i32_e32 vcc, v33, v35
	v_cndmask_b32_e32 v33, v33, v11, vcc
	s_waitcnt lgkmcnt(0)
	v_add_u32_e32 v18, v34, v18
	v_lshlrev_b32_e32 v33, 2, v33
	ds_bpermute_b32 v18, v33, v18
	v_cmp_eq_u32_e32 vcc, 0, v11
	s_movk_i32 s2, 0xff
	s_movk_i32 s3, 0x100
	v_cmp_lt_u32_e64 s[0:1], s2, v6
	s_waitcnt lgkmcnt(0)
	v_cndmask_b32_e32 v18, v18, v34, vcc
	v_cmp_ne_u32_e32 vcc, 0, v6
	v_cndmask_b32_e32 v18, 0, v18, vcc
	v_add_u32_e32 v2, v18, v2
	v_add_u32_e32 v3, v2, v3
	;; [unrolled: 1-line block ×4, first 2 shown]
	ds_write2_b32 v5, v18, v2 offset0:16 offset1:17
	ds_write2_b32 v31, v3, v0 offset0:2 offset1:3
	ds_write_b32 v31, v1 offset:16
	s_waitcnt lgkmcnt(0)
	s_barrier
	ds_read_b32 v2, v7 offset:64
	ds_read_b32 v3, v13 offset:64
	;; [unrolled: 1-line block ×6, first 2 shown]
	v_cmp_gt_u32_e32 vcc, s3, v6
	v_pk_mov_b32 v[0:1], 0, 0
                                        ; implicit-def: $vgpr13
	s_and_saveexec_b64 s[4:5], vcc
	s_cbranch_execz .LBB73_109
; %bb.106:
	v_mul_u32_u24_e32 v0, 17, v6
	v_lshlrev_b32_e32 v13, 2, v0
	ds_read_b32 v0, v13 offset:64
	v_cmp_ne_u32_e64 s[2:3], s2, v6
	v_mov_b32_e32 v1, 0x1800
	s_and_saveexec_b64 s[8:9], s[2:3]
	s_cbranch_execz .LBB73_108
; %bb.107:
	ds_read_b32 v1, v13 offset:132
.LBB73_108:
	s_or_b64 exec, exec, s[8:9]
	s_waitcnt lgkmcnt(0)
	v_sub_u32_e32 v13, v1, v0
	v_mov_b32_e32 v1, 0
.LBB73_109:
	s_or_b64 exec, exec, s[4:5]
	s_waitcnt lgkmcnt(5)
	v_add_u32_e32 v19, v2, v8
	s_waitcnt lgkmcnt(4)
	v_add3_u32 v18, v14, v12, v3
	v_lshlrev_b32_e32 v2, 1, v19
	s_waitcnt lgkmcnt(3)
	v_add3_u32 v17, v20, v16, v5
	s_waitcnt lgkmcnt(0)
	s_barrier
	ds_write_b16 v2, v4 offset:2048
	v_lshlrev_b32_e32 v2, 1, v18
	v_add3_u32 v16, v25, v22, v7
	ds_write_b16 v2, v9 offset:2048
	v_lshlrev_b32_e32 v2, 1, v17
	v_add3_u32 v14, v28, v26, v24
	;; [unrolled: 3-line block ×3, first 2 shown]
	ds_write_b16 v2, v21 offset:2048
	v_lshlrev_b32_e32 v2, 1, v14
	ds_write_b16 v2, v23 offset:2048
	v_lshlrev_b32_e32 v2, 1, v12
	ds_write_b16 v2, v29 offset:2048
	s_waitcnt lgkmcnt(0)
	s_barrier
	s_and_saveexec_b64 s[2:3], s[0:1]
	s_xor_b64 s[0:1], exec, s[2:3]
; %bb.110:
	v_mov_b32_e32 v7, 0
; %bb.111:
	s_andn2_saveexec_b64 s[2:3], s[0:1]
	s_cbranch_execz .LBB73_121
; %bb.112:
	v_lshl_or_b32 v2, s6, 8, v6
	v_mov_b32_e32 v3, 0
	v_lshlrev_b64 v[4:5], 2, v[2:3]
	v_mov_b32_e32 v7, s35
	v_add_co_u32_e64 v4, s[0:1], s34, v4
	v_addc_co_u32_e64 v5, s[0:1], v7, v5, s[0:1]
	v_or_b32_e32 v2, 2.0, v13
	s_mov_b64 s[4:5], 0
	s_brev_b32 s15, 1
	s_mov_b32 s16, s6
	v_mov_b32_e32 v15, 0
	global_store_dword v[4:5], v2, off
                                        ; implicit-def: $sgpr0_sgpr1
	s_branch .LBB73_115
.LBB73_113:                             ;   in Loop: Header=BB73_115 Depth=1
	s_or_b64 exec, exec, s[12:13]
.LBB73_114:                             ;   in Loop: Header=BB73_115 Depth=1
	s_or_b64 exec, exec, s[8:9]
	v_and_b32_e32 v8, 0x3fffffff, v20
	v_add_u32_e32 v15, v8, v15
	v_cmp_eq_u32_e64 s[0:1], s15, v2
	s_and_b64 s[8:9], exec, s[0:1]
	s_or_b64 s[4:5], s[8:9], s[4:5]
	s_andn2_b64 exec, exec, s[4:5]
	s_cbranch_execz .LBB73_120
.LBB73_115:                             ; =>This Loop Header: Depth=1
                                        ;     Child Loop BB73_118 Depth 2
	s_or_b64 s[0:1], s[0:1], exec
	s_cmp_eq_u32 s16, 0
	s_cbranch_scc1 .LBB73_119
; %bb.116:                              ;   in Loop: Header=BB73_115 Depth=1
	s_add_i32 s16, s16, -1
	v_lshl_or_b32 v2, s16, 8, v6
	v_lshlrev_b64 v[8:9], 2, v[2:3]
	v_add_co_u32_e64 v8, s[0:1], s34, v8
	v_addc_co_u32_e64 v9, s[0:1], v7, v9, s[0:1]
	global_load_dword v20, v[8:9], off glc
	s_waitcnt vmcnt(0)
	v_and_b32_e32 v2, -2.0, v20
	v_cmp_eq_u32_e64 s[0:1], 0, v2
	s_and_saveexec_b64 s[8:9], s[0:1]
	s_cbranch_execz .LBB73_114
; %bb.117:                              ;   in Loop: Header=BB73_115 Depth=1
	s_mov_b64 s[12:13], 0
.LBB73_118:                             ;   Parent Loop BB73_115 Depth=1
                                        ; =>  This Inner Loop Header: Depth=2
	global_load_dword v20, v[8:9], off glc
	s_waitcnt vmcnt(0)
	v_and_b32_e32 v2, -2.0, v20
	v_cmp_ne_u32_e64 s[0:1], 0, v2
	s_or_b64 s[12:13], s[0:1], s[12:13]
	s_andn2_b64 exec, exec, s[12:13]
	s_cbranch_execnz .LBB73_118
	s_branch .LBB73_113
.LBB73_119:                             ;   in Loop: Header=BB73_115 Depth=1
                                        ; implicit-def: $sgpr16
	s_and_b64 s[8:9], exec, s[0:1]
	s_or_b64 s[4:5], s[8:9], s[4:5]
	s_andn2_b64 exec, exec, s[4:5]
	s_cbranch_execnz .LBB73_115
.LBB73_120:
	s_or_b64 exec, exec, s[4:5]
	v_add_u32_e32 v2, v15, v13
	v_or_b32_e32 v2, 0x80000000, v2
	global_store_dword v[4:5], v2, off
	v_lshlrev_b32_e32 v4, 3, v6
	global_load_dwordx2 v[2:3], v4, s[44:45]
	v_sub_co_u32_e64 v5, s[0:1], v15, v0
	v_subb_co_u32_e64 v8, s[0:1], 0, v1, s[0:1]
	v_mov_b32_e32 v7, 0
	s_waitcnt vmcnt(0)
	v_add_co_u32_e64 v2, s[0:1], v5, v2
	v_addc_co_u32_e64 v3, s[0:1], v8, v3, s[0:1]
	ds_write_b64 v4, v[2:3]
.LBB73_121:
	s_or_b64 exec, exec, s[2:3]
	v_lshlrev_b32_e32 v2, 1, v6
	s_waitcnt lgkmcnt(0)
	s_barrier
	ds_read_u16 v2, v2 offset:2048
	v_lshlrev_b32_e32 v15, 1, v6
	ds_read_u16 v20, v15 offset:4096
	ds_read_u16 v32, v15 offset:8192
	ds_read_u16 v33, v15 offset:12288
	v_mov_b32_e32 v8, s39
	v_or_b32_e32 v37, 0x800, v15
	s_waitcnt lgkmcnt(3)
	v_lshrrev_b32_sdwa v3, s48, v2 dst_sel:DWORD dst_unused:UNUSED_PAD src0_sel:DWORD src1_sel:WORD_0
	v_and_b32_e32 v3, s14, v3
	v_xor_b32_e32 v21, 0xffff8000, v2
	v_lshlrev_b32_e32 v34, 3, v3
	s_waitcnt lgkmcnt(2)
	v_lshrrev_b32_sdwa v2, s48, v20 dst_sel:DWORD dst_unused:UNUSED_PAD src0_sel:DWORD src1_sel:WORD_0
	v_and_b32_e32 v4, s14, v2
	ds_read_b64 v[2:3], v34
	v_lshlrev_b32_e32 v35, 3, v4
	ds_read_u16 v22, v15 offset:6144
	ds_read_b64 v[4:5], v35
	ds_read_u16 v36, v15 offset:10240
	s_waitcnt lgkmcnt(5)
	v_lshrrev_b32_sdwa v24, s48, v32 dst_sel:DWORD dst_unused:UNUSED_PAD src0_sel:DWORD src1_sel:WORD_0
	v_and_b32_e32 v24, s14, v24
	s_waitcnt lgkmcnt(3)
	v_lshlrev_b64 v[2:3], 1, v[2:3]
	v_add_co_u32_e64 v9, s[0:1], s38, v2
	v_addc_co_u32_e64 v23, s[0:1], v8, v3, s[0:1]
	v_lshlrev_b64 v[2:3], 1, v[6:7]
	v_add_co_u32_e64 v8, s[0:1], v9, v2
	v_addc_co_u32_e64 v9, s[0:1], v23, v3, s[0:1]
	s_waitcnt lgkmcnt(1)
	v_lshlrev_b64 v[4:5], 1, v[4:5]
	global_store_short v[8:9], v21, off
	v_mov_b32_e32 v9, s39
	v_add_co_u32_e64 v4, s[0:1], s38, v4
	v_addc_co_u32_e64 v5, s[0:1], v9, v5, s[0:1]
	v_add_co_u32_e64 v2, s[0:1], v4, v2
	v_addc_co_u32_e64 v3, s[0:1], v5, v3, s[0:1]
	s_lshl_b64 s[0:1], s[30:31], 3
	v_xor_b32_e32 v8, 0xffff8000, v20
	s_add_u32 s0, s40, s0
	global_store_short v[2:3], v8, off offset:2048
	s_addc_u32 s1, s41, s1
	v_lshlrev_b32_e32 v2, 3, v11
	v_mov_b32_e32 v3, s1
	v_add_co_u32_e64 v2, s[0:1], s0, v2
	v_addc_co_u32_e64 v3, s[0:1], 0, v3, s[0:1]
	v_lshlrev_b32_e32 v4, 3, v10
	v_add_co_u32_e64 v2, s[0:1], v2, v4
	v_addc_co_u32_e64 v3, s[0:1], 0, v3, s[0:1]
	v_lshrrev_b32_sdwa v8, s48, v22 dst_sel:DWORD dst_unused:UNUSED_PAD src0_sel:DWORD src1_sel:WORD_0
	global_load_dwordx2 v[4:5], v[2:3], off
	v_and_b32_e32 v15, s14, v8
	global_load_dwordx2 v[8:9], v[2:3], off offset:512
	global_load_dwordx2 v[10:11], v[2:3], off offset:1024
	;; [unrolled: 1-line block ×3, first 2 shown]
	v_xor_b32_e32 v39, 0xffff8000, v22
	global_load_dwordx2 v[22:23], v[2:3], off offset:2048
	v_lshlrev_b32_e32 v40, 3, v24
	global_load_dwordx2 v[2:3], v[2:3], off offset:2560
	s_waitcnt lgkmcnt(0)
	v_lshrrev_b32_sdwa v24, s48, v36 dst_sel:DWORD dst_unused:UNUSED_PAD src0_sel:DWORD src1_sel:WORD_0
	v_and_b32_e32 v24, s14, v24
	v_lshlrev_b32_e32 v15, 3, v15
	v_lshlrev_b32_e32 v41, 3, v24
	v_lshrrev_b32_sdwa v24, s48, v33 dst_sel:DWORD dst_unused:UNUSED_PAD src0_sel:DWORD src1_sel:WORD_0
	v_and_b32_e32 v26, s14, v24
	ds_read_b64 v[24:25], v15
	v_or_b32_e32 v38, 0x800, v6
	v_mov_b32_e32 v43, s39
	v_lshlrev_b32_e32 v42, 3, v26
	ds_read_b64 v[26:27], v40
	ds_read_b64 v[28:29], v41
	;; [unrolled: 1-line block ×3, first 2 shown]
	s_waitcnt lgkmcnt(3)
	v_lshlrev_b64 v[24:25], 1, v[24:25]
	v_add_co_u32_e64 v24, s[0:1], s38, v24
	v_addc_co_u32_e64 v25, s[0:1], v43, v25, s[0:1]
	v_lshlrev_b32_e32 v43, 1, v38
	v_add_co_u32_e64 v24, s[0:1], v24, v43
	v_addc_co_u32_e64 v25, s[0:1], 0, v25, s[0:1]
	global_store_short v[24:25], v39, off
	s_waitcnt lgkmcnt(2)
	v_lshlrev_b64 v[24:25], 1, v[26:27]
	v_or_b32_e32 v39, 0xc00, v6
	v_mov_b32_e32 v26, s39
	v_add_co_u32_e64 v24, s[0:1], s38, v24
	v_addc_co_u32_e64 v25, s[0:1], v26, v25, s[0:1]
	v_lshlrev_b32_e32 v26, 1, v39
	v_add_co_u32_e64 v24, s[0:1], v24, v26
	v_xor_b32_e32 v32, 0xffff8000, v32
	v_addc_co_u32_e64 v25, s[0:1], 0, v25, s[0:1]
	global_store_short v[24:25], v32, off
	s_waitcnt lgkmcnt(1)
	v_lshlrev_b64 v[24:25], 1, v[28:29]
	v_or_b32_e32 v26, 0x1000, v6
	v_mov_b32_e32 v28, s39
	v_add_co_u32_e64 v24, s[0:1], s38, v24
	v_addc_co_u32_e64 v25, s[0:1], v28, v25, s[0:1]
	v_lshlrev_b32_e32 v28, 1, v26
	v_add_co_u32_e64 v24, s[0:1], v24, v28
	v_xor_b32_e32 v27, 0xffff8000, v36
	;; [unrolled: 11-line block ×3, first 2 shown]
	v_addc_co_u32_e64 v25, s[0:1], 0, v25, s[0:1]
	v_lshlrev_b32_e32 v19, 3, v19
	global_store_short v[24:25], v28, off
	s_barrier
	s_add_i32 s7, s7, -1
	s_cmp_eq_u32 s6, s7
	s_waitcnt vmcnt(9)
	ds_write_b64 v19, v[4:5] offset:2048
	v_lshlrev_b32_e32 v4, 3, v18
	s_waitcnt vmcnt(8)
	ds_write_b64 v4, v[8:9] offset:2048
	v_lshlrev_b32_e32 v4, 3, v17
	;; [unrolled: 3-line block ×5, first 2 shown]
	s_waitcnt vmcnt(4)
	ds_write_b64 v4, v[2:3] offset:2048
	s_waitcnt lgkmcnt(0)
	s_barrier
	ds_read_b64 v[2:3], v34
	v_mov_b32_e32 v5, s43
	v_lshlrev_b32_e32 v4, 3, v6
	ds_read_b64 v[8:9], v35
	ds_read_b64 v[10:11], v15
	;; [unrolled: 1-line block ×3, first 2 shown]
	v_mov_b32_e32 v22, s43
	s_waitcnt lgkmcnt(3)
	v_lshlrev_b64 v[2:3], 3, v[2:3]
	v_add_co_u32_e64 v12, s[0:1], s42, v2
	v_addc_co_u32_e64 v5, s[0:1], v5, v3, s[0:1]
	v_lshlrev_b64 v[2:3], 3, v[6:7]
	v_add_co_u32_e64 v2, s[0:1], v12, v2
	v_addc_co_u32_e64 v3, s[0:1], v5, v3, s[0:1]
	ds_read_b64 v[4:5], v4 offset:2048
	v_mad_u32_u24 v12, v6, 6, v37
	s_waitcnt lgkmcnt(3)
	v_lshlrev_b64 v[8:9], 3, v[8:9]
	ds_read_b64 v[16:17], v41
	ds_read_b64 v[18:19], v12 offset:40960
	ds_read_b64 v[20:21], v42
	v_add_co_u32_e64 v8, s[0:1], s42, v8
	s_waitcnt lgkmcnt(3)
	global_store_dwordx2 v[2:3], v[4:5], off
	ds_read2st64_b64 v[2:5], v12 offset0:16 offset1:32
	v_addc_co_u32_e64 v9, s[0:1], v22, v9, s[0:1]
	v_mov_b32_e32 v22, 0x2000
	v_lshl_or_b32 v22, v6, 3, v22
	v_add_co_u32_e64 v8, s[0:1], v8, v22
	v_addc_co_u32_e64 v9, s[0:1], 0, v9, s[0:1]
	s_waitcnt lgkmcnt(0)
	global_store_dwordx2 v[8:9], v[2:3], off
	v_lshlrev_b64 v[2:3], 3, v[10:11]
	v_mov_b32_e32 v8, s43
	v_add_co_u32_e64 v2, s[0:1], s42, v2
	v_addc_co_u32_e64 v3, s[0:1], v8, v3, s[0:1]
	v_lshlrev_b32_e32 v8, 3, v38
	v_add_co_u32_e64 v2, s[0:1], v2, v8
	v_addc_co_u32_e64 v3, s[0:1], 0, v3, s[0:1]
	global_store_dwordx2 v[2:3], v[4:5], off
	ds_read2st64_b64 v[2:5], v12 offset0:48 offset1:64
	v_lshlrev_b64 v[8:9], 3, v[14:15]
	v_mov_b32_e32 v10, s43
	v_add_co_u32_e64 v8, s[0:1], s42, v8
	v_addc_co_u32_e64 v9, s[0:1], v10, v9, s[0:1]
	v_lshlrev_b32_e32 v10, 3, v39
	v_add_co_u32_e64 v8, s[0:1], v8, v10
	v_addc_co_u32_e64 v9, s[0:1], 0, v9, s[0:1]
	s_waitcnt lgkmcnt(0)
	global_store_dwordx2 v[8:9], v[2:3], off
	v_lshlrev_b64 v[2:3], 3, v[16:17]
	v_mov_b32_e32 v8, s43
	v_add_co_u32_e64 v2, s[0:1], s42, v2
	v_addc_co_u32_e64 v3, s[0:1], v8, v3, s[0:1]
	v_lshlrev_b32_e32 v8, 3, v26
	v_add_co_u32_e64 v2, s[0:1], v2, v8
	v_addc_co_u32_e64 v3, s[0:1], 0, v3, s[0:1]
	global_store_dwordx2 v[2:3], v[4:5], off
	v_lshlrev_b64 v[2:3], 3, v[20:21]
	v_mov_b32_e32 v4, s43
	v_add_co_u32_e64 v2, s[0:1], s42, v2
	v_addc_co_u32_e64 v3, s[0:1], v4, v3, s[0:1]
	v_lshlrev_b32_e32 v4, 3, v27
	v_add_co_u32_e64 v2, s[0:1], v2, v4
	v_addc_co_u32_e64 v3, s[0:1], 0, v3, s[0:1]
	s_cselect_b64 s[0:1], -1, 0
	s_and_b64 s[2:3], vcc, s[0:1]
	global_store_dwordx2 v[2:3], v[18:19], off
                                        ; implicit-def: $vgpr4_vgpr5
	s_and_saveexec_b64 s[0:1], s[2:3]
; %bb.122:
	v_add_co_u32_e32 v4, vcc, v0, v13
	v_addc_co_u32_e32 v5, vcc, 0, v1, vcc
	s_or_b64 s[10:11], s[10:11], exec
; %bb.123:
	s_or_b64 exec, exec, s[0:1]
.LBB73_124:
	s_and_saveexec_b64 s[0:1], s[10:11]
	s_cbranch_execnz .LBB73_126
; %bb.125:
	s_endpgm
.LBB73_126:
	v_lshlrev_b32_e32 v2, 3, v6
	ds_read_b64 v[2:3], v2
	v_lshlrev_b64 v[0:1], 3, v[6:7]
	v_mov_b32_e32 v6, s47
	v_add_co_u32_e32 v0, vcc, s46, v0
	v_addc_co_u32_e32 v1, vcc, v6, v1, vcc
	s_waitcnt lgkmcnt(0)
	v_add_co_u32_e32 v2, vcc, v2, v4
	v_addc_co_u32_e32 v3, vcc, v3, v5, vcc
	global_store_dwordx2 v[0:1], v[2:3], off
	s_endpgm
.LBB73_127:
	global_load_dwordx2 v[4:5], v[18:19], off
	s_or_b64 exec, exec, s[28:29]
                                        ; implicit-def: $vgpr8_vgpr9
	s_and_saveexec_b64 s[28:29], s[0:1]
	s_cbranch_execz .LBB73_59
.LBB73_128:
	global_load_dwordx2 v[8:9], v[18:19], off offset:512
	s_or_b64 exec, exec, s[28:29]
                                        ; implicit-def: $vgpr10_vgpr11
	s_and_saveexec_b64 s[0:1], s[2:3]
	s_cbranch_execz .LBB73_60
.LBB73_129:
	global_load_dwordx2 v[10:11], v[18:19], off offset:1024
	s_or_b64 exec, exec, s[0:1]
                                        ; implicit-def: $vgpr12_vgpr13
	s_and_saveexec_b64 s[0:1], s[26:27]
	s_cbranch_execz .LBB73_61
.LBB73_130:
	global_load_dwordx2 v[12:13], v[18:19], off offset:1536
	s_or_b64 exec, exec, s[0:1]
                                        ; implicit-def: $vgpr14_vgpr15
	s_and_saveexec_b64 s[0:1], s[8:9]
	s_cbranch_execz .LBB73_62
.LBB73_131:
	global_load_dwordx2 v[14:15], v[18:19], off offset:2048
	s_or_b64 exec, exec, s[0:1]
                                        ; implicit-def: $vgpr16_vgpr17
	s_and_saveexec_b64 s[0:1], s[10:11]
	s_cbranch_execnz .LBB73_63
	s_branch .LBB73_64
.LBB73_132:
	v_lshlrev_b32_e32 v5, 3, v35
	ds_read_b64 v[8:9], v5
	ds_read_b64 v[10:11], v4 offset:2048
	v_mov_b32_e32 v5, s43
	s_waitcnt lgkmcnt(1)
	v_lshlrev_b64 v[8:9], 3, v[8:9]
	v_add_co_u32_e32 v8, vcc, s42, v8
	v_addc_co_u32_e32 v5, vcc, v5, v9, vcc
	v_add_co_u32_e32 v8, vcc, v8, v4
	v_addc_co_u32_e32 v9, vcc, 0, v5, vcc
	s_waitcnt lgkmcnt(0)
	global_store_dwordx2 v[8:9], v[10:11], off
	s_or_b64 exec, exec, s[0:1]
	s_and_saveexec_b64 s[0:1], s[16:17]
	s_cbranch_execz .LBB73_78
.LBB73_133:
	v_lshlrev_b32_e32 v5, 3, v33
	ds_read_b64 v[8:9], v5
	ds_read_b64 v[10:11], v4 offset:10240
	v_mov_b32_e32 v5, s43
	s_waitcnt lgkmcnt(1)
	v_lshlrev_b64 v[8:9], 3, v[8:9]
	v_add_co_u32_e32 v8, vcc, s42, v8
	v_addc_co_u32_e32 v5, vcc, v5, v9, vcc
	v_lshlrev_b32_e32 v9, 3, v22
	v_add_co_u32_e32 v8, vcc, v8, v9
	v_addc_co_u32_e32 v9, vcc, 0, v5, vcc
	s_waitcnt lgkmcnt(0)
	global_store_dwordx2 v[8:9], v[10:11], off
	s_or_b64 exec, exec, s[0:1]
	s_and_saveexec_b64 s[0:1], s[18:19]
	s_cbranch_execz .LBB73_79
.LBB73_134:
	v_lshlrev_b32_e32 v5, 3, v34
	ds_read_b64 v[8:9], v5
	ds_read_b64 v[10:11], v4 offset:18432
	v_mov_b32_e32 v5, s43
	s_waitcnt lgkmcnt(1)
	v_lshlrev_b64 v[8:9], 3, v[8:9]
	v_add_co_u32_e32 v8, vcc, s42, v8
	v_addc_co_u32_e32 v5, vcc, v5, v9, vcc
	v_lshlrev_b32_e32 v9, 3, v28
	v_add_co_u32_e32 v8, vcc, v8, v9
	v_addc_co_u32_e32 v9, vcc, 0, v5, vcc
	s_waitcnt lgkmcnt(0)
	global_store_dwordx2 v[8:9], v[10:11], off
	s_or_b64 exec, exec, s[0:1]
	s_and_saveexec_b64 s[0:1], s[20:21]
	s_cbranch_execz .LBB73_80
.LBB73_135:
	v_lshlrev_b32_e32 v5, 3, v18
	ds_read_b64 v[8:9], v5
	ds_read_b64 v[10:11], v4 offset:26624
	v_mov_b32_e32 v5, s43
	s_waitcnt lgkmcnt(1)
	v_lshlrev_b64 v[8:9], 3, v[8:9]
	v_add_co_u32_e32 v8, vcc, s42, v8
	v_addc_co_u32_e32 v5, vcc, v5, v9, vcc
	v_lshlrev_b32_e32 v9, 3, v29
	v_add_co_u32_e32 v8, vcc, v8, v9
	v_addc_co_u32_e32 v9, vcc, 0, v5, vcc
	s_waitcnt lgkmcnt(0)
	global_store_dwordx2 v[8:9], v[10:11], off
	s_or_b64 exec, exec, s[0:1]
	s_and_saveexec_b64 s[0:1], s[22:23]
	s_cbranch_execz .LBB73_81
.LBB73_136:
	v_lshlrev_b32_e32 v5, 3, v19
	ds_read_b64 v[8:9], v5
	ds_read_b64 v[10:11], v4 offset:34816
	v_mov_b32_e32 v5, s43
	s_waitcnt lgkmcnt(1)
	v_lshlrev_b64 v[8:9], 3, v[8:9]
	v_add_co_u32_e32 v8, vcc, s42, v8
	v_addc_co_u32_e32 v5, vcc, v5, v9, vcc
	v_lshlrev_b32_e32 v9, 3, v30
	v_add_co_u32_e32 v8, vcc, v8, v9
	v_addc_co_u32_e32 v9, vcc, 0, v5, vcc
	s_waitcnt lgkmcnt(0)
	global_store_dwordx2 v[8:9], v[10:11], off
	s_or_b64 exec, exec, s[0:1]
	s_and_saveexec_b64 s[0:1], s[24:25]
	s_cbranch_execnz .LBB73_82
	s_branch .LBB73_83
	.section	.rodata,"a",@progbits
	.p2align	6, 0x0
	.amdhsa_kernel _ZN7rocprim17ROCPRIM_304000_NS6detail25onesweep_iteration_kernelINS1_34wrapped_radix_sort_onesweep_configINS0_14default_configEsN2at4cuda3cub6detail10OpaqueTypeILi8EEEEELb0EPsSC_PSA_SD_mNS0_19identity_decomposerEEEvT1_T2_T3_T4_jPT5_SK_PNS1_23onesweep_lookback_stateET6_jjj
		.amdhsa_group_segment_fixed_size 51200
		.amdhsa_private_segment_fixed_size 0
		.amdhsa_kernarg_size 336
		.amdhsa_user_sgpr_count 6
		.amdhsa_user_sgpr_private_segment_buffer 1
		.amdhsa_user_sgpr_dispatch_ptr 0
		.amdhsa_user_sgpr_queue_ptr 0
		.amdhsa_user_sgpr_kernarg_segment_ptr 1
		.amdhsa_user_sgpr_dispatch_id 0
		.amdhsa_user_sgpr_flat_scratch_init 0
		.amdhsa_user_sgpr_kernarg_preload_length 0
		.amdhsa_user_sgpr_kernarg_preload_offset 0
		.amdhsa_user_sgpr_private_segment_size 0
		.amdhsa_uses_dynamic_stack 0
		.amdhsa_system_sgpr_private_segment_wavefront_offset 0
		.amdhsa_system_sgpr_workgroup_id_x 1
		.amdhsa_system_sgpr_workgroup_id_y 0
		.amdhsa_system_sgpr_workgroup_id_z 0
		.amdhsa_system_sgpr_workgroup_info 0
		.amdhsa_system_vgpr_workitem_id 2
		.amdhsa_next_free_vgpr 44
		.amdhsa_next_free_sgpr 52
		.amdhsa_accum_offset 44
		.amdhsa_reserve_vcc 1
		.amdhsa_reserve_flat_scratch 0
		.amdhsa_float_round_mode_32 0
		.amdhsa_float_round_mode_16_64 0
		.amdhsa_float_denorm_mode_32 3
		.amdhsa_float_denorm_mode_16_64 3
		.amdhsa_dx10_clamp 1
		.amdhsa_ieee_mode 1
		.amdhsa_fp16_overflow 0
		.amdhsa_tg_split 0
		.amdhsa_exception_fp_ieee_invalid_op 0
		.amdhsa_exception_fp_denorm_src 0
		.amdhsa_exception_fp_ieee_div_zero 0
		.amdhsa_exception_fp_ieee_overflow 0
		.amdhsa_exception_fp_ieee_underflow 0
		.amdhsa_exception_fp_ieee_inexact 0
		.amdhsa_exception_int_div_zero 0
	.end_amdhsa_kernel
	.section	.text._ZN7rocprim17ROCPRIM_304000_NS6detail25onesweep_iteration_kernelINS1_34wrapped_radix_sort_onesweep_configINS0_14default_configEsN2at4cuda3cub6detail10OpaqueTypeILi8EEEEELb0EPsSC_PSA_SD_mNS0_19identity_decomposerEEEvT1_T2_T3_T4_jPT5_SK_PNS1_23onesweep_lookback_stateET6_jjj,"axG",@progbits,_ZN7rocprim17ROCPRIM_304000_NS6detail25onesweep_iteration_kernelINS1_34wrapped_radix_sort_onesweep_configINS0_14default_configEsN2at4cuda3cub6detail10OpaqueTypeILi8EEEEELb0EPsSC_PSA_SD_mNS0_19identity_decomposerEEEvT1_T2_T3_T4_jPT5_SK_PNS1_23onesweep_lookback_stateET6_jjj,comdat
.Lfunc_end73:
	.size	_ZN7rocprim17ROCPRIM_304000_NS6detail25onesweep_iteration_kernelINS1_34wrapped_radix_sort_onesweep_configINS0_14default_configEsN2at4cuda3cub6detail10OpaqueTypeILi8EEEEELb0EPsSC_PSA_SD_mNS0_19identity_decomposerEEEvT1_T2_T3_T4_jPT5_SK_PNS1_23onesweep_lookback_stateET6_jjj, .Lfunc_end73-_ZN7rocprim17ROCPRIM_304000_NS6detail25onesweep_iteration_kernelINS1_34wrapped_radix_sort_onesweep_configINS0_14default_configEsN2at4cuda3cub6detail10OpaqueTypeILi8EEEEELb0EPsSC_PSA_SD_mNS0_19identity_decomposerEEEvT1_T2_T3_T4_jPT5_SK_PNS1_23onesweep_lookback_stateET6_jjj
                                        ; -- End function
	.section	.AMDGPU.csdata,"",@progbits
; Kernel info:
; codeLenInByte = 11612
; NumSgprs: 56
; NumVgprs: 44
; NumAgprs: 0
; TotalNumVgprs: 44
; ScratchSize: 0
; MemoryBound: 0
; FloatMode: 240
; IeeeMode: 1
; LDSByteSize: 51200 bytes/workgroup (compile time only)
; SGPRBlocks: 6
; VGPRBlocks: 5
; NumSGPRsForWavesPerEU: 56
; NumVGPRsForWavesPerEU: 44
; AccumOffset: 44
; Occupancy: 4
; WaveLimiterHint : 1
; COMPUTE_PGM_RSRC2:SCRATCH_EN: 0
; COMPUTE_PGM_RSRC2:USER_SGPR: 6
; COMPUTE_PGM_RSRC2:TRAP_HANDLER: 0
; COMPUTE_PGM_RSRC2:TGID_X_EN: 1
; COMPUTE_PGM_RSRC2:TGID_Y_EN: 0
; COMPUTE_PGM_RSRC2:TGID_Z_EN: 0
; COMPUTE_PGM_RSRC2:TIDIG_COMP_CNT: 2
; COMPUTE_PGM_RSRC3_GFX90A:ACCUM_OFFSET: 10
; COMPUTE_PGM_RSRC3_GFX90A:TG_SPLIT: 0
	.section	.text._ZN7rocprim17ROCPRIM_304000_NS6detail28radix_sort_block_sort_kernelINS1_36wrapped_radix_sort_block_sort_configINS0_13kernel_configILj256ELj4ELj4294967295EEEiN2at4cuda3cub6detail10OpaqueTypeILi8EEEEELb1EPKiPiPKSB_PSB_NS0_19identity_decomposerEEEvT1_T2_T3_T4_jT5_jj,"axG",@progbits,_ZN7rocprim17ROCPRIM_304000_NS6detail28radix_sort_block_sort_kernelINS1_36wrapped_radix_sort_block_sort_configINS0_13kernel_configILj256ELj4ELj4294967295EEEiN2at4cuda3cub6detail10OpaqueTypeILi8EEEEELb1EPKiPiPKSB_PSB_NS0_19identity_decomposerEEEvT1_T2_T3_T4_jT5_jj,comdat
	.protected	_ZN7rocprim17ROCPRIM_304000_NS6detail28radix_sort_block_sort_kernelINS1_36wrapped_radix_sort_block_sort_configINS0_13kernel_configILj256ELj4ELj4294967295EEEiN2at4cuda3cub6detail10OpaqueTypeILi8EEEEELb1EPKiPiPKSB_PSB_NS0_19identity_decomposerEEEvT1_T2_T3_T4_jT5_jj ; -- Begin function _ZN7rocprim17ROCPRIM_304000_NS6detail28radix_sort_block_sort_kernelINS1_36wrapped_radix_sort_block_sort_configINS0_13kernel_configILj256ELj4ELj4294967295EEEiN2at4cuda3cub6detail10OpaqueTypeILi8EEEEELb1EPKiPiPKSB_PSB_NS0_19identity_decomposerEEEvT1_T2_T3_T4_jT5_jj
	.globl	_ZN7rocprim17ROCPRIM_304000_NS6detail28radix_sort_block_sort_kernelINS1_36wrapped_radix_sort_block_sort_configINS0_13kernel_configILj256ELj4ELj4294967295EEEiN2at4cuda3cub6detail10OpaqueTypeILi8EEEEELb1EPKiPiPKSB_PSB_NS0_19identity_decomposerEEEvT1_T2_T3_T4_jT5_jj
	.p2align	8
	.type	_ZN7rocprim17ROCPRIM_304000_NS6detail28radix_sort_block_sort_kernelINS1_36wrapped_radix_sort_block_sort_configINS0_13kernel_configILj256ELj4ELj4294967295EEEiN2at4cuda3cub6detail10OpaqueTypeILi8EEEEELb1EPKiPiPKSB_PSB_NS0_19identity_decomposerEEEvT1_T2_T3_T4_jT5_jj,@function
_ZN7rocprim17ROCPRIM_304000_NS6detail28radix_sort_block_sort_kernelINS1_36wrapped_radix_sort_block_sort_configINS0_13kernel_configILj256ELj4ELj4294967295EEEiN2at4cuda3cub6detail10OpaqueTypeILi8EEEEELb1EPKiPiPKSB_PSB_NS0_19identity_decomposerEEEvT1_T2_T3_T4_jT5_jj: ; @_ZN7rocprim17ROCPRIM_304000_NS6detail28radix_sort_block_sort_kernelINS1_36wrapped_radix_sort_block_sort_configINS0_13kernel_configILj256ELj4ELj4294967295EEEiN2at4cuda3cub6detail10OpaqueTypeILi8EEEEELb1EPKiPiPKSB_PSB_NS0_19identity_decomposerEEEvT1_T2_T3_T4_jT5_jj
; %bb.0:
	s_load_dword s2, s[4:5], 0x20
	s_load_dwordx8 s[36:43], s[4:5], 0x0
	s_lshl_b32 s28, s6, 10
	s_mov_b32 s29, 0
	v_mbcnt_lo_u32_b32 v1, -1, 0
	s_waitcnt lgkmcnt(0)
	s_lshr_b32 s0, s2, 10
	s_cmp_lg_u32 s6, s0
	s_cselect_b64 s[30:31], -1, 0
	s_lshl_b64 s[34:35], s[28:29], 2
	v_and_b32_e32 v8, 0x3ff, v0
	s_add_u32 s1, s36, s34
	v_mbcnt_hi_u32_b32 v1, -1, v1
	s_addc_u32 s3, s37, s35
	v_lshlrev_b32_e32 v9, 2, v8
	v_lshlrev_b32_e32 v2, 2, v1
	v_and_b32_e32 v10, 0x300, v9
	v_mov_b32_e32 v3, s3
	v_add_co_u32_e32 v2, vcc, s1, v2
	v_addc_co_u32_e32 v3, vcc, 0, v3, vcc
	v_lshlrev_b32_e32 v4, 2, v10
	v_add_co_u32_e32 v6, vcc, v2, v4
	s_cmp_eq_u32 s6, s0
	v_addc_co_u32_e32 v7, vcc, 0, v3, vcc
	v_lshlrev_b32_e32 v15, 3, v1
	v_lshlrev_b32_e32 v14, 3, v10
	v_add_u32_e32 v11, v1, v10
	s_cbranch_scc1 .LBB74_2
; %bb.1:
	s_lshl_b64 s[0:1], s[28:29], 3
	s_add_u32 s0, s40, s0
	s_addc_u32 s1, s41, s1
	v_mov_b32_e32 v12, s1
	v_add_co_u32_e32 v13, vcc, s0, v15
	v_addc_co_u32_e32 v16, vcc, 0, v12, vcc
	v_add_co_u32_e32 v12, vcc, v13, v14
	v_addc_co_u32_e32 v13, vcc, 0, v16, vcc
	global_load_dword v2, v[6:7], off
	global_load_dword v3, v[6:7], off offset:256
	global_load_dword v4, v[6:7], off offset:512
	;; [unrolled: 1-line block ×3, first 2 shown]
	global_load_dwordx2 v[20:21], v[12:13], off
	global_load_dwordx2 v[22:23], v[12:13], off offset:512
	global_load_dwordx2 v[24:25], v[12:13], off offset:1024
	;; [unrolled: 1-line block ×3, first 2 shown]
	v_add_u32_e32 v16, v1, v10
	v_add_u32_e32 v10, 64, v16
	;; [unrolled: 1-line block ×4, first 2 shown]
	s_sub_i32 s33, s2, s28
	s_cbranch_execz .LBB74_3
	s_branch .LBB74_17
.LBB74_2:
                                        ; implicit-def: $vgpr2_vgpr3_vgpr4_vgpr5
                                        ; implicit-def: $vgpr20_vgpr21
                                        ; implicit-def: $vgpr22_vgpr23
                                        ; implicit-def: $vgpr24_vgpr25
                                        ; implicit-def: $vgpr26_vgpr27
                                        ; implicit-def: $vgpr16
                                        ; implicit-def: $vgpr10
                                        ; implicit-def: $vgpr12
                                        ; implicit-def: $vgpr13
	s_sub_i32 s33, s2, s28
.LBB74_3:
	s_brev_b32 s0, 1
	s_mov_b32 s2, s0
	s_mov_b32 s3, s0
	;; [unrolled: 1-line block ×3, first 2 shown]
	s_waitcnt vmcnt(4)
	v_pk_mov_b32 v[4:5], s[2:3], s[2:3] op_sel:[0,1]
	v_cmp_gt_u32_e32 vcc, s33, v11
	v_pk_mov_b32 v[2:3], s[0:1], s[0:1] op_sel:[0,1]
	s_and_saveexec_b64 s[0:1], vcc
	s_cbranch_execz .LBB74_5
; %bb.4:
	global_load_dword v2, v[6:7], off
	v_bfrev_b32_e32 v3, 1
	v_mov_b32_e32 v4, v3
	v_mov_b32_e32 v5, v3
.LBB74_5:
	s_or_b64 exec, exec, s[0:1]
	v_add_u32_e32 v10, 64, v11
	v_cmp_gt_u32_e64 s[0:1], s33, v10
	s_and_saveexec_b64 s[2:3], s[0:1]
	s_cbranch_execz .LBB74_7
; %bb.6:
	global_load_dword v3, v[6:7], off offset:256
.LBB74_7:
	s_or_b64 exec, exec, s[2:3]
	v_add_u32_e32 v12, 0x80, v11
	v_cmp_gt_u32_e64 s[2:3], s33, v12
	s_and_saveexec_b64 s[6:7], s[2:3]
	s_cbranch_execz .LBB74_9
; %bb.8:
	global_load_dword v4, v[6:7], off offset:512
.LBB74_9:
	;; [unrolled: 8-line block ×3, first 2 shown]
	s_or_b64 exec, exec, s[8:9]
	s_lshl_b64 s[8:9], s[28:29], 3
	s_add_u32 s8, s40, s8
	s_addc_u32 s9, s41, s9
	v_mov_b32_e32 v6, s9
	v_add_co_u32_e64 v7, s[8:9], s8, v15
	v_addc_co_u32_e64 v15, s[8:9], 0, v6, s[8:9]
	v_add_co_u32_e64 v6, s[8:9], v7, v14
	v_addc_co_u32_e64 v7, s[8:9], 0, v15, s[8:9]
                                        ; implicit-def: $vgpr20_vgpr21
	s_and_saveexec_b64 s[8:9], vcc
	s_cbranch_execnz .LBB74_54
; %bb.12:
	s_or_b64 exec, exec, s[8:9]
                                        ; implicit-def: $vgpr22_vgpr23
	s_and_saveexec_b64 s[8:9], s[0:1]
	s_cbranch_execnz .LBB74_55
.LBB74_13:
	s_or_b64 exec, exec, s[8:9]
                                        ; implicit-def: $vgpr24_vgpr25
	s_and_saveexec_b64 s[0:1], s[2:3]
	s_cbranch_execnz .LBB74_56
.LBB74_14:
	s_or_b64 exec, exec, s[0:1]
                                        ; implicit-def: $vgpr26_vgpr27
	s_and_saveexec_b64 s[0:1], s[6:7]
	s_cbranch_execz .LBB74_16
.LBB74_15:
	global_load_dwordx2 v[26:27], v[6:7], off offset:1536
.LBB74_16:
	s_or_b64 exec, exec, s[0:1]
	v_mov_b32_e32 v16, v11
.LBB74_17:
	s_load_dwordx2 s[36:37], s[4:5], 0x28
	s_load_dword s0, s[4:5], 0x3c
	s_waitcnt vmcnt(0)
	v_xor_b32_e32 v19, 0x7fffffff, v4
	v_bfe_u32 v4, v0, 10, 10
	v_bfe_u32 v0, v0, 20, 10
	v_xor_b32_e32 v46, 0x7fffffff, v5
	s_waitcnt lgkmcnt(0)
	s_lshr_b32 s1, s0, 16
	s_and_b32 s0, s0, 0xffff
	v_mad_u32_u24 v0, v0, s1, v4
	v_mad_u64_u32 v[4:5], s[0:1], v0, s0, v[8:9]
	v_and_b32_e32 v0, 15, v1
	v_cmp_eq_u32_e64 s[0:1], 0, v0
	v_cmp_lt_u32_e64 s[2:3], 1, v0
	v_cmp_lt_u32_e64 s[4:5], 3, v0
	;; [unrolled: 1-line block ×3, first 2 shown]
	v_and_b32_e32 v0, 16, v1
	v_cmp_eq_u32_e64 s[8:9], 0, v0
	v_and_b32_e32 v0, 0x3c0, v8
	v_min_u32_e32 v0, 0xc0, v0
	v_or_b32_e32 v0, 63, v0
	v_lshrrev_b32_e32 v29, 6, v4
	v_cmp_eq_u32_e64 s[12:13], v0, v8
	v_add_u32_e32 v0, -1, v1
	v_and_b32_e32 v4, 64, v1
	v_cmp_lt_i32_e32 vcc, v0, v4
	v_cndmask_b32_e32 v0, v0, v1, vcc
	s_mov_b32 s26, 0
	v_lshlrev_b32_e32 v31, 2, v0
	v_lshrrev_b32_e32 v0, 4, v8
	v_and_b32_e32 v32, 60, v0
	v_and_b32_e32 v0, 3, v1
	v_lshlrev_b32_e32 v34, 2, v16
	v_lshlrev_b32_e32 v35, 2, v10
	;; [unrolled: 1-line block ×4, first 2 shown]
	s_mov_b32 s27, s26
	s_mov_b32 s44, s26
	;; [unrolled: 1-line block ×3, first 2 shown]
	v_xor_b32_e32 v2, 0x7fffffff, v2
	v_xor_b32_e32 v3, 0x7fffffff, v3
	s_add_i32 s40, s37, s36
	v_lshlrev_b32_e32 v28, 2, v9
	v_cmp_lt_u32_e64 s[10:11], 31, v1
	v_cmp_gt_u32_e64 s[14:15], 4, v8
	v_cmp_lt_u32_e64 s[16:17], 63, v8
	v_cmp_eq_u32_e64 s[18:19], 0, v1
	v_cmp_eq_u32_e64 s[20:21], 0, v8
	v_mul_i32_i24_e32 v30, -12, v8
	v_cmp_eq_u32_e64 s[22:23], 0, v0
	v_cmp_lt_u32_e64 s[24:25], 1, v0
	v_add_u32_e32 v33, -4, v32
	v_pk_mov_b32 v[4:5], s[26:27], s[26:27] op_sel:[0,1]
	v_pk_mov_b32 v[10:11], s[44:45], s[44:45] op_sel:[0,1]
	v_add_u32_e32 v38, v34, v34
	v_add_u32_e32 v39, v35, v35
	;; [unrolled: 1-line block ×4, first 2 shown]
	v_mov_b32_e32 v18, 0
	s_branch .LBB74_19
.LBB74_18:                              ;   in Loop: Header=BB74_19 Depth=1
	v_lshl_add_u32 v20, v48, 2, v52
	s_barrier
	ds_write_b32 v52, v45
	ds_write_b32 v51, v44
	;; [unrolled: 1-line block ×4, first 2 shown]
	s_waitcnt lgkmcnt(0)
	s_barrier
	ds_read_b32 v2, v34
	ds_read_b32 v3, v35
	;; [unrolled: 1-line block ×4, first 2 shown]
	s_waitcnt lgkmcnt(0)
	s_barrier
	ds_write_b64 v20, v[16:17]
	v_lshl_add_u32 v20, v47, 2, v51
	ds_write_b64 v20, v[14:15]
	v_lshl_add_u32 v20, v1, 2, v50
	ds_write_b64 v20, v[12:13]
	v_lshl_add_u32 v20, v0, 2, v49
	ds_write_b64 v20, v[6:7]
	s_waitcnt lgkmcnt(0)
	s_barrier
	ds_read_b64 v[20:21], v38
	ds_read_b64 v[22:23], v39
	;; [unrolled: 1-line block ×4, first 2 shown]
	s_add_i32 s37, s37, -8
	s_waitcnt lgkmcnt(0)
	s_barrier
	s_cbranch_execz .LBB74_35
.LBB74_19:                              ; =>This Inner Loop Header: Depth=1
	s_min_u32 s26, s37, 8
	v_mov_b32_e32 v45, v2
	s_lshl_b32 s26, -1, s26
	s_not_b32 s41, s26
	v_lshrrev_b32_e32 v0, s36, v45
	v_and_b32_e32 v0, s41, v0
	v_lshl_add_u32 v1, v0, 2, v29
	v_pk_mov_b32 v[16:17], v[20:21], v[20:21] op_sel:[0,1]
	v_lshl_add_u32 v20, v1, 2, 16
	v_and_b32_e32 v1, 1, v0
	v_add_co_u32_e32 v2, vcc, -1, v1
	v_mov_b32_e32 v43, v19
	v_mov_b32_e32 v44, v3
	v_addc_co_u32_e64 v3, s[26:27], 0, -1, vcc
	v_cmp_ne_u32_e32 vcc, 0, v1
	v_lshlrev_b32_e32 v19, 30, v0
	v_xor_b32_e32 v1, vcc_hi, v3
	v_not_b32_e32 v3, v19
	v_xor_b32_e32 v2, vcc_lo, v2
	v_cmp_gt_i64_e32 vcc, 0, v[18:19]
	v_ashrrev_i32_e32 v3, 31, v3
	v_and_b32_e32 v1, exec_hi, v1
	v_xor_b32_e32 v19, vcc_hi, v3
	v_and_b32_e32 v2, exec_lo, v2
	v_xor_b32_e32 v3, vcc_lo, v3
	v_and_b32_e32 v1, v1, v19
	v_lshlrev_b32_e32 v19, 29, v0
	v_and_b32_e32 v2, v2, v3
	v_not_b32_e32 v3, v19
	v_cmp_gt_i64_e32 vcc, 0, v[18:19]
	v_ashrrev_i32_e32 v3, 31, v3
	v_xor_b32_e32 v19, vcc_hi, v3
	v_xor_b32_e32 v3, vcc_lo, v3
	v_and_b32_e32 v1, v1, v19
	v_lshlrev_b32_e32 v19, 28, v0
	v_and_b32_e32 v2, v2, v3
	v_not_b32_e32 v3, v19
	v_cmp_gt_i64_e32 vcc, 0, v[18:19]
	v_ashrrev_i32_e32 v3, 31, v3
	v_xor_b32_e32 v19, vcc_hi, v3
	;; [unrolled: 8-line block ×5, first 2 shown]
	v_and_b32_e32 v1, v1, v19
	v_lshlrev_b32_e32 v19, 24, v0
	v_not_b32_e32 v0, v19
	v_xor_b32_e32 v3, vcc_lo, v3
	v_cmp_gt_i64_e32 vcc, 0, v[18:19]
	v_ashrrev_i32_e32 v0, 31, v0
	v_and_b32_e32 v2, v2, v3
	v_xor_b32_e32 v3, vcc_hi, v0
	v_xor_b32_e32 v0, vcc_lo, v0
	v_and_b32_e32 v0, v2, v0
	v_and_b32_e32 v1, v1, v3
	v_mbcnt_lo_u32_b32 v2, v0, 0
	v_mbcnt_hi_u32_b32 v21, v1, v2
	v_cmp_eq_u32_e32 vcc, 0, v21
	v_cmp_ne_u64_e64 s[26:27], 0, v[0:1]
	v_mov_b32_e32 v42, v46
	v_pk_mov_b32 v[14:15], v[22:23], v[22:23] op_sel:[0,1]
	v_pk_mov_b32 v[12:13], v[24:25], v[24:25] op_sel:[0,1]
	;; [unrolled: 1-line block ×3, first 2 shown]
	s_and_b64 s[44:45], s[26:27], vcc
	ds_write2_b64 v28, v[4:5], v[10:11] offset0:2 offset1:3
	s_waitcnt lgkmcnt(0)
	s_barrier
	s_waitcnt lgkmcnt(0)
	; wave barrier
	s_and_saveexec_b64 s[26:27], s[44:45]
	s_cbranch_execz .LBB74_21
; %bb.20:                               ;   in Loop: Header=BB74_19 Depth=1
	v_bcnt_u32_b32 v0, v0, 0
	v_bcnt_u32_b32 v0, v1, v0
	ds_write_b32 v20, v0
.LBB74_21:                              ;   in Loop: Header=BB74_19 Depth=1
	s_or_b64 exec, exec, s[26:27]
	v_lshrrev_b32_e32 v0, s36, v44
	v_and_b32_e32 v0, s41, v0
	v_lshlrev_b32_e32 v1, 2, v0
	v_add_lshl_u32 v1, v1, v29, 2
	; wave barrier
	v_add_u32_e32 v23, 16, v1
	ds_read_b32 v22, v1 offset:16
	v_and_b32_e32 v1, 1, v0
	v_add_co_u32_e32 v2, vcc, -1, v1
	v_addc_co_u32_e64 v3, s[26:27], 0, -1, vcc
	v_cmp_ne_u32_e32 vcc, 0, v1
	v_lshlrev_b32_e32 v19, 30, v0
	v_xor_b32_e32 v1, vcc_hi, v3
	v_not_b32_e32 v3, v19
	v_xor_b32_e32 v2, vcc_lo, v2
	v_cmp_gt_i64_e32 vcc, 0, v[18:19]
	v_ashrrev_i32_e32 v3, 31, v3
	v_and_b32_e32 v1, exec_hi, v1
	v_xor_b32_e32 v19, vcc_hi, v3
	v_and_b32_e32 v2, exec_lo, v2
	v_xor_b32_e32 v3, vcc_lo, v3
	v_and_b32_e32 v1, v1, v19
	v_lshlrev_b32_e32 v19, 29, v0
	v_and_b32_e32 v2, v2, v3
	v_not_b32_e32 v3, v19
	v_cmp_gt_i64_e32 vcc, 0, v[18:19]
	v_ashrrev_i32_e32 v3, 31, v3
	v_xor_b32_e32 v19, vcc_hi, v3
	v_xor_b32_e32 v3, vcc_lo, v3
	v_and_b32_e32 v1, v1, v19
	v_lshlrev_b32_e32 v19, 28, v0
	v_and_b32_e32 v2, v2, v3
	v_not_b32_e32 v3, v19
	v_cmp_gt_i64_e32 vcc, 0, v[18:19]
	v_ashrrev_i32_e32 v3, 31, v3
	v_xor_b32_e32 v19, vcc_hi, v3
	v_xor_b32_e32 v3, vcc_lo, v3
	v_and_b32_e32 v1, v1, v19
	v_lshlrev_b32_e32 v19, 27, v0
	v_and_b32_e32 v2, v2, v3
	v_not_b32_e32 v3, v19
	v_cmp_gt_i64_e32 vcc, 0, v[18:19]
	v_ashrrev_i32_e32 v3, 31, v3
	v_xor_b32_e32 v19, vcc_hi, v3
	v_xor_b32_e32 v3, vcc_lo, v3
	v_and_b32_e32 v1, v1, v19
	v_lshlrev_b32_e32 v19, 26, v0
	v_and_b32_e32 v2, v2, v3
	v_not_b32_e32 v3, v19
	v_cmp_gt_i64_e32 vcc, 0, v[18:19]
	v_ashrrev_i32_e32 v3, 31, v3
	v_xor_b32_e32 v19, vcc_hi, v3
	v_xor_b32_e32 v3, vcc_lo, v3
	v_and_b32_e32 v1, v1, v19
	v_lshlrev_b32_e32 v19, 25, v0
	v_and_b32_e32 v2, v2, v3
	v_not_b32_e32 v3, v19
	v_cmp_gt_i64_e32 vcc, 0, v[18:19]
	v_ashrrev_i32_e32 v3, 31, v3
	v_xor_b32_e32 v19, vcc_hi, v3
	v_and_b32_e32 v1, v1, v19
	v_lshlrev_b32_e32 v19, 24, v0
	v_not_b32_e32 v0, v19
	v_xor_b32_e32 v3, vcc_lo, v3
	v_cmp_gt_i64_e32 vcc, 0, v[18:19]
	v_ashrrev_i32_e32 v0, 31, v0
	v_and_b32_e32 v2, v2, v3
	v_xor_b32_e32 v3, vcc_hi, v0
	v_xor_b32_e32 v0, vcc_lo, v0
	v_and_b32_e32 v0, v2, v0
	v_and_b32_e32 v1, v1, v3
	v_mbcnt_lo_u32_b32 v2, v0, 0
	v_mbcnt_hi_u32_b32 v24, v1, v2
	v_cmp_eq_u32_e32 vcc, 0, v24
	v_cmp_ne_u64_e64 s[26:27], 0, v[0:1]
	s_and_b64 s[44:45], s[26:27], vcc
	; wave barrier
	s_and_saveexec_b64 s[26:27], s[44:45]
	s_cbranch_execz .LBB74_23
; %bb.22:                               ;   in Loop: Header=BB74_19 Depth=1
	v_bcnt_u32_b32 v0, v0, 0
	v_bcnt_u32_b32 v0, v1, v0
	s_waitcnt lgkmcnt(0)
	v_add_u32_e32 v0, v22, v0
	ds_write_b32 v23, v0
.LBB74_23:                              ;   in Loop: Header=BB74_19 Depth=1
	s_or_b64 exec, exec, s[26:27]
	v_lshrrev_b32_e32 v0, s36, v43
	v_and_b32_e32 v0, s41, v0
	v_lshlrev_b32_e32 v1, 2, v0
	v_add_lshl_u32 v1, v1, v29, 2
	; wave barrier
	v_add_u32_e32 v26, 16, v1
	ds_read_b32 v25, v1 offset:16
	v_and_b32_e32 v1, 1, v0
	v_add_co_u32_e32 v2, vcc, -1, v1
	v_addc_co_u32_e64 v3, s[26:27], 0, -1, vcc
	v_cmp_ne_u32_e32 vcc, 0, v1
	v_lshlrev_b32_e32 v19, 30, v0
	v_xor_b32_e32 v1, vcc_hi, v3
	v_not_b32_e32 v3, v19
	v_xor_b32_e32 v2, vcc_lo, v2
	v_cmp_gt_i64_e32 vcc, 0, v[18:19]
	v_ashrrev_i32_e32 v3, 31, v3
	v_and_b32_e32 v1, exec_hi, v1
	v_xor_b32_e32 v19, vcc_hi, v3
	v_and_b32_e32 v2, exec_lo, v2
	v_xor_b32_e32 v3, vcc_lo, v3
	v_and_b32_e32 v1, v1, v19
	v_lshlrev_b32_e32 v19, 29, v0
	v_and_b32_e32 v2, v2, v3
	v_not_b32_e32 v3, v19
	v_cmp_gt_i64_e32 vcc, 0, v[18:19]
	v_ashrrev_i32_e32 v3, 31, v3
	v_xor_b32_e32 v19, vcc_hi, v3
	v_xor_b32_e32 v3, vcc_lo, v3
	v_and_b32_e32 v1, v1, v19
	v_lshlrev_b32_e32 v19, 28, v0
	v_and_b32_e32 v2, v2, v3
	v_not_b32_e32 v3, v19
	v_cmp_gt_i64_e32 vcc, 0, v[18:19]
	v_ashrrev_i32_e32 v3, 31, v3
	v_xor_b32_e32 v19, vcc_hi, v3
	;; [unrolled: 8-line block ×5, first 2 shown]
	v_and_b32_e32 v1, v1, v19
	v_lshlrev_b32_e32 v19, 24, v0
	v_not_b32_e32 v0, v19
	v_xor_b32_e32 v3, vcc_lo, v3
	v_cmp_gt_i64_e32 vcc, 0, v[18:19]
	v_ashrrev_i32_e32 v0, 31, v0
	v_and_b32_e32 v2, v2, v3
	v_xor_b32_e32 v3, vcc_hi, v0
	v_xor_b32_e32 v0, vcc_lo, v0
	v_and_b32_e32 v0, v2, v0
	v_and_b32_e32 v1, v1, v3
	v_mbcnt_lo_u32_b32 v2, v0, 0
	v_mbcnt_hi_u32_b32 v27, v1, v2
	v_cmp_eq_u32_e32 vcc, 0, v27
	v_cmp_ne_u64_e64 s[26:27], 0, v[0:1]
	s_and_b64 s[44:45], s[26:27], vcc
	; wave barrier
	s_and_saveexec_b64 s[26:27], s[44:45]
	s_cbranch_execz .LBB74_25
; %bb.24:                               ;   in Loop: Header=BB74_19 Depth=1
	v_bcnt_u32_b32 v0, v0, 0
	v_bcnt_u32_b32 v0, v1, v0
	s_waitcnt lgkmcnt(0)
	v_add_u32_e32 v0, v25, v0
	ds_write_b32 v26, v0
.LBB74_25:                              ;   in Loop: Header=BB74_19 Depth=1
	s_or_b64 exec, exec, s[26:27]
	v_lshrrev_b32_e32 v0, s36, v42
	v_and_b32_e32 v0, s41, v0
	v_lshlrev_b32_e32 v1, 2, v0
	v_add_lshl_u32 v1, v1, v29, 2
	; wave barrier
	v_add_u32_e32 v47, 16, v1
	ds_read_b32 v46, v1 offset:16
	v_and_b32_e32 v1, 1, v0
	v_add_co_u32_e32 v2, vcc, -1, v1
	v_addc_co_u32_e64 v3, s[26:27], 0, -1, vcc
	v_cmp_ne_u32_e32 vcc, 0, v1
	v_lshlrev_b32_e32 v19, 30, v0
	v_xor_b32_e32 v1, vcc_hi, v3
	v_not_b32_e32 v3, v19
	v_xor_b32_e32 v2, vcc_lo, v2
	v_cmp_gt_i64_e32 vcc, 0, v[18:19]
	v_ashrrev_i32_e32 v3, 31, v3
	v_and_b32_e32 v1, exec_hi, v1
	v_xor_b32_e32 v19, vcc_hi, v3
	v_and_b32_e32 v2, exec_lo, v2
	v_xor_b32_e32 v3, vcc_lo, v3
	v_and_b32_e32 v1, v1, v19
	v_lshlrev_b32_e32 v19, 29, v0
	v_and_b32_e32 v2, v2, v3
	v_not_b32_e32 v3, v19
	v_cmp_gt_i64_e32 vcc, 0, v[18:19]
	v_ashrrev_i32_e32 v3, 31, v3
	v_xor_b32_e32 v19, vcc_hi, v3
	v_xor_b32_e32 v3, vcc_lo, v3
	v_and_b32_e32 v1, v1, v19
	v_lshlrev_b32_e32 v19, 28, v0
	v_and_b32_e32 v2, v2, v3
	v_not_b32_e32 v3, v19
	v_cmp_gt_i64_e32 vcc, 0, v[18:19]
	v_ashrrev_i32_e32 v3, 31, v3
	v_xor_b32_e32 v19, vcc_hi, v3
	;; [unrolled: 8-line block ×5, first 2 shown]
	v_and_b32_e32 v1, v1, v19
	v_lshlrev_b32_e32 v19, 24, v0
	v_not_b32_e32 v0, v19
	v_xor_b32_e32 v3, vcc_lo, v3
	v_cmp_gt_i64_e32 vcc, 0, v[18:19]
	v_ashrrev_i32_e32 v0, 31, v0
	v_and_b32_e32 v2, v2, v3
	v_xor_b32_e32 v3, vcc_hi, v0
	v_xor_b32_e32 v0, vcc_lo, v0
	v_and_b32_e32 v0, v2, v0
	v_and_b32_e32 v1, v1, v3
	v_mbcnt_lo_u32_b32 v2, v0, 0
	v_mbcnt_hi_u32_b32 v19, v1, v2
	v_cmp_eq_u32_e32 vcc, 0, v19
	v_cmp_ne_u64_e64 s[26:27], 0, v[0:1]
	s_and_b64 s[44:45], s[26:27], vcc
	; wave barrier
	s_and_saveexec_b64 s[26:27], s[44:45]
	s_cbranch_execz .LBB74_27
; %bb.26:                               ;   in Loop: Header=BB74_19 Depth=1
	v_bcnt_u32_b32 v0, v0, 0
	v_bcnt_u32_b32 v0, v1, v0
	s_waitcnt lgkmcnt(0)
	v_add_u32_e32 v0, v46, v0
	ds_write_b32 v47, v0
.LBB74_27:                              ;   in Loop: Header=BB74_19 Depth=1
	s_or_b64 exec, exec, s[26:27]
	; wave barrier
	s_waitcnt lgkmcnt(0)
	s_barrier
	ds_read2_b64 v[0:3], v28 offset0:2 offset1:3
	s_waitcnt lgkmcnt(0)
	v_add_u32_e32 v48, v1, v0
	v_add3_u32 v3, v48, v2, v3
	s_nop 1
	v_mov_b32_dpp v48, v3 row_shr:1 row_mask:0xf bank_mask:0xf
	v_cndmask_b32_e64 v48, v48, 0, s[0:1]
	v_add_u32_e32 v3, v48, v3
	s_nop 1
	v_mov_b32_dpp v48, v3 row_shr:2 row_mask:0xf bank_mask:0xf
	v_cndmask_b32_e64 v48, 0, v48, s[2:3]
	v_add_u32_e32 v3, v3, v48
	;; [unrolled: 4-line block ×4, first 2 shown]
	s_nop 1
	v_mov_b32_dpp v48, v3 row_bcast:15 row_mask:0xf bank_mask:0xf
	v_cndmask_b32_e64 v48, v48, 0, s[8:9]
	v_add_u32_e32 v3, v3, v48
	s_nop 1
	v_mov_b32_dpp v48, v3 row_bcast:31 row_mask:0xf bank_mask:0xf
	v_cndmask_b32_e64 v48, 0, v48, s[10:11]
	v_add_u32_e32 v3, v3, v48
	s_and_saveexec_b64 s[26:27], s[12:13]
	s_cbranch_execz .LBB74_29
; %bb.28:                               ;   in Loop: Header=BB74_19 Depth=1
	ds_write_b32 v32, v3
.LBB74_29:                              ;   in Loop: Header=BB74_19 Depth=1
	s_or_b64 exec, exec, s[26:27]
	s_waitcnt lgkmcnt(0)
	s_barrier
	s_and_saveexec_b64 s[26:27], s[14:15]
	s_cbranch_execz .LBB74_31
; %bb.30:                               ;   in Loop: Header=BB74_19 Depth=1
	v_add_u32_e32 v48, v28, v30
	ds_read_b32 v49, v48
	s_waitcnt lgkmcnt(0)
	s_nop 0
	v_mov_b32_dpp v50, v49 row_shr:1 row_mask:0xf bank_mask:0xf
	v_cndmask_b32_e64 v50, v50, 0, s[22:23]
	v_add_u32_e32 v49, v50, v49
	s_nop 1
	v_mov_b32_dpp v50, v49 row_shr:2 row_mask:0xf bank_mask:0xf
	v_cndmask_b32_e64 v50, 0, v50, s[24:25]
	v_add_u32_e32 v49, v49, v50
	ds_write_b32 v48, v49
.LBB74_31:                              ;   in Loop: Header=BB74_19 Depth=1
	s_or_b64 exec, exec, s[26:27]
	v_mov_b32_e32 v48, 0
	s_waitcnt lgkmcnt(0)
	s_barrier
	s_and_saveexec_b64 s[26:27], s[16:17]
	s_cbranch_execz .LBB74_33
; %bb.32:                               ;   in Loop: Header=BB74_19 Depth=1
	ds_read_b32 v48, v33
.LBB74_33:                              ;   in Loop: Header=BB74_19 Depth=1
	s_or_b64 exec, exec, s[26:27]
	s_waitcnt lgkmcnt(0)
	v_add_u32_e32 v3, v48, v3
	ds_bpermute_b32 v3, v31, v3
	s_add_i32 s36, s36, 8
	s_cmp_ge_u32 s36, s40
	s_waitcnt lgkmcnt(0)
	v_cndmask_b32_e64 v3, v3, v48, s[18:19]
	v_cndmask_b32_e64 v48, v3, 0, s[20:21]
	v_add_u32_e32 v49, v48, v0
	v_add_u32_e32 v0, v49, v1
	;; [unrolled: 1-line block ×3, first 2 shown]
	ds_write2_b64 v28, v[48:49], v[0:1] offset0:2 offset1:3
	s_waitcnt lgkmcnt(0)
	s_barrier
	ds_read_b32 v0, v20
	ds_read_b32 v1, v23
	;; [unrolled: 1-line block ×4, first 2 shown]
	s_waitcnt lgkmcnt(0)
	v_add_u32_e32 v48, v0, v21
	v_add3_u32 v47, v24, v22, v1
	v_add3_u32 v1, v27, v25, v2
	;; [unrolled: 1-line block ×3, first 2 shown]
	v_lshlrev_b32_e32 v52, 2, v48
	v_lshlrev_b32_e32 v51, 2, v47
	;; [unrolled: 1-line block ×4, first 2 shown]
	s_cbranch_scc0 .LBB74_18
; %bb.34:
                                        ; implicit-def: $vgpr46
                                        ; implicit-def: $vgpr19
                                        ; implicit-def: $vgpr3
                                        ; implicit-def: $vgpr2
                                        ; implicit-def: $sgpr36
                                        ; implicit-def: $vgpr20_vgpr21
                                        ; implicit-def: $vgpr22_vgpr23
                                        ; implicit-def: $vgpr24_vgpr25
                                        ; implicit-def: $vgpr26_vgpr27
.LBB74_35:
	v_add_u32_e32 v2, v28, v30
	s_barrier
	ds_write_b32 v52, v45
	ds_write_b32 v51, v44
	;; [unrolled: 1-line block ×4, first 2 shown]
	s_waitcnt lgkmcnt(0)
	s_barrier
	ds_read2st64_b32 v[10:11], v9 offset0:4 offset1:8
	ds_read_b32 v18, v2
	ds_read_b32 v19, v9 offset:3072
	v_lshl_add_u32 v2, v48, 2, v52
	s_waitcnt lgkmcnt(0)
	s_barrier
	ds_write_b64 v2, v[16:17]
	v_lshl_add_u32 v2, v47, 2, v51
	v_lshl_add_u32 v1, v1, 2, v50
	;; [unrolled: 1-line block ×3, first 2 shown]
	ds_write_b64 v2, v[14:15]
	ds_write_b64 v1, v[12:13]
	;; [unrolled: 1-line block ×3, first 2 shown]
	v_add_u32_e32 v0, v9, v9
	s_waitcnt lgkmcnt(0)
	s_barrier
	ds_read2st64_b64 v[4:7], v0 offset1:4
	ds_read2st64_b64 v[0:3], v0 offset0:8 offset1:12
	s_add_u32 s0, s38, s34
	s_addc_u32 s1, s39, s35
	v_xor_b32_e32 v15, 0x7fffffff, v10
	v_xor_b32_e32 v14, 0x7fffffff, v11
	v_mov_b32_e32 v11, s1
	v_add_co_u32_e32 v10, vcc, s0, v9
	v_addc_co_u32_e32 v11, vcc, 0, v11, vcc
	v_xor_b32_e32 v16, 0x7fffffff, v18
	v_xor_b32_e32 v13, 0x7fffffff, v19
	s_andn2_b64 vcc, exec, s[30:31]
	v_lshlrev_b32_e32 v12, 3, v8
	s_cbranch_vccnz .LBB74_37
; %bb.36:
	s_lshl_b64 s[0:1], s[28:29], 3
	s_add_u32 s0, s42, s0
	s_addc_u32 s1, s43, s1
	v_mov_b32_e32 v9, s1
	v_add_co_u32_e32 v17, vcc, s0, v12
	v_addc_co_u32_e32 v9, vcc, 0, v9, vcc
	v_add_co_u32_e32 v18, vcc, 0x1000, v17
	global_store_dword v[10:11], v16, off
	global_store_dword v[10:11], v15, off offset:1024
	global_store_dword v[10:11], v14, off offset:2048
	;; [unrolled: 1-line block ×3, first 2 shown]
	s_waitcnt lgkmcnt(1)
	global_store_dwordx2 v12, v[4:5], s[0:1]
	global_store_dwordx2 v12, v[6:7], s[0:1] offset:2048
	v_addc_co_u32_e32 v19, vcc, 0, v9, vcc
	s_mov_b64 s[6:7], -1
	s_waitcnt lgkmcnt(0)
	global_store_dwordx2 v[18:19], v[0:1], off
	s_cbranch_execz .LBB74_38
	s_branch .LBB74_51
.LBB74_37:
	s_mov_b64 s[6:7], 0
.LBB74_38:
	v_cmp_gt_u32_e32 vcc, s33, v8
	s_and_saveexec_b64 s[0:1], vcc
	s_cbranch_execz .LBB74_40
; %bb.39:
	global_store_dword v[10:11], v16, off
.LBB74_40:
	s_or_b64 exec, exec, s[0:1]
	v_add_u32_e32 v9, 0x100, v8
	v_cmp_gt_u32_e64 s[0:1], s33, v9
	s_and_saveexec_b64 s[2:3], s[0:1]
	s_cbranch_execz .LBB74_42
; %bb.41:
	global_store_dword v[10:11], v15, off offset:1024
.LBB74_42:
	s_or_b64 exec, exec, s[2:3]
	v_add_u32_e32 v9, 0x200, v8
	v_cmp_gt_u32_e64 s[2:3], s33, v9
	s_and_saveexec_b64 s[4:5], s[2:3]
	s_cbranch_execz .LBB74_44
; %bb.43:
	global_store_dword v[10:11], v14, off offset:2048
.LBB74_44:
	;; [unrolled: 8-line block ×3, first 2 shown]
	s_or_b64 exec, exec, s[4:5]
	s_lshl_b64 s[4:5], s[28:29], 3
	s_add_u32 s4, s42, s4
	s_addc_u32 s5, s43, s5
	v_mov_b32_e32 v9, s5
	v_add_co_u32_e64 v8, s[4:5], s4, v12
	v_addc_co_u32_e64 v9, s[4:5], 0, v9, s[4:5]
	s_and_saveexec_b64 s[4:5], vcc
	s_cbranch_execnz .LBB74_57
; %bb.47:
	s_or_b64 exec, exec, s[4:5]
	s_and_saveexec_b64 s[4:5], s[0:1]
	s_cbranch_execnz .LBB74_58
.LBB74_48:
	s_or_b64 exec, exec, s[4:5]
	s_and_saveexec_b64 s[0:1], s[2:3]
	s_cbranch_execz .LBB74_50
.LBB74_49:
	s_waitcnt lgkmcnt(1)
	v_add_co_u32_e32 v4, vcc, 0x1000, v8
	v_addc_co_u32_e32 v5, vcc, 0, v9, vcc
	s_waitcnt lgkmcnt(0)
	global_store_dwordx2 v[4:5], v[0:1], off
.LBB74_50:
	s_or_b64 exec, exec, s[0:1]
.LBB74_51:
	s_and_saveexec_b64 s[0:1], s[6:7]
	s_cbranch_execnz .LBB74_53
; %bb.52:
	s_endpgm
.LBB74_53:
	s_lshl_b64 s[0:1], s[28:29], 3
	s_add_u32 s0, s42, s0
	s_addc_u32 s1, s43, s1
	s_waitcnt lgkmcnt(0)
	v_mov_b32_e32 v0, s1
	v_add_co_u32_e32 v1, vcc, s0, v12
	v_addc_co_u32_e32 v4, vcc, 0, v0, vcc
	v_add_co_u32_e32 v0, vcc, 0x1000, v1
	v_addc_co_u32_e32 v1, vcc, 0, v4, vcc
	global_store_dwordx2 v[0:1], v[2:3], off offset:2048
	s_endpgm
.LBB74_54:
	global_load_dwordx2 v[20:21], v[6:7], off
	s_or_b64 exec, exec, s[8:9]
                                        ; implicit-def: $vgpr22_vgpr23
	s_and_saveexec_b64 s[8:9], s[0:1]
	s_cbranch_execz .LBB74_13
.LBB74_55:
	global_load_dwordx2 v[22:23], v[6:7], off offset:512
	s_or_b64 exec, exec, s[8:9]
                                        ; implicit-def: $vgpr24_vgpr25
	s_and_saveexec_b64 s[0:1], s[2:3]
	s_cbranch_execz .LBB74_14
.LBB74_56:
	global_load_dwordx2 v[24:25], v[6:7], off offset:1024
	s_or_b64 exec, exec, s[0:1]
                                        ; implicit-def: $vgpr26_vgpr27
	s_and_saveexec_b64 s[0:1], s[6:7]
	s_cbranch_execnz .LBB74_15
	s_branch .LBB74_16
.LBB74_57:
	s_waitcnt lgkmcnt(1)
	global_store_dwordx2 v[8:9], v[4:5], off
	s_or_b64 exec, exec, s[4:5]
	s_and_saveexec_b64 s[4:5], s[0:1]
	s_cbranch_execz .LBB74_48
.LBB74_58:
	s_waitcnt lgkmcnt(1)
	global_store_dwordx2 v[8:9], v[6:7], off offset:2048
	s_or_b64 exec, exec, s[4:5]
	s_and_saveexec_b64 s[0:1], s[2:3]
	s_cbranch_execnz .LBB74_49
	s_branch .LBB74_50
	.section	.rodata,"a",@progbits
	.p2align	6, 0x0
	.amdhsa_kernel _ZN7rocprim17ROCPRIM_304000_NS6detail28radix_sort_block_sort_kernelINS1_36wrapped_radix_sort_block_sort_configINS0_13kernel_configILj256ELj4ELj4294967295EEEiN2at4cuda3cub6detail10OpaqueTypeILi8EEEEELb1EPKiPiPKSB_PSB_NS0_19identity_decomposerEEEvT1_T2_T3_T4_jT5_jj
		.amdhsa_group_segment_fixed_size 8192
		.amdhsa_private_segment_fixed_size 0
		.amdhsa_kernarg_size 304
		.amdhsa_user_sgpr_count 6
		.amdhsa_user_sgpr_private_segment_buffer 1
		.amdhsa_user_sgpr_dispatch_ptr 0
		.amdhsa_user_sgpr_queue_ptr 0
		.amdhsa_user_sgpr_kernarg_segment_ptr 1
		.amdhsa_user_sgpr_dispatch_id 0
		.amdhsa_user_sgpr_flat_scratch_init 0
		.amdhsa_user_sgpr_kernarg_preload_length 0
		.amdhsa_user_sgpr_kernarg_preload_offset 0
		.amdhsa_user_sgpr_private_segment_size 0
		.amdhsa_uses_dynamic_stack 0
		.amdhsa_system_sgpr_private_segment_wavefront_offset 0
		.amdhsa_system_sgpr_workgroup_id_x 1
		.amdhsa_system_sgpr_workgroup_id_y 0
		.amdhsa_system_sgpr_workgroup_id_z 0
		.amdhsa_system_sgpr_workgroup_info 0
		.amdhsa_system_vgpr_workitem_id 2
		.amdhsa_next_free_vgpr 53
		.amdhsa_next_free_sgpr 46
		.amdhsa_accum_offset 56
		.amdhsa_reserve_vcc 1
		.amdhsa_reserve_flat_scratch 0
		.amdhsa_float_round_mode_32 0
		.amdhsa_float_round_mode_16_64 0
		.amdhsa_float_denorm_mode_32 3
		.amdhsa_float_denorm_mode_16_64 3
		.amdhsa_dx10_clamp 1
		.amdhsa_ieee_mode 1
		.amdhsa_fp16_overflow 0
		.amdhsa_tg_split 0
		.amdhsa_exception_fp_ieee_invalid_op 0
		.amdhsa_exception_fp_denorm_src 0
		.amdhsa_exception_fp_ieee_div_zero 0
		.amdhsa_exception_fp_ieee_overflow 0
		.amdhsa_exception_fp_ieee_underflow 0
		.amdhsa_exception_fp_ieee_inexact 0
		.amdhsa_exception_int_div_zero 0
	.end_amdhsa_kernel
	.section	.text._ZN7rocprim17ROCPRIM_304000_NS6detail28radix_sort_block_sort_kernelINS1_36wrapped_radix_sort_block_sort_configINS0_13kernel_configILj256ELj4ELj4294967295EEEiN2at4cuda3cub6detail10OpaqueTypeILi8EEEEELb1EPKiPiPKSB_PSB_NS0_19identity_decomposerEEEvT1_T2_T3_T4_jT5_jj,"axG",@progbits,_ZN7rocprim17ROCPRIM_304000_NS6detail28radix_sort_block_sort_kernelINS1_36wrapped_radix_sort_block_sort_configINS0_13kernel_configILj256ELj4ELj4294967295EEEiN2at4cuda3cub6detail10OpaqueTypeILi8EEEEELb1EPKiPiPKSB_PSB_NS0_19identity_decomposerEEEvT1_T2_T3_T4_jT5_jj,comdat
.Lfunc_end74:
	.size	_ZN7rocprim17ROCPRIM_304000_NS6detail28radix_sort_block_sort_kernelINS1_36wrapped_radix_sort_block_sort_configINS0_13kernel_configILj256ELj4ELj4294967295EEEiN2at4cuda3cub6detail10OpaqueTypeILi8EEEEELb1EPKiPiPKSB_PSB_NS0_19identity_decomposerEEEvT1_T2_T3_T4_jT5_jj, .Lfunc_end74-_ZN7rocprim17ROCPRIM_304000_NS6detail28radix_sort_block_sort_kernelINS1_36wrapped_radix_sort_block_sort_configINS0_13kernel_configILj256ELj4ELj4294967295EEEiN2at4cuda3cub6detail10OpaqueTypeILi8EEEEELb1EPKiPiPKSB_PSB_NS0_19identity_decomposerEEEvT1_T2_T3_T4_jT5_jj
                                        ; -- End function
	.section	.AMDGPU.csdata,"",@progbits
; Kernel info:
; codeLenInByte = 3888
; NumSgprs: 50
; NumVgprs: 53
; NumAgprs: 0
; TotalNumVgprs: 53
; ScratchSize: 0
; MemoryBound: 0
; FloatMode: 240
; IeeeMode: 1
; LDSByteSize: 8192 bytes/workgroup (compile time only)
; SGPRBlocks: 6
; VGPRBlocks: 6
; NumSGPRsForWavesPerEU: 50
; NumVGPRsForWavesPerEU: 53
; AccumOffset: 56
; Occupancy: 8
; WaveLimiterHint : 1
; COMPUTE_PGM_RSRC2:SCRATCH_EN: 0
; COMPUTE_PGM_RSRC2:USER_SGPR: 6
; COMPUTE_PGM_RSRC2:TRAP_HANDLER: 0
; COMPUTE_PGM_RSRC2:TGID_X_EN: 1
; COMPUTE_PGM_RSRC2:TGID_Y_EN: 0
; COMPUTE_PGM_RSRC2:TGID_Z_EN: 0
; COMPUTE_PGM_RSRC2:TIDIG_COMP_CNT: 2
; COMPUTE_PGM_RSRC3_GFX90A:ACCUM_OFFSET: 13
; COMPUTE_PGM_RSRC3_GFX90A:TG_SPLIT: 0
	.section	.text._ZN7rocprim17ROCPRIM_304000_NS6detail39device_merge_sort_compile_time_verifierINS1_36wrapped_merge_sort_block_sort_configINS1_28merge_sort_block_sort_configILj256ELj4ELNS0_20block_sort_algorithmE0EEEiN2at4cuda3cub6detail10OpaqueTypeILi8EEEEENS1_37wrapped_merge_sort_block_merge_configINS0_14default_configEiSC_EEEEvv,"axG",@progbits,_ZN7rocprim17ROCPRIM_304000_NS6detail39device_merge_sort_compile_time_verifierINS1_36wrapped_merge_sort_block_sort_configINS1_28merge_sort_block_sort_configILj256ELj4ELNS0_20block_sort_algorithmE0EEEiN2at4cuda3cub6detail10OpaqueTypeILi8EEEEENS1_37wrapped_merge_sort_block_merge_configINS0_14default_configEiSC_EEEEvv,comdat
	.protected	_ZN7rocprim17ROCPRIM_304000_NS6detail39device_merge_sort_compile_time_verifierINS1_36wrapped_merge_sort_block_sort_configINS1_28merge_sort_block_sort_configILj256ELj4ELNS0_20block_sort_algorithmE0EEEiN2at4cuda3cub6detail10OpaqueTypeILi8EEEEENS1_37wrapped_merge_sort_block_merge_configINS0_14default_configEiSC_EEEEvv ; -- Begin function _ZN7rocprim17ROCPRIM_304000_NS6detail39device_merge_sort_compile_time_verifierINS1_36wrapped_merge_sort_block_sort_configINS1_28merge_sort_block_sort_configILj256ELj4ELNS0_20block_sort_algorithmE0EEEiN2at4cuda3cub6detail10OpaqueTypeILi8EEEEENS1_37wrapped_merge_sort_block_merge_configINS0_14default_configEiSC_EEEEvv
	.globl	_ZN7rocprim17ROCPRIM_304000_NS6detail39device_merge_sort_compile_time_verifierINS1_36wrapped_merge_sort_block_sort_configINS1_28merge_sort_block_sort_configILj256ELj4ELNS0_20block_sort_algorithmE0EEEiN2at4cuda3cub6detail10OpaqueTypeILi8EEEEENS1_37wrapped_merge_sort_block_merge_configINS0_14default_configEiSC_EEEEvv
	.p2align	8
	.type	_ZN7rocprim17ROCPRIM_304000_NS6detail39device_merge_sort_compile_time_verifierINS1_36wrapped_merge_sort_block_sort_configINS1_28merge_sort_block_sort_configILj256ELj4ELNS0_20block_sort_algorithmE0EEEiN2at4cuda3cub6detail10OpaqueTypeILi8EEEEENS1_37wrapped_merge_sort_block_merge_configINS0_14default_configEiSC_EEEEvv,@function
_ZN7rocprim17ROCPRIM_304000_NS6detail39device_merge_sort_compile_time_verifierINS1_36wrapped_merge_sort_block_sort_configINS1_28merge_sort_block_sort_configILj256ELj4ELNS0_20block_sort_algorithmE0EEEiN2at4cuda3cub6detail10OpaqueTypeILi8EEEEENS1_37wrapped_merge_sort_block_merge_configINS0_14default_configEiSC_EEEEvv: ; @_ZN7rocprim17ROCPRIM_304000_NS6detail39device_merge_sort_compile_time_verifierINS1_36wrapped_merge_sort_block_sort_configINS1_28merge_sort_block_sort_configILj256ELj4ELNS0_20block_sort_algorithmE0EEEiN2at4cuda3cub6detail10OpaqueTypeILi8EEEEENS1_37wrapped_merge_sort_block_merge_configINS0_14default_configEiSC_EEEEvv
; %bb.0:
	s_endpgm
	.section	.rodata,"a",@progbits
	.p2align	6, 0x0
	.amdhsa_kernel _ZN7rocprim17ROCPRIM_304000_NS6detail39device_merge_sort_compile_time_verifierINS1_36wrapped_merge_sort_block_sort_configINS1_28merge_sort_block_sort_configILj256ELj4ELNS0_20block_sort_algorithmE0EEEiN2at4cuda3cub6detail10OpaqueTypeILi8EEEEENS1_37wrapped_merge_sort_block_merge_configINS0_14default_configEiSC_EEEEvv
		.amdhsa_group_segment_fixed_size 0
		.amdhsa_private_segment_fixed_size 0
		.amdhsa_kernarg_size 0
		.amdhsa_user_sgpr_count 4
		.amdhsa_user_sgpr_private_segment_buffer 1
		.amdhsa_user_sgpr_dispatch_ptr 0
		.amdhsa_user_sgpr_queue_ptr 0
		.amdhsa_user_sgpr_kernarg_segment_ptr 0
		.amdhsa_user_sgpr_dispatch_id 0
		.amdhsa_user_sgpr_flat_scratch_init 0
		.amdhsa_user_sgpr_kernarg_preload_length 0
		.amdhsa_user_sgpr_kernarg_preload_offset 0
		.amdhsa_user_sgpr_private_segment_size 0
		.amdhsa_uses_dynamic_stack 0
		.amdhsa_system_sgpr_private_segment_wavefront_offset 0
		.amdhsa_system_sgpr_workgroup_id_x 1
		.amdhsa_system_sgpr_workgroup_id_y 0
		.amdhsa_system_sgpr_workgroup_id_z 0
		.amdhsa_system_sgpr_workgroup_info 0
		.amdhsa_system_vgpr_workitem_id 0
		.amdhsa_next_free_vgpr 1
		.amdhsa_next_free_sgpr 0
		.amdhsa_accum_offset 4
		.amdhsa_reserve_vcc 0
		.amdhsa_reserve_flat_scratch 0
		.amdhsa_float_round_mode_32 0
		.amdhsa_float_round_mode_16_64 0
		.amdhsa_float_denorm_mode_32 3
		.amdhsa_float_denorm_mode_16_64 3
		.amdhsa_dx10_clamp 1
		.amdhsa_ieee_mode 1
		.amdhsa_fp16_overflow 0
		.amdhsa_tg_split 0
		.amdhsa_exception_fp_ieee_invalid_op 0
		.amdhsa_exception_fp_denorm_src 0
		.amdhsa_exception_fp_ieee_div_zero 0
		.amdhsa_exception_fp_ieee_overflow 0
		.amdhsa_exception_fp_ieee_underflow 0
		.amdhsa_exception_fp_ieee_inexact 0
		.amdhsa_exception_int_div_zero 0
	.end_amdhsa_kernel
	.section	.text._ZN7rocprim17ROCPRIM_304000_NS6detail39device_merge_sort_compile_time_verifierINS1_36wrapped_merge_sort_block_sort_configINS1_28merge_sort_block_sort_configILj256ELj4ELNS0_20block_sort_algorithmE0EEEiN2at4cuda3cub6detail10OpaqueTypeILi8EEEEENS1_37wrapped_merge_sort_block_merge_configINS0_14default_configEiSC_EEEEvv,"axG",@progbits,_ZN7rocprim17ROCPRIM_304000_NS6detail39device_merge_sort_compile_time_verifierINS1_36wrapped_merge_sort_block_sort_configINS1_28merge_sort_block_sort_configILj256ELj4ELNS0_20block_sort_algorithmE0EEEiN2at4cuda3cub6detail10OpaqueTypeILi8EEEEENS1_37wrapped_merge_sort_block_merge_configINS0_14default_configEiSC_EEEEvv,comdat
.Lfunc_end75:
	.size	_ZN7rocprim17ROCPRIM_304000_NS6detail39device_merge_sort_compile_time_verifierINS1_36wrapped_merge_sort_block_sort_configINS1_28merge_sort_block_sort_configILj256ELj4ELNS0_20block_sort_algorithmE0EEEiN2at4cuda3cub6detail10OpaqueTypeILi8EEEEENS1_37wrapped_merge_sort_block_merge_configINS0_14default_configEiSC_EEEEvv, .Lfunc_end75-_ZN7rocprim17ROCPRIM_304000_NS6detail39device_merge_sort_compile_time_verifierINS1_36wrapped_merge_sort_block_sort_configINS1_28merge_sort_block_sort_configILj256ELj4ELNS0_20block_sort_algorithmE0EEEiN2at4cuda3cub6detail10OpaqueTypeILi8EEEEENS1_37wrapped_merge_sort_block_merge_configINS0_14default_configEiSC_EEEEvv
                                        ; -- End function
	.section	.AMDGPU.csdata,"",@progbits
; Kernel info:
; codeLenInByte = 4
; NumSgprs: 4
; NumVgprs: 0
; NumAgprs: 0
; TotalNumVgprs: 0
; ScratchSize: 0
; MemoryBound: 0
; FloatMode: 240
; IeeeMode: 1
; LDSByteSize: 0 bytes/workgroup (compile time only)
; SGPRBlocks: 0
; VGPRBlocks: 0
; NumSGPRsForWavesPerEU: 4
; NumVGPRsForWavesPerEU: 1
; AccumOffset: 4
; Occupancy: 8
; WaveLimiterHint : 0
; COMPUTE_PGM_RSRC2:SCRATCH_EN: 0
; COMPUTE_PGM_RSRC2:USER_SGPR: 4
; COMPUTE_PGM_RSRC2:TRAP_HANDLER: 0
; COMPUTE_PGM_RSRC2:TGID_X_EN: 1
; COMPUTE_PGM_RSRC2:TGID_Y_EN: 0
; COMPUTE_PGM_RSRC2:TGID_Z_EN: 0
; COMPUTE_PGM_RSRC2:TIDIG_COMP_CNT: 0
; COMPUTE_PGM_RSRC3_GFX90A:ACCUM_OFFSET: 0
; COMPUTE_PGM_RSRC3_GFX90A:TG_SPLIT: 0
	.section	.text._ZN7rocprim17ROCPRIM_304000_NS6detail45device_block_merge_mergepath_partition_kernelINS1_37wrapped_merge_sort_block_merge_configINS0_14default_configEiN2at4cuda3cub6detail10OpaqueTypeILi8EEEEEPijNS1_19radix_merge_compareILb1ELb0EiNS0_19identity_decomposerEEEEEvT0_T1_jPSH_T2_SH_,"axG",@progbits,_ZN7rocprim17ROCPRIM_304000_NS6detail45device_block_merge_mergepath_partition_kernelINS1_37wrapped_merge_sort_block_merge_configINS0_14default_configEiN2at4cuda3cub6detail10OpaqueTypeILi8EEEEEPijNS1_19radix_merge_compareILb1ELb0EiNS0_19identity_decomposerEEEEEvT0_T1_jPSH_T2_SH_,comdat
	.protected	_ZN7rocprim17ROCPRIM_304000_NS6detail45device_block_merge_mergepath_partition_kernelINS1_37wrapped_merge_sort_block_merge_configINS0_14default_configEiN2at4cuda3cub6detail10OpaqueTypeILi8EEEEEPijNS1_19radix_merge_compareILb1ELb0EiNS0_19identity_decomposerEEEEEvT0_T1_jPSH_T2_SH_ ; -- Begin function _ZN7rocprim17ROCPRIM_304000_NS6detail45device_block_merge_mergepath_partition_kernelINS1_37wrapped_merge_sort_block_merge_configINS0_14default_configEiN2at4cuda3cub6detail10OpaqueTypeILi8EEEEEPijNS1_19radix_merge_compareILb1ELb0EiNS0_19identity_decomposerEEEEEvT0_T1_jPSH_T2_SH_
	.globl	_ZN7rocprim17ROCPRIM_304000_NS6detail45device_block_merge_mergepath_partition_kernelINS1_37wrapped_merge_sort_block_merge_configINS0_14default_configEiN2at4cuda3cub6detail10OpaqueTypeILi8EEEEEPijNS1_19radix_merge_compareILb1ELb0EiNS0_19identity_decomposerEEEEEvT0_T1_jPSH_T2_SH_
	.p2align	8
	.type	_ZN7rocprim17ROCPRIM_304000_NS6detail45device_block_merge_mergepath_partition_kernelINS1_37wrapped_merge_sort_block_merge_configINS0_14default_configEiN2at4cuda3cub6detail10OpaqueTypeILi8EEEEEPijNS1_19radix_merge_compareILb1ELb0EiNS0_19identity_decomposerEEEEEvT0_T1_jPSH_T2_SH_,@function
_ZN7rocprim17ROCPRIM_304000_NS6detail45device_block_merge_mergepath_partition_kernelINS1_37wrapped_merge_sort_block_merge_configINS0_14default_configEiN2at4cuda3cub6detail10OpaqueTypeILi8EEEEEPijNS1_19radix_merge_compareILb1ELb0EiNS0_19identity_decomposerEEEEEvT0_T1_jPSH_T2_SH_: ; @_ZN7rocprim17ROCPRIM_304000_NS6detail45device_block_merge_mergepath_partition_kernelINS1_37wrapped_merge_sort_block_merge_configINS0_14default_configEiN2at4cuda3cub6detail10OpaqueTypeILi8EEEEEPijNS1_19radix_merge_compareILb1ELb0EiNS0_19identity_decomposerEEEEEvT0_T1_jPSH_T2_SH_
; %bb.0:
	s_load_dwordx2 s[0:1], s[4:5], 0x8
	v_lshl_or_b32 v0, s6, 7, v0
	s_waitcnt lgkmcnt(0)
	v_cmp_gt_u32_e32 vcc, s1, v0
	s_and_saveexec_b64 s[2:3], vcc
	s_cbranch_execz .LBB76_6
; %bb.1:
	s_load_dword s1, s[4:5], 0x1c
	s_waitcnt lgkmcnt(0)
	s_lshr_b32 s2, s1, 9
	s_and_b32 s2, s2, 0x7ffffe
	s_add_i32 s3, s2, -1
	s_sub_i32 s2, 0, s2
	v_and_b32_e32 v1, s2, v0
	v_and_b32_e32 v2, s3, v0
	v_lshlrev_b32_e32 v1, 10, v1
	v_lshlrev_b32_e32 v3, 10, v2
	v_min_u32_e32 v2, s0, v1
	v_add_u32_e32 v1, s1, v1
	v_min_u32_e32 v4, s0, v1
	v_add_u32_e32 v1, s1, v4
	v_min_u32_e32 v1, s0, v1
	v_sub_u32_e32 v5, v1, v2
	v_min_u32_e32 v6, v5, v3
	v_sub_u32_e32 v3, v4, v2
	v_sub_u32_e32 v1, v1, v4
	v_sub_u32_e64 v1, v6, v1 clamp
	v_min_u32_e32 v7, v6, v3
	v_cmp_lt_u32_e32 vcc, v1, v7
	s_and_saveexec_b64 s[0:1], vcc
	s_cbranch_execz .LBB76_5
; %bb.2:
	s_load_dwordx2 s[2:3], s[4:5], 0x0
	v_mov_b32_e32 v5, 0
	v_mov_b32_e32 v3, v5
	v_lshlrev_b64 v[8:9], 2, v[2:3]
	v_lshlrev_b64 v[10:11], 2, v[4:5]
	s_waitcnt lgkmcnt(0)
	v_mov_b32_e32 v12, s3
	v_add_co_u32_e32 v3, vcc, s2, v8
	v_addc_co_u32_e32 v8, vcc, v12, v9, vcc
	v_add_co_u32_e32 v9, vcc, s2, v10
	v_addc_co_u32_e32 v10, vcc, v12, v11, vcc
	s_mov_b64 s[2:3], 0
.LBB76_3:                               ; =>This Inner Loop Header: Depth=1
	v_add_u32_e32 v4, v7, v1
	v_lshrrev_b32_e32 v4, 1, v4
	v_lshlrev_b64 v[14:15], 2, v[4:5]
	v_mov_b32_e32 v13, v5
	v_xad_u32 v12, v4, -1, v6
	v_add_co_u32_e32 v14, vcc, v3, v14
	v_addc_co_u32_e32 v15, vcc, v8, v15, vcc
	v_lshlrev_b64 v[12:13], 2, v[12:13]
	v_add_co_u32_e32 v12, vcc, v9, v12
	v_addc_co_u32_e32 v13, vcc, v10, v13, vcc
	global_load_dword v11, v[14:15], off
	global_load_dword v16, v[12:13], off
	v_add_u32_e32 v12, 1, v4
	s_waitcnt vmcnt(0)
	v_cmp_gt_i32_e32 vcc, v16, v11
	v_cndmask_b32_e32 v7, v7, v4, vcc
	v_cndmask_b32_e32 v1, v12, v1, vcc
	v_cmp_ge_u32_e32 vcc, v1, v7
	s_or_b64 s[2:3], vcc, s[2:3]
	s_andn2_b64 exec, exec, s[2:3]
	s_cbranch_execnz .LBB76_3
; %bb.4:
	s_or_b64 exec, exec, s[2:3]
.LBB76_5:
	s_or_b64 exec, exec, s[0:1]
	s_load_dwordx2 s[0:1], s[4:5], 0x10
	v_add_u32_e32 v2, v1, v2
	v_mov_b32_e32 v1, 0
	v_lshlrev_b64 v[0:1], 2, v[0:1]
	s_waitcnt lgkmcnt(0)
	v_mov_b32_e32 v3, s1
	v_add_co_u32_e32 v0, vcc, s0, v0
	v_addc_co_u32_e32 v1, vcc, v3, v1, vcc
	global_store_dword v[0:1], v2, off
.LBB76_6:
	s_endpgm
	.section	.rodata,"a",@progbits
	.p2align	6, 0x0
	.amdhsa_kernel _ZN7rocprim17ROCPRIM_304000_NS6detail45device_block_merge_mergepath_partition_kernelINS1_37wrapped_merge_sort_block_merge_configINS0_14default_configEiN2at4cuda3cub6detail10OpaqueTypeILi8EEEEEPijNS1_19radix_merge_compareILb1ELb0EiNS0_19identity_decomposerEEEEEvT0_T1_jPSH_T2_SH_
		.amdhsa_group_segment_fixed_size 0
		.amdhsa_private_segment_fixed_size 0
		.amdhsa_kernarg_size 32
		.amdhsa_user_sgpr_count 6
		.amdhsa_user_sgpr_private_segment_buffer 1
		.amdhsa_user_sgpr_dispatch_ptr 0
		.amdhsa_user_sgpr_queue_ptr 0
		.amdhsa_user_sgpr_kernarg_segment_ptr 1
		.amdhsa_user_sgpr_dispatch_id 0
		.amdhsa_user_sgpr_flat_scratch_init 0
		.amdhsa_user_sgpr_kernarg_preload_length 0
		.amdhsa_user_sgpr_kernarg_preload_offset 0
		.amdhsa_user_sgpr_private_segment_size 0
		.amdhsa_uses_dynamic_stack 0
		.amdhsa_system_sgpr_private_segment_wavefront_offset 0
		.amdhsa_system_sgpr_workgroup_id_x 1
		.amdhsa_system_sgpr_workgroup_id_y 0
		.amdhsa_system_sgpr_workgroup_id_z 0
		.amdhsa_system_sgpr_workgroup_info 0
		.amdhsa_system_vgpr_workitem_id 0
		.amdhsa_next_free_vgpr 17
		.amdhsa_next_free_sgpr 7
		.amdhsa_accum_offset 20
		.amdhsa_reserve_vcc 1
		.amdhsa_reserve_flat_scratch 0
		.amdhsa_float_round_mode_32 0
		.amdhsa_float_round_mode_16_64 0
		.amdhsa_float_denorm_mode_32 3
		.amdhsa_float_denorm_mode_16_64 3
		.amdhsa_dx10_clamp 1
		.amdhsa_ieee_mode 1
		.amdhsa_fp16_overflow 0
		.amdhsa_tg_split 0
		.amdhsa_exception_fp_ieee_invalid_op 0
		.amdhsa_exception_fp_denorm_src 0
		.amdhsa_exception_fp_ieee_div_zero 0
		.amdhsa_exception_fp_ieee_overflow 0
		.amdhsa_exception_fp_ieee_underflow 0
		.amdhsa_exception_fp_ieee_inexact 0
		.amdhsa_exception_int_div_zero 0
	.end_amdhsa_kernel
	.section	.text._ZN7rocprim17ROCPRIM_304000_NS6detail45device_block_merge_mergepath_partition_kernelINS1_37wrapped_merge_sort_block_merge_configINS0_14default_configEiN2at4cuda3cub6detail10OpaqueTypeILi8EEEEEPijNS1_19radix_merge_compareILb1ELb0EiNS0_19identity_decomposerEEEEEvT0_T1_jPSH_T2_SH_,"axG",@progbits,_ZN7rocprim17ROCPRIM_304000_NS6detail45device_block_merge_mergepath_partition_kernelINS1_37wrapped_merge_sort_block_merge_configINS0_14default_configEiN2at4cuda3cub6detail10OpaqueTypeILi8EEEEEPijNS1_19radix_merge_compareILb1ELb0EiNS0_19identity_decomposerEEEEEvT0_T1_jPSH_T2_SH_,comdat
.Lfunc_end76:
	.size	_ZN7rocprim17ROCPRIM_304000_NS6detail45device_block_merge_mergepath_partition_kernelINS1_37wrapped_merge_sort_block_merge_configINS0_14default_configEiN2at4cuda3cub6detail10OpaqueTypeILi8EEEEEPijNS1_19radix_merge_compareILb1ELb0EiNS0_19identity_decomposerEEEEEvT0_T1_jPSH_T2_SH_, .Lfunc_end76-_ZN7rocprim17ROCPRIM_304000_NS6detail45device_block_merge_mergepath_partition_kernelINS1_37wrapped_merge_sort_block_merge_configINS0_14default_configEiN2at4cuda3cub6detail10OpaqueTypeILi8EEEEEPijNS1_19radix_merge_compareILb1ELb0EiNS0_19identity_decomposerEEEEEvT0_T1_jPSH_T2_SH_
                                        ; -- End function
	.section	.AMDGPU.csdata,"",@progbits
; Kernel info:
; codeLenInByte = 364
; NumSgprs: 11
; NumVgprs: 17
; NumAgprs: 0
; TotalNumVgprs: 17
; ScratchSize: 0
; MemoryBound: 0
; FloatMode: 240
; IeeeMode: 1
; LDSByteSize: 0 bytes/workgroup (compile time only)
; SGPRBlocks: 1
; VGPRBlocks: 2
; NumSGPRsForWavesPerEU: 11
; NumVGPRsForWavesPerEU: 17
; AccumOffset: 20
; Occupancy: 8
; WaveLimiterHint : 0
; COMPUTE_PGM_RSRC2:SCRATCH_EN: 0
; COMPUTE_PGM_RSRC2:USER_SGPR: 6
; COMPUTE_PGM_RSRC2:TRAP_HANDLER: 0
; COMPUTE_PGM_RSRC2:TGID_X_EN: 1
; COMPUTE_PGM_RSRC2:TGID_Y_EN: 0
; COMPUTE_PGM_RSRC2:TGID_Z_EN: 0
; COMPUTE_PGM_RSRC2:TIDIG_COMP_CNT: 0
; COMPUTE_PGM_RSRC3_GFX90A:ACCUM_OFFSET: 4
; COMPUTE_PGM_RSRC3_GFX90A:TG_SPLIT: 0
	.section	.text._ZN7rocprim17ROCPRIM_304000_NS6detail35device_block_merge_mergepath_kernelINS1_37wrapped_merge_sort_block_merge_configINS0_14default_configEiN2at4cuda3cub6detail10OpaqueTypeILi8EEEEEPiSC_PSA_SD_jNS1_19radix_merge_compareILb1ELb0EiNS0_19identity_decomposerEEEEEvT0_T1_T2_T3_T4_SL_jT5_PKSL_NS1_7vsmem_tE,"axG",@progbits,_ZN7rocprim17ROCPRIM_304000_NS6detail35device_block_merge_mergepath_kernelINS1_37wrapped_merge_sort_block_merge_configINS0_14default_configEiN2at4cuda3cub6detail10OpaqueTypeILi8EEEEEPiSC_PSA_SD_jNS1_19radix_merge_compareILb1ELb0EiNS0_19identity_decomposerEEEEEvT0_T1_T2_T3_T4_SL_jT5_PKSL_NS1_7vsmem_tE,comdat
	.protected	_ZN7rocprim17ROCPRIM_304000_NS6detail35device_block_merge_mergepath_kernelINS1_37wrapped_merge_sort_block_merge_configINS0_14default_configEiN2at4cuda3cub6detail10OpaqueTypeILi8EEEEEPiSC_PSA_SD_jNS1_19radix_merge_compareILb1ELb0EiNS0_19identity_decomposerEEEEEvT0_T1_T2_T3_T4_SL_jT5_PKSL_NS1_7vsmem_tE ; -- Begin function _ZN7rocprim17ROCPRIM_304000_NS6detail35device_block_merge_mergepath_kernelINS1_37wrapped_merge_sort_block_merge_configINS0_14default_configEiN2at4cuda3cub6detail10OpaqueTypeILi8EEEEEPiSC_PSA_SD_jNS1_19radix_merge_compareILb1ELb0EiNS0_19identity_decomposerEEEEEvT0_T1_T2_T3_T4_SL_jT5_PKSL_NS1_7vsmem_tE
	.globl	_ZN7rocprim17ROCPRIM_304000_NS6detail35device_block_merge_mergepath_kernelINS1_37wrapped_merge_sort_block_merge_configINS0_14default_configEiN2at4cuda3cub6detail10OpaqueTypeILi8EEEEEPiSC_PSA_SD_jNS1_19radix_merge_compareILb1ELb0EiNS0_19identity_decomposerEEEEEvT0_T1_T2_T3_T4_SL_jT5_PKSL_NS1_7vsmem_tE
	.p2align	8
	.type	_ZN7rocprim17ROCPRIM_304000_NS6detail35device_block_merge_mergepath_kernelINS1_37wrapped_merge_sort_block_merge_configINS0_14default_configEiN2at4cuda3cub6detail10OpaqueTypeILi8EEEEEPiSC_PSA_SD_jNS1_19radix_merge_compareILb1ELb0EiNS0_19identity_decomposerEEEEEvT0_T1_T2_T3_T4_SL_jT5_PKSL_NS1_7vsmem_tE,@function
_ZN7rocprim17ROCPRIM_304000_NS6detail35device_block_merge_mergepath_kernelINS1_37wrapped_merge_sort_block_merge_configINS0_14default_configEiN2at4cuda3cub6detail10OpaqueTypeILi8EEEEEPiSC_PSA_SD_jNS1_19radix_merge_compareILb1ELb0EiNS0_19identity_decomposerEEEEEvT0_T1_T2_T3_T4_SL_jT5_PKSL_NS1_7vsmem_tE: ; @_ZN7rocprim17ROCPRIM_304000_NS6detail35device_block_merge_mergepath_kernelINS1_37wrapped_merge_sort_block_merge_configINS0_14default_configEiN2at4cuda3cub6detail10OpaqueTypeILi8EEEEEPiSC_PSA_SD_jNS1_19radix_merge_compareILb1ELb0EiNS0_19identity_decomposerEEEEEvT0_T1_T2_T3_T4_SL_jT5_PKSL_NS1_7vsmem_tE
; %bb.0:
	s_load_dwordx2 s[26:27], s[4:5], 0x40
	s_load_dwordx4 s[16:19], s[4:5], 0x20
	s_add_u32 s2, s4, 64
	s_addc_u32 s3, s5, 0
	s_waitcnt lgkmcnt(0)
	s_mul_i32 s0, s27, s8
	s_add_i32 s0, s0, s7
	s_mul_i32 s0, s0, s26
	s_add_i32 s0, s0, s6
	s_cmp_ge_u32 s0, s18
	s_cbranch_scc1 .LBB77_69
; %bb.1:
	s_load_dwordx8 s[8:15], s[4:5], 0x0
	s_load_dwordx2 s[18:19], s[4:5], 0x30
	s_lshr_b32 s29, s16, 10
	s_cmp_lg_u32 s0, s29
	s_mov_b32 s1, 0
	s_cselect_b64 s[20:21], -1, 0
	s_lshl_b64 s[4:5], s[0:1], 2
	s_waitcnt lgkmcnt(0)
	s_add_u32 s4, s18, s4
	s_addc_u32 s5, s19, s5
	s_load_dwordx2 s[22:23], s[4:5], 0x0
	s_lshr_b32 s4, s17, 9
	s_and_b32 s4, s4, 0x7ffffe
	s_sub_i32 s4, 0, s4
	s_and_b32 s5, s0, s4
	s_lshl_b32 s7, s5, 10
	s_lshl_b32 s18, s0, 10
	;; [unrolled: 1-line block ×3, first 2 shown]
	s_sub_i32 s19, s18, s7
	s_add_i32 s5, s5, s17
	s_add_i32 s19, s5, s19
	s_waitcnt lgkmcnt(0)
	s_sub_i32 s24, s19, s22
	s_sub_i32 s19, s19, s23
	;; [unrolled: 1-line block ×3, first 2 shown]
	s_min_u32 s24, s16, s24
	s_addk_i32 s19, 0x400
	s_or_b32 s4, s0, s4
	s_min_u32 s7, s16, s5
	s_add_i32 s5, s5, s17
	s_cmp_eq_u32 s4, -1
	s_cselect_b32 s4, s5, s19
	s_cselect_b32 s5, s7, s23
	s_min_u32 s4, s4, s16
	s_mov_b32 s23, s1
	s_sub_i32 s19, s5, s22
	s_sub_i32 s27, s4, s24
	s_lshl_b64 s[4:5], s[22:23], 2
	s_add_u32 s7, s8, s4
	s_mov_b32 s25, s1
	s_addc_u32 s28, s9, s5
	s_lshl_b64 s[4:5], s[24:25], 2
	s_add_u32 s4, s8, s4
	s_addc_u32 s5, s9, s5
	s_cmp_lt_u32 s6, s26
	v_mov_b32_e32 v11, 0
	s_cselect_b32 s1, 12, 18
	global_load_dword v1, v11, s[2:3] offset:14
	s_add_u32 s2, s2, s1
	s_addc_u32 s3, s3, 0
	global_load_ushort v2, v11, s[2:3]
	v_cmp_gt_u32_e32 vcc, s19, v0
	s_cmp_eq_u32 s0, s29
	s_waitcnt vmcnt(1)
	v_lshrrev_b32_e32 v3, 16, v1
	v_and_b32_e32 v1, 0xffff, v1
	v_mul_lo_u32 v1, v1, v3
	s_waitcnt vmcnt(0)
	v_mul_lo_u32 v12, v1, v2
	v_add_u32_e32 v8, v12, v0
	v_lshlrev_b32_e32 v1, 2, v0
	v_add_u32_e32 v6, v8, v12
	s_cbranch_scc1 .LBB77_3
; %bb.2:
	v_mov_b32_e32 v2, s28
	v_add_co_u32_e64 v4, s[0:1], s7, v1
	v_subrev_u32_e32 v10, s19, v0
	v_addc_co_u32_e64 v5, s[0:1], 0, v2, s[0:1]
	v_lshlrev_b64 v[2:3], 2, v[10:11]
	v_mov_b32_e32 v7, s5
	v_add_co_u32_e64 v2, s[0:1], s4, v2
	v_addc_co_u32_e64 v3, s[0:1], v7, v3, s[0:1]
	v_mov_b32_e32 v9, v11
	v_cndmask_b32_e32 v3, v3, v5, vcc
	v_cndmask_b32_e32 v2, v2, v4, vcc
	v_lshlrev_b64 v[4:5], 2, v[8:9]
	global_load_dword v2, v[2:3], off
	v_mov_b32_e32 v3, s28
	v_add_co_u32_e32 v7, vcc, s7, v4
	v_subrev_u32_e32 v10, s19, v8
	v_addc_co_u32_e32 v3, vcc, v3, v5, vcc
	v_lshlrev_b64 v[4:5], 2, v[10:11]
	v_mov_b32_e32 v9, s5
	v_add_co_u32_e32 v4, vcc, s4, v4
	v_addc_co_u32_e32 v5, vcc, v9, v5, vcc
	v_cmp_gt_u32_e32 vcc, s19, v8
	v_cndmask_b32_e32 v5, v5, v3, vcc
	v_cndmask_b32_e32 v4, v4, v7, vcc
	v_mov_b32_e32 v7, v11
	global_load_dword v3, v[4:5], off
	v_lshlrev_b64 v[4:5], 2, v[6:7]
	v_mov_b32_e32 v7, s28
	v_add_co_u32_e32 v9, vcc, s7, v4
	v_subrev_u32_e32 v10, s19, v6
	v_addc_co_u32_e32 v7, vcc, v7, v5, vcc
	v_lshlrev_b64 v[4:5], 2, v[10:11]
	v_mov_b32_e32 v10, s5
	v_add_co_u32_e32 v4, vcc, s4, v4
	v_addc_co_u32_e32 v5, vcc, v10, v5, vcc
	v_cmp_gt_u32_e32 vcc, s19, v6
	v_add_u32_e32 v10, v6, v12
	v_cndmask_b32_e32 v5, v5, v7, vcc
	v_cndmask_b32_e32 v4, v4, v9, vcc
	v_lshlrev_b64 v[14:15], 2, v[10:11]
	global_load_dword v4, v[4:5], off
	v_mov_b32_e32 v5, s28
	v_add_co_u32_e32 v7, vcc, s7, v14
	v_addc_co_u32_e32 v5, vcc, v5, v15, vcc
	v_cmp_gt_u32_e32 vcc, s19, v10
	v_subrev_u32_e32 v10, s19, v10
	v_lshlrev_b64 v[10:11], 2, v[10:11]
	v_mov_b32_e32 v9, s5
	v_add_co_u32_e64 v10, s[0:1], s4, v10
	v_addc_co_u32_e64 v9, s[0:1], v9, v11, s[0:1]
	v_cndmask_b32_e32 v11, v9, v5, vcc
	v_cndmask_b32_e32 v10, v10, v7, vcc
	global_load_dword v5, v[10:11], off
	s_add_i32 s17, s27, s19
	s_cbranch_execz .LBB77_4
	s_branch .LBB77_11
.LBB77_3:
                                        ; implicit-def: $vgpr2_vgpr3_vgpr4_vgpr5
                                        ; implicit-def: $sgpr17
.LBB77_4:
	s_add_i32 s17, s27, s19
	v_cmp_gt_u32_e32 vcc, s17, v0
                                        ; implicit-def: $vgpr2_vgpr3_vgpr4_vgpr5
	s_and_saveexec_b64 s[0:1], vcc
	s_cbranch_execnz .LBB77_70
; %bb.5:
	s_or_b64 exec, exec, s[0:1]
	v_cmp_gt_u32_e32 vcc, s17, v8
	s_and_saveexec_b64 s[2:3], vcc
	s_cbranch_execnz .LBB77_71
.LBB77_6:
	s_or_b64 exec, exec, s[2:3]
	v_cmp_gt_u32_e32 vcc, s17, v6
	s_and_saveexec_b64 s[0:1], vcc
	s_cbranch_execz .LBB77_8
.LBB77_7:
	v_mov_b32_e32 v7, 0
	v_lshlrev_b64 v[8:9], 2, v[6:7]
	s_waitcnt vmcnt(1)
	v_mov_b32_e32 v4, s28
	v_add_co_u32_e32 v10, vcc, s7, v8
	v_addc_co_u32_e32 v4, vcc, v4, v9, vcc
	v_subrev_u32_e32 v8, s19, v6
	v_mov_b32_e32 v9, v7
	v_lshlrev_b64 v[8:9], 2, v[8:9]
	v_mov_b32_e32 v7, s5
	v_add_co_u32_e32 v8, vcc, s4, v8
	v_addc_co_u32_e32 v7, vcc, v7, v9, vcc
	v_cmp_gt_u32_e32 vcc, s19, v6
	v_cndmask_b32_e32 v9, v7, v4, vcc
	v_cndmask_b32_e32 v8, v8, v10, vcc
	global_load_dword v4, v[8:9], off
.LBB77_8:
	s_or_b64 exec, exec, s[0:1]
	v_add_u32_e32 v6, v6, v12
	v_cmp_gt_u32_e32 vcc, s17, v6
	s_and_saveexec_b64 s[2:3], vcc
	s_cbranch_execz .LBB77_10
; %bb.9:
	v_mov_b32_e32 v7, 0
	v_lshlrev_b64 v[8:9], 2, v[6:7]
	s_waitcnt vmcnt(0)
	v_mov_b32_e32 v5, s28
	v_add_co_u32_e32 v8, vcc, s7, v8
	v_addc_co_u32_e32 v5, vcc, v5, v9, vcc
	v_cmp_gt_u32_e32 vcc, s19, v6
	v_subrev_u32_e32 v6, s19, v6
	v_lshlrev_b64 v[6:7], 2, v[6:7]
	v_mov_b32_e32 v9, s5
	v_add_co_u32_e64 v6, s[0:1], s4, v6
	v_addc_co_u32_e64 v7, s[0:1], v9, v7, s[0:1]
	v_cndmask_b32_e32 v7, v7, v5, vcc
	v_cndmask_b32_e32 v6, v6, v8, vcc
	global_load_dword v5, v[6:7], off
.LBB77_10:
	s_or_b64 exec, exec, s[2:3]
.LBB77_11:
	v_min_u32_e32 v7, s17, v1
	v_sub_u32_e64 v6, v7, s27 clamp
	v_min_u32_e32 v8, s19, v7
	v_cmp_lt_u32_e32 vcc, v6, v8
	s_waitcnt vmcnt(0)
	ds_write2st64_b32 v1, v2, v3 offset1:4
	ds_write2st64_b32 v1, v4, v5 offset0:8 offset1:12
	s_waitcnt lgkmcnt(0)
	s_barrier
	s_and_saveexec_b64 s[0:1], vcc
	s_cbranch_execz .LBB77_15
; %bb.12:
	v_lshlrev_b32_e32 v9, 2, v7
	v_lshl_add_u32 v9, s19, 2, v9
	s_mov_b64 s[2:3], 0
.LBB77_13:                              ; =>This Inner Loop Header: Depth=1
	v_add_u32_e32 v10, v8, v6
	v_lshrrev_b32_e32 v10, 1, v10
	v_not_b32_e32 v11, v10
	v_lshlrev_b32_e32 v12, 2, v10
	v_lshl_add_u32 v11, v11, 2, v9
	ds_read_b32 v12, v12
	ds_read_b32 v11, v11
	v_add_u32_e32 v13, 1, v10
	s_waitcnt lgkmcnt(0)
	v_cmp_gt_i32_e32 vcc, v11, v12
	v_cndmask_b32_e32 v8, v8, v10, vcc
	v_cndmask_b32_e32 v6, v13, v6, vcc
	v_cmp_ge_u32_e32 vcc, v6, v8
	s_or_b64 s[2:3], vcc, s[2:3]
	s_andn2_b64 exec, exec, s[2:3]
	s_cbranch_execnz .LBB77_13
; %bb.14:
	s_or_b64 exec, exec, s[2:3]
.LBB77_15:
	s_or_b64 exec, exec, s[0:1]
	v_sub_u32_e32 v7, v7, v6
	v_add_u32_e32 v7, s19, v7
	v_cmp_ge_u32_e32 vcc, s19, v6
	v_cmp_ge_u32_e64 s[0:1], s17, v7
	s_or_b64 s[0:1], vcc, s[0:1]
                                        ; implicit-def: $vgpr10
                                        ; implicit-def: $vgpr11
                                        ; implicit-def: $vgpr12
                                        ; implicit-def: $vgpr13
	s_and_saveexec_b64 s[8:9], s[0:1]
	s_cbranch_execz .LBB77_21
; %bb.16:
	v_cmp_gt_u32_e32 vcc, s19, v6
                                        ; implicit-def: $vgpr2
	s_and_saveexec_b64 s[0:1], vcc
	s_cbranch_execz .LBB77_18
; %bb.17:
	v_lshlrev_b32_e32 v2, 2, v6
	ds_read_b32 v2, v2
.LBB77_18:
	s_or_b64 exec, exec, s[0:1]
	v_cmp_le_u32_e64 s[0:1], s17, v7
	v_cmp_gt_u32_e64 s[2:3], s17, v7
                                        ; implicit-def: $vgpr3
	s_and_saveexec_b64 s[4:5], s[2:3]
	s_cbranch_execz .LBB77_20
; %bb.19:
	v_lshlrev_b32_e32 v3, 2, v7
	ds_read_b32 v3, v3
.LBB77_20:
	s_or_b64 exec, exec, s[4:5]
	s_waitcnt lgkmcnt(0)
	v_cmp_le_i32_e64 s[2:3], v3, v2
	s_and_b64 s[2:3], vcc, s[2:3]
	s_or_b64 vcc, s[0:1], s[2:3]
	v_mov_b32_e32 v4, s17
	v_mov_b32_e32 v5, s19
	v_cndmask_b32_e32 v13, v7, v6, vcc
	v_cndmask_b32_e32 v8, v4, v5, vcc
	v_add_u32_e32 v9, 1, v13
	v_add_u32_e32 v8, -1, v8
	v_min_u32_e32 v8, v9, v8
	v_lshlrev_b32_e32 v8, 2, v8
	ds_read_b32 v8, v8
	v_cndmask_b32_e32 v6, v6, v9, vcc
	v_cndmask_b32_e32 v7, v9, v7, vcc
	v_cmp_gt_u32_e64 s[2:3], s19, v6
	v_cmp_le_u32_e64 s[0:1], s17, v7
	s_waitcnt lgkmcnt(0)
	v_cndmask_b32_e32 v10, v8, v3, vcc
	v_cndmask_b32_e32 v8, v2, v8, vcc
	v_cmp_le_i32_e64 s[4:5], v10, v8
	s_and_b64 s[2:3], s[2:3], s[4:5]
	s_or_b64 s[0:1], s[0:1], s[2:3]
	v_cndmask_b32_e64 v12, v7, v6, s[0:1]
	v_cndmask_b32_e64 v9, v4, v5, s[0:1]
	v_add_u32_e32 v11, 1, v12
	v_add_u32_e32 v9, -1, v9
	v_min_u32_e32 v9, v11, v9
	v_lshlrev_b32_e32 v9, 2, v9
	ds_read_b32 v9, v9
	v_cndmask_b32_e64 v6, v6, v11, s[0:1]
	v_cndmask_b32_e64 v7, v11, v7, s[0:1]
	v_cmp_gt_u32_e64 s[4:5], s19, v6
	v_cmp_le_u32_e64 s[2:3], s17, v7
	s_waitcnt lgkmcnt(0)
	v_cndmask_b32_e64 v14, v9, v10, s[0:1]
	v_cndmask_b32_e64 v9, v8, v9, s[0:1]
	v_cmp_le_i32_e64 s[6:7], v14, v9
	s_and_b64 s[4:5], s[4:5], s[6:7]
	s_or_b64 s[2:3], s[2:3], s[4:5]
	v_cndmask_b32_e64 v11, v7, v6, s[2:3]
	v_cndmask_b32_e64 v4, v4, v5, s[2:3]
	v_add_u32_e32 v5, 1, v11
	v_add_u32_e32 v4, -1, v4
	v_min_u32_e32 v4, v5, v4
	v_lshlrev_b32_e32 v4, 2, v4
	ds_read_b32 v15, v4
	v_cndmask_b32_e32 v2, v3, v2, vcc
	v_cndmask_b32_e64 v3, v10, v8, s[0:1]
	v_cndmask_b32_e64 v4, v14, v9, s[2:3]
	;; [unrolled: 1-line block ×3, first 2 shown]
	s_waitcnt lgkmcnt(0)
	v_cndmask_b32_e64 v8, v15, v14, s[2:3]
	v_cndmask_b32_e64 v9, v9, v15, s[2:3]
	;; [unrolled: 1-line block ×3, first 2 shown]
	v_cmp_gt_u32_e64 s[0:1], s19, v5
	v_cmp_le_i32_e64 s[2:3], v8, v9
	v_cmp_le_u32_e32 vcc, s17, v7
	s_and_b64 s[0:1], s[0:1], s[2:3]
	s_or_b64 vcc, vcc, s[0:1]
	v_cndmask_b32_e32 v10, v7, v5, vcc
	v_cndmask_b32_e32 v5, v8, v9, vcc
.LBB77_21:
	s_or_b64 exec, exec, s[8:9]
	s_lshl_b64 s[0:1], s[22:23], 3
	s_add_u32 s26, s12, s0
	s_addc_u32 s28, s13, s1
	s_lshl_b64 s[0:1], s[24:25], 3
	s_add_u32 s29, s12, s0
	v_cndmask_b32_e64 v6, 0, 1, s[20:21]
	s_addc_u32 s30, s13, s1
	v_cmp_gt_u32_e64 s[4:5], s19, v0
	v_cmp_ne_u32_e64 s[0:1], 1, v6
	s_andn2_b64 vcc, exec, s[20:21]
	v_cmp_le_u32_e64 s[2:3], s19, v0
	s_barrier
	s_cbranch_vccnz .LBB77_23
; %bb.22:
	v_subrev_u32_e32 v6, s19, v0
	v_mov_b32_e32 v7, 0
	v_lshlrev_b64 v[8:9], 3, v[6:7]
	v_mov_b32_e32 v6, s30
	v_add_co_u32_e32 v8, vcc, s29, v8
	v_addc_co_u32_e32 v6, vcc, v6, v9, vcc
	v_lshlrev_b32_e32 v20, 3, v0
	v_mov_b32_e32 v9, s28
	v_add_co_u32_e32 v21, vcc, s26, v20
	v_addc_co_u32_e32 v22, vcc, 0, v9, vcc
	v_cndmask_b32_e64 v9, v6, v22, s[4:5]
	v_cndmask_b32_e64 v8, v8, v21, s[4:5]
	v_or_b32_e32 v16, 0x100, v0
	s_movk_i32 s4, 0x800
	v_add_co_u32_e32 v17, vcc, s4, v21
	v_subrev_u32_e32 v6, s19, v16
	v_addc_co_u32_e32 v18, vcc, 0, v22, vcc
	v_lshlrev_b64 v[14:15], 3, v[6:7]
	v_mov_b32_e32 v6, s30
	v_add_co_u32_e32 v14, vcc, s29, v14
	v_addc_co_u32_e32 v6, vcc, v6, v15, vcc
	v_cmp_gt_u32_e32 vcc, s19, v16
	v_cndmask_b32_e32 v15, v6, v18, vcc
	v_or_b32_e32 v18, 0x200, v0
	s_movk_i32 s4, 0x1000
	v_cndmask_b32_e32 v14, v14, v17, vcc
	v_add_co_u32_e32 v19, vcc, s4, v21
	v_subrev_u32_e32 v6, s19, v18
	global_load_dwordx2 v[16:17], v[14:15], off
	v_addc_co_u32_e32 v23, vcc, 0, v22, vcc
	v_lshlrev_b64 v[14:15], 3, v[6:7]
	v_mov_b32_e32 v6, s30
	v_add_co_u32_e32 v14, vcc, s29, v14
	v_addc_co_u32_e32 v6, vcc, v6, v15, vcc
	v_cmp_gt_u32_e32 vcc, s19, v18
	global_load_dwordx2 v[8:9], v[8:9], off
	v_cndmask_b32_e32 v15, v6, v23, vcc
	v_cndmask_b32_e32 v14, v14, v19, vcc
	global_load_dwordx2 v[18:19], v[14:15], off
	v_or_b32_e32 v14, 0x300, v0
	s_movk_i32 s4, 0x1800
	v_add_co_u32_e32 v21, vcc, s4, v21
	v_subrev_u32_e32 v6, s19, v14
	v_addc_co_u32_e32 v22, vcc, 0, v22, vcc
	v_lshlrev_b64 v[6:7], 3, v[6:7]
	v_mov_b32_e32 v23, s30
	v_add_co_u32_e32 v6, vcc, s29, v6
	v_addc_co_u32_e32 v7, vcc, v23, v7, vcc
	v_cmp_gt_u32_e32 vcc, s19, v14
	v_or_b32_e32 v15, 0x1800, v20
	v_cndmask_b32_e32 v7, v7, v22, vcc
	v_cndmask_b32_e32 v6, v6, v21, vcc
	s_mov_b64 s[4:5], -1
	s_waitcnt vmcnt(1)
	ds_write2st64_b64 v20, v[8:9], v[16:17] offset1:4
	s_waitcnt vmcnt(0)
	ds_write_b64 v20, v[18:19] offset:4096
	s_cbranch_execz .LBB77_24
	s_branch .LBB77_43
.LBB77_23:
	s_mov_b64 s[4:5], 0
                                        ; implicit-def: $vgpr15
                                        ; implicit-def: $vgpr6_vgpr7
.LBB77_24:
	s_mov_b64 s[6:7], 0
                                        ; implicit-def: $vgpr6_vgpr7
	s_and_saveexec_b64 s[8:9], s[2:3]
	s_xor_b64 s[2:3], exec, s[8:9]
	s_cbranch_execnz .LBB77_72
; %bb.25:
	s_andn2_saveexec_b64 s[2:3], s[2:3]
	s_cbranch_execnz .LBB77_75
.LBB77_26:
	s_or_b64 exec, exec, s[2:3]
	v_add_u32_e32 v14, v1, v1
	s_and_saveexec_b64 s[2:3], s[6:7]
	s_cbranch_execz .LBB77_28
.LBB77_27:
	global_load_dwordx2 v[6:7], v[6:7], off
	s_waitcnt vmcnt(0)
	ds_write_b64 v14, v[6:7]
.LBB77_28:
	s_or_b64 exec, exec, s[2:3]
	v_or_b32_e32 v6, 0x100, v0
	v_cmp_le_u32_e32 vcc, s19, v6
	s_mov_b64 s[6:7], -1
	v_pk_mov_b32 v[8:9], s[22:23], s[22:23] op_sel:[0,1]
	s_and_saveexec_b64 s[2:3], vcc
; %bb.29:
	v_subrev_u32_e32 v6, s19, v6
	v_cmp_gt_u32_e32 vcc, s27, v6
	v_pk_mov_b32 v[8:9], s[24:25], s[24:25] op_sel:[0,1]
	s_orn2_b64 s[6:7], vcc, exec
; %bb.30:
	s_or_b64 exec, exec, s[2:3]
	s_and_saveexec_b64 s[2:3], s[6:7]
	s_cbranch_execz .LBB77_32
; %bb.31:
	v_lshlrev_b64 v[8:9], 3, v[8:9]
	v_mov_b32_e32 v7, s13
	v_add_co_u32_e32 v8, vcc, s12, v8
	v_addc_co_u32_e32 v9, vcc, v7, v9, vcc
	v_mov_b32_e32 v7, 0
	v_lshlrev_b64 v[6:7], 3, v[6:7]
	v_add_co_u32_e32 v6, vcc, v8, v6
	v_addc_co_u32_e32 v7, vcc, v9, v7, vcc
	global_load_dwordx2 v[6:7], v[6:7], off
	s_waitcnt vmcnt(0)
	ds_write_b64 v14, v[6:7] offset:2048
.LBB77_32:
	s_or_b64 exec, exec, s[2:3]
	v_or_b32_e32 v6, 0x200, v0
	v_cmp_le_u32_e32 vcc, s19, v6
	s_mov_b64 s[6:7], -1
	v_pk_mov_b32 v[8:9], s[22:23], s[22:23] op_sel:[0,1]
	s_and_saveexec_b64 s[2:3], vcc
; %bb.33:
	v_subrev_u32_e32 v6, s19, v6
	v_cmp_gt_u32_e32 vcc, s27, v6
	v_pk_mov_b32 v[8:9], s[24:25], s[24:25] op_sel:[0,1]
	s_orn2_b64 s[6:7], vcc, exec
; %bb.34:
	s_or_b64 exec, exec, s[2:3]
	s_and_saveexec_b64 s[2:3], s[6:7]
	s_cbranch_execz .LBB77_36
; %bb.35:
	v_lshlrev_b64 v[8:9], 3, v[8:9]
	v_mov_b32_e32 v7, s13
	v_add_co_u32_e32 v8, vcc, s12, v8
	v_addc_co_u32_e32 v9, vcc, v7, v9, vcc
	v_mov_b32_e32 v7, 0
	v_lshlrev_b64 v[6:7], 3, v[6:7]
	v_add_co_u32_e32 v6, vcc, v8, v6
	v_addc_co_u32_e32 v7, vcc, v9, v7, vcc
	global_load_dwordx2 v[6:7], v[6:7], off
	s_waitcnt vmcnt(0)
	ds_write_b64 v14, v[6:7] offset:4096
.LBB77_36:
	s_or_b64 exec, exec, s[2:3]
	v_or_b32_e32 v8, 0x300, v0
	v_cmp_le_u32_e32 vcc, s19, v8
                                        ; implicit-def: $vgpr15
                                        ; implicit-def: $vgpr6_vgpr7
	s_and_saveexec_b64 s[2:3], vcc
	s_xor_b64 s[2:3], exec, s[2:3]
	s_cbranch_execz .LBB77_40
; %bb.37:
	v_subrev_u32_e32 v8, s19, v8
	v_cmp_gt_u32_e32 vcc, s27, v8
	s_mov_b64 s[8:9], s[4:5]
                                        ; implicit-def: $vgpr15
                                        ; implicit-def: $vgpr6_vgpr7
	s_and_saveexec_b64 s[6:7], vcc
; %bb.38:
	v_mov_b32_e32 v9, 0
	v_lshlrev_b64 v[6:7], 3, v[8:9]
	v_mov_b32_e32 v8, s30
	v_add_co_u32_e32 v6, vcc, s29, v6
	v_or_b32_e32 v15, 0x1800, v14
	v_addc_co_u32_e32 v7, vcc, v8, v7, vcc
	s_or_b64 s[8:9], s[4:5], exec
; %bb.39:
	s_or_b64 exec, exec, s[6:7]
	s_andn2_b64 s[4:5], s[4:5], exec
	s_and_b64 s[6:7], s[8:9], exec
	s_or_b64 s[4:5], s[4:5], s[6:7]
                                        ; implicit-def: $vgpr8
                                        ; implicit-def: $vgpr14
.LBB77_40:
	s_andn2_saveexec_b64 s[2:3], s[2:3]
; %bb.41:
	v_lshlrev_b32_e32 v6, 3, v8
	v_mov_b32_e32 v7, s28
	v_add_co_u32_e32 v6, vcc, s26, v6
	v_addc_co_u32_e32 v7, vcc, 0, v7, vcc
	v_or_b32_e32 v15, 0x1800, v14
	s_or_b64 s[4:5], s[4:5], exec
; %bb.42:
	s_or_b64 exec, exec, s[2:3]
.LBB77_43:
	s_and_saveexec_b64 s[2:3], s[4:5]
	s_cbranch_execz .LBB77_45
; %bb.44:
	global_load_dwordx2 v[6:7], v[6:7], off
	s_waitcnt vmcnt(0)
	ds_write_b64 v15, v[6:7]
.LBB77_45:
	s_or_b64 exec, exec, s[2:3]
	s_and_b64 vcc, exec, s[0:1]
	v_add_u32_e32 v6, s18, v1
	s_waitcnt lgkmcnt(0)
	s_barrier
	s_cbranch_vccnz .LBB77_47
; %bb.46:
	v_lshlrev_b32_e32 v14, 3, v13
	v_lshlrev_b32_e32 v16, 3, v12
	;; [unrolled: 1-line block ×3, first 2 shown]
	ds_read_b64 v[14:15], v14
	ds_read_b64 v[16:17], v16
	;; [unrolled: 1-line block ×3, first 2 shown]
	v_mov_b32_e32 v7, 0
	v_lshlrev_b64 v[8:9], 3, v[6:7]
	v_mov_b32_e32 v20, s15
	v_add_co_u32_e32 v8, vcc, s14, v8
	v_addc_co_u32_e32 v9, vcc, v20, v9, vcc
	s_mov_b64 s[0:1], -1
	s_waitcnt lgkmcnt(1)
	global_store_dwordx4 v[8:9], v[14:17], off
	s_waitcnt lgkmcnt(0)
	global_store_dwordx2 v[8:9], v[18:19], off offset:16
	s_cbranch_execz .LBB77_48
	s_branch .LBB77_57
.LBB77_47:
	s_mov_b64 s[0:1], 0
.LBB77_48:
	v_cmp_gt_u32_e32 vcc, s17, v1
	s_and_saveexec_b64 s[2:3], vcc
	s_cbranch_execz .LBB77_50
; %bb.49:
	v_lshlrev_b32_e32 v13, 3, v13
	ds_read_b64 v[14:15], v13
	v_mov_b32_e32 v7, 0
	v_lshlrev_b64 v[8:9], 3, v[6:7]
	v_mov_b32_e32 v7, s15
	v_add_co_u32_e32 v8, vcc, s14, v8
	v_addc_co_u32_e32 v9, vcc, v7, v9, vcc
	s_waitcnt lgkmcnt(0)
	global_store_dwordx2 v[8:9], v[14:15], off
.LBB77_50:
	s_or_b64 exec, exec, s[2:3]
	v_or_b32_e32 v7, 1, v1
	v_cmp_gt_u32_e32 vcc, s17, v7
	s_and_saveexec_b64 s[2:3], vcc
	s_cbranch_execz .LBB77_52
; %bb.51:
	v_lshlrev_b32_e32 v12, 3, v12
	ds_read_b64 v[12:13], v12
	v_mov_b32_e32 v7, 0
	v_lshlrev_b64 v[8:9], 3, v[6:7]
	v_mov_b32_e32 v7, s15
	v_add_co_u32_e32 v8, vcc, s14, v8
	v_addc_co_u32_e32 v9, vcc, v7, v9, vcc
	s_waitcnt lgkmcnt(0)
	global_store_dwordx2 v[8:9], v[12:13], off offset:8
.LBB77_52:
	s_or_b64 exec, exec, s[2:3]
	v_or_b32_e32 v7, 2, v1
	v_cmp_gt_u32_e32 vcc, s17, v7
	s_and_saveexec_b64 s[2:3], vcc
	s_cbranch_execz .LBB77_54
; %bb.53:
	v_lshlrev_b32_e32 v11, 3, v11
	ds_read_b64 v[12:13], v11
	v_mov_b32_e32 v7, 0
	v_lshlrev_b64 v[8:9], 3, v[6:7]
	v_mov_b32_e32 v7, s15
	v_add_co_u32_e32 v8, vcc, s14, v8
	v_addc_co_u32_e32 v9, vcc, v7, v9, vcc
	s_waitcnt lgkmcnt(0)
	global_store_dwordx2 v[8:9], v[12:13], off offset:16
.LBB77_54:
	s_or_b64 exec, exec, s[2:3]
	v_or_b32_e32 v7, 3, v1
	v_cmp_gt_u32_e32 vcc, s17, v7
	s_and_saveexec_b64 s[2:3], vcc
; %bb.55:
	v_mov_b32_e32 v7, 0
	s_or_b64 s[0:1], s[0:1], exec
; %bb.56:
	s_or_b64 exec, exec, s[2:3]
.LBB77_57:
	s_and_saveexec_b64 s[2:3], s[0:1]
	s_cbranch_execz .LBB77_59
; %bb.58:
	v_lshlrev_b32_e32 v8, 3, v10
	ds_read_b64 v[8:9], v8
	v_lshlrev_b64 v[6:7], 3, v[6:7]
	v_mov_b32_e32 v11, s15
	v_add_co_u32_e32 v6, vcc, s14, v6
	v_addc_co_u32_e32 v7, vcc, v11, v7, vcc
	s_waitcnt lgkmcnt(0)
	global_store_dwordx2 v[6:7], v[8:9], off offset:24
.LBB77_59:
	s_or_b64 exec, exec, s[2:3]
	v_lshrrev_b32_e32 v6, 3, v0
	v_lshlrev_b32_e32 v7, 2, v1
	v_lshl_add_u32 v7, v6, 2, v7
	s_barrier
	s_barrier
	ds_write2_b32 v7, v2, v3 offset1:1
	ds_write2_b32 v7, v4, v5 offset0:2 offset1:3
	v_and_b32_e32 v2, 28, v6
	v_or_b32_e32 v6, 0x100, v0
	v_add_u32_e32 v7, v1, v2
	v_lshrrev_b32_e32 v2, 3, v6
	v_and_b32_e32 v2, 60, v2
	v_or_b32_e32 v5, 0x200, v0
	s_mov_b32 s19, 0
	v_add_u32_e32 v8, v1, v2
	v_lshrrev_b32_e32 v2, 3, v5
	s_lshl_b64 s[0:1], s[18:19], 2
	v_and_b32_e32 v2, 0x5c, v2
	v_or_b32_e32 v4, 0x300, v0
	s_add_u32 s0, s10, s0
	v_add_u32_e32 v9, v1, v2
	v_lshrrev_b32_e32 v2, 3, v4
	s_addc_u32 s1, s11, s1
	v_and_b32_e32 v2, 0x7c, v2
	v_add_u32_e32 v10, v1, v2
	v_mov_b32_e32 v3, s1
	v_add_co_u32_e32 v2, vcc, s0, v1
	v_addc_co_u32_e32 v3, vcc, 0, v3, vcc
	s_and_b64 vcc, exec, s[20:21]
	s_waitcnt lgkmcnt(0)
	s_cbranch_vccz .LBB77_61
; %bb.60:
	s_barrier
	ds_read_b32 v11, v7
	ds_read_b32 v12, v8 offset:1024
	ds_read_b32 v13, v9 offset:2048
	;; [unrolled: 1-line block ×3, first 2 shown]
	s_waitcnt lgkmcnt(3)
	global_store_dword v[2:3], v11, off
	s_waitcnt lgkmcnt(2)
	global_store_dword v[2:3], v12, off offset:1024
	s_waitcnt lgkmcnt(1)
	global_store_dword v[2:3], v13, off offset:2048
	s_mov_b64 s[0:1], -1
	s_cbranch_execz .LBB77_62
	s_branch .LBB77_67
.LBB77_61:
	s_mov_b64 s[0:1], 0
                                        ; implicit-def: $vgpr1
.LBB77_62:
	s_barrier
	s_waitcnt lgkmcnt(0)
	ds_read_b32 v11, v8 offset:1024
	ds_read_b32 v8, v9 offset:2048
	;; [unrolled: 1-line block ×3, first 2 shown]
	s_sub_i32 s2, s16, s18
	v_cmp_gt_u32_e32 vcc, s2, v0
	s_and_saveexec_b64 s[0:1], vcc
	s_cbranch_execnz .LBB77_76
; %bb.63:
	s_or_b64 exec, exec, s[0:1]
	v_cmp_gt_u32_e32 vcc, s2, v6
	s_and_saveexec_b64 s[0:1], vcc
	s_cbranch_execnz .LBB77_77
.LBB77_64:
	s_or_b64 exec, exec, s[0:1]
	v_cmp_gt_u32_e32 vcc, s2, v5
	s_and_saveexec_b64 s[0:1], vcc
	s_cbranch_execz .LBB77_66
.LBB77_65:
	s_waitcnt lgkmcnt(1)
	global_store_dword v[2:3], v8, off offset:2048
.LBB77_66:
	s_or_b64 exec, exec, s[0:1]
	v_cmp_gt_u32_e64 s[0:1], s2, v4
.LBB77_67:
	s_and_saveexec_b64 s[2:3], s[0:1]
	s_cbranch_execz .LBB77_69
; %bb.68:
	s_waitcnt lgkmcnt(0)
	global_store_dword v[2:3], v1, off offset:3072
.LBB77_69:
	s_endpgm
.LBB77_70:
	s_waitcnt vmcnt(3)
	v_mov_b32_e32 v2, s28
	s_waitcnt vmcnt(1)
	v_add_co_u32_e32 v4, vcc, s7, v1
	v_mov_b32_e32 v3, 0
	s_waitcnt vmcnt(0)
	v_addc_co_u32_e32 v5, vcc, 0, v2, vcc
	v_subrev_u32_e32 v2, s19, v0
	v_lshlrev_b64 v[2:3], 2, v[2:3]
	v_mov_b32_e32 v7, s5
	v_add_co_u32_e32 v2, vcc, s4, v2
	v_addc_co_u32_e32 v3, vcc, v7, v3, vcc
	v_cmp_gt_u32_e32 vcc, s19, v0
	v_cndmask_b32_e32 v3, v3, v5, vcc
	v_cndmask_b32_e32 v2, v2, v4, vcc
	global_load_dword v2, v[2:3], off
	s_or_b64 exec, exec, s[0:1]
	v_cmp_gt_u32_e32 vcc, s17, v8
	s_and_saveexec_b64 s[2:3], vcc
	s_cbranch_execz .LBB77_6
.LBB77_71:
	v_mov_b32_e32 v9, 0
	v_lshlrev_b64 v[10:11], 2, v[8:9]
	s_waitcnt vmcnt(2)
	v_mov_b32_e32 v3, s28
	v_add_co_u32_e32 v7, vcc, s7, v10
	v_addc_co_u32_e32 v3, vcc, v3, v11, vcc
	v_cmp_gt_u32_e32 vcc, s19, v8
	v_subrev_u32_e32 v8, s19, v8
	v_lshlrev_b64 v[8:9], 2, v[8:9]
	v_mov_b32_e32 v10, s5
	v_add_co_u32_e64 v8, s[0:1], s4, v8
	v_addc_co_u32_e64 v9, s[0:1], v10, v9, s[0:1]
	v_cndmask_b32_e32 v9, v9, v3, vcc
	v_cndmask_b32_e32 v8, v8, v7, vcc
	global_load_dword v3, v[8:9], off
	s_or_b64 exec, exec, s[2:3]
	v_cmp_gt_u32_e32 vcc, s17, v6
	s_and_saveexec_b64 s[0:1], vcc
	s_cbranch_execnz .LBB77_7
	s_branch .LBB77_8
.LBB77_72:
	v_subrev_u32_e32 v8, s19, v0
	v_cmp_gt_u32_e32 vcc, s27, v8
                                        ; implicit-def: $vgpr6_vgpr7
	s_and_saveexec_b64 s[8:9], vcc
	s_xor_b64 s[8:9], exec, s[8:9]
; %bb.73:
	v_mov_b32_e32 v9, 0
	v_lshlrev_b64 v[6:7], 3, v[8:9]
	v_mov_b32_e32 v8, s30
	v_add_co_u32_e32 v6, vcc, s29, v6
	s_mov_b64 s[6:7], exec
	v_addc_co_u32_e32 v7, vcc, v8, v7, vcc
; %bb.74:
	s_or_b64 exec, exec, s[8:9]
	s_and_b64 s[6:7], s[6:7], exec
	s_andn2_saveexec_b64 s[2:3], s[2:3]
	s_cbranch_execz .LBB77_26
.LBB77_75:
	v_lshlrev_b32_e32 v6, 3, v0
	v_mov_b32_e32 v7, s28
	v_add_co_u32_e32 v6, vcc, s26, v6
	v_addc_co_u32_e32 v7, vcc, 0, v7, vcc
	s_or_b64 s[6:7], s[6:7], exec
	s_or_b64 exec, exec, s[2:3]
	v_add_u32_e32 v14, v1, v1
	s_and_saveexec_b64 s[2:3], s[6:7]
	s_cbranch_execnz .LBB77_27
	s_branch .LBB77_28
.LBB77_76:
	ds_read_b32 v0, v7
	s_waitcnt lgkmcnt(0)
	global_store_dword v[2:3], v0, off
	s_or_b64 exec, exec, s[0:1]
	v_cmp_gt_u32_e32 vcc, s2, v6
	s_and_saveexec_b64 s[0:1], vcc
	s_cbranch_execz .LBB77_64
.LBB77_77:
	s_waitcnt lgkmcnt(2)
	global_store_dword v[2:3], v11, off offset:1024
	s_or_b64 exec, exec, s[0:1]
	v_cmp_gt_u32_e32 vcc, s2, v5
	s_and_saveexec_b64 s[0:1], vcc
	s_cbranch_execnz .LBB77_65
	s_branch .LBB77_66
	.section	.rodata,"a",@progbits
	.p2align	6, 0x0
	.amdhsa_kernel _ZN7rocprim17ROCPRIM_304000_NS6detail35device_block_merge_mergepath_kernelINS1_37wrapped_merge_sort_block_merge_configINS0_14default_configEiN2at4cuda3cub6detail10OpaqueTypeILi8EEEEEPiSC_PSA_SD_jNS1_19radix_merge_compareILb1ELb0EiNS0_19identity_decomposerEEEEEvT0_T1_T2_T3_T4_SL_jT5_PKSL_NS1_7vsmem_tE
		.amdhsa_group_segment_fixed_size 8208
		.amdhsa_private_segment_fixed_size 0
		.amdhsa_kernarg_size 320
		.amdhsa_user_sgpr_count 6
		.amdhsa_user_sgpr_private_segment_buffer 1
		.amdhsa_user_sgpr_dispatch_ptr 0
		.amdhsa_user_sgpr_queue_ptr 0
		.amdhsa_user_sgpr_kernarg_segment_ptr 1
		.amdhsa_user_sgpr_dispatch_id 0
		.amdhsa_user_sgpr_flat_scratch_init 0
		.amdhsa_user_sgpr_kernarg_preload_length 0
		.amdhsa_user_sgpr_kernarg_preload_offset 0
		.amdhsa_user_sgpr_private_segment_size 0
		.amdhsa_uses_dynamic_stack 0
		.amdhsa_system_sgpr_private_segment_wavefront_offset 0
		.amdhsa_system_sgpr_workgroup_id_x 1
		.amdhsa_system_sgpr_workgroup_id_y 1
		.amdhsa_system_sgpr_workgroup_id_z 1
		.amdhsa_system_sgpr_workgroup_info 0
		.amdhsa_system_vgpr_workitem_id 0
		.amdhsa_next_free_vgpr 24
		.amdhsa_next_free_sgpr 31
		.amdhsa_accum_offset 24
		.amdhsa_reserve_vcc 1
		.amdhsa_reserve_flat_scratch 0
		.amdhsa_float_round_mode_32 0
		.amdhsa_float_round_mode_16_64 0
		.amdhsa_float_denorm_mode_32 3
		.amdhsa_float_denorm_mode_16_64 3
		.amdhsa_dx10_clamp 1
		.amdhsa_ieee_mode 1
		.amdhsa_fp16_overflow 0
		.amdhsa_tg_split 0
		.amdhsa_exception_fp_ieee_invalid_op 0
		.amdhsa_exception_fp_denorm_src 0
		.amdhsa_exception_fp_ieee_div_zero 0
		.amdhsa_exception_fp_ieee_overflow 0
		.amdhsa_exception_fp_ieee_underflow 0
		.amdhsa_exception_fp_ieee_inexact 0
		.amdhsa_exception_int_div_zero 0
	.end_amdhsa_kernel
	.section	.text._ZN7rocprim17ROCPRIM_304000_NS6detail35device_block_merge_mergepath_kernelINS1_37wrapped_merge_sort_block_merge_configINS0_14default_configEiN2at4cuda3cub6detail10OpaqueTypeILi8EEEEEPiSC_PSA_SD_jNS1_19radix_merge_compareILb1ELb0EiNS0_19identity_decomposerEEEEEvT0_T1_T2_T3_T4_SL_jT5_PKSL_NS1_7vsmem_tE,"axG",@progbits,_ZN7rocprim17ROCPRIM_304000_NS6detail35device_block_merge_mergepath_kernelINS1_37wrapped_merge_sort_block_merge_configINS0_14default_configEiN2at4cuda3cub6detail10OpaqueTypeILi8EEEEEPiSC_PSA_SD_jNS1_19radix_merge_compareILb1ELb0EiNS0_19identity_decomposerEEEEEvT0_T1_T2_T3_T4_SL_jT5_PKSL_NS1_7vsmem_tE,comdat
.Lfunc_end77:
	.size	_ZN7rocprim17ROCPRIM_304000_NS6detail35device_block_merge_mergepath_kernelINS1_37wrapped_merge_sort_block_merge_configINS0_14default_configEiN2at4cuda3cub6detail10OpaqueTypeILi8EEEEEPiSC_PSA_SD_jNS1_19radix_merge_compareILb1ELb0EiNS0_19identity_decomposerEEEEEvT0_T1_T2_T3_T4_SL_jT5_PKSL_NS1_7vsmem_tE, .Lfunc_end77-_ZN7rocprim17ROCPRIM_304000_NS6detail35device_block_merge_mergepath_kernelINS1_37wrapped_merge_sort_block_merge_configINS0_14default_configEiN2at4cuda3cub6detail10OpaqueTypeILi8EEEEEPiSC_PSA_SD_jNS1_19radix_merge_compareILb1ELb0EiNS0_19identity_decomposerEEEEEvT0_T1_T2_T3_T4_SL_jT5_PKSL_NS1_7vsmem_tE
                                        ; -- End function
	.section	.AMDGPU.csdata,"",@progbits
; Kernel info:
; codeLenInByte = 3440
; NumSgprs: 35
; NumVgprs: 24
; NumAgprs: 0
; TotalNumVgprs: 24
; ScratchSize: 0
; MemoryBound: 1
; FloatMode: 240
; IeeeMode: 1
; LDSByteSize: 8208 bytes/workgroup (compile time only)
; SGPRBlocks: 4
; VGPRBlocks: 2
; NumSGPRsForWavesPerEU: 35
; NumVGPRsForWavesPerEU: 24
; AccumOffset: 24
; Occupancy: 7
; WaveLimiterHint : 1
; COMPUTE_PGM_RSRC2:SCRATCH_EN: 0
; COMPUTE_PGM_RSRC2:USER_SGPR: 6
; COMPUTE_PGM_RSRC2:TRAP_HANDLER: 0
; COMPUTE_PGM_RSRC2:TGID_X_EN: 1
; COMPUTE_PGM_RSRC2:TGID_Y_EN: 1
; COMPUTE_PGM_RSRC2:TGID_Z_EN: 1
; COMPUTE_PGM_RSRC2:TIDIG_COMP_CNT: 0
; COMPUTE_PGM_RSRC3_GFX90A:ACCUM_OFFSET: 5
; COMPUTE_PGM_RSRC3_GFX90A:TG_SPLIT: 0
	.section	.text._ZN7rocprim17ROCPRIM_304000_NS6detail33device_block_merge_oddeven_kernelINS1_37wrapped_merge_sort_block_merge_configINS0_14default_configEiN2at4cuda3cub6detail10OpaqueTypeILi8EEEEEPiSC_PSA_SD_jNS1_19radix_merge_compareILb1ELb0EiNS0_19identity_decomposerEEEEEvT0_T1_T2_T3_T4_SL_T5_,"axG",@progbits,_ZN7rocprim17ROCPRIM_304000_NS6detail33device_block_merge_oddeven_kernelINS1_37wrapped_merge_sort_block_merge_configINS0_14default_configEiN2at4cuda3cub6detail10OpaqueTypeILi8EEEEEPiSC_PSA_SD_jNS1_19radix_merge_compareILb1ELb0EiNS0_19identity_decomposerEEEEEvT0_T1_T2_T3_T4_SL_T5_,comdat
	.protected	_ZN7rocprim17ROCPRIM_304000_NS6detail33device_block_merge_oddeven_kernelINS1_37wrapped_merge_sort_block_merge_configINS0_14default_configEiN2at4cuda3cub6detail10OpaqueTypeILi8EEEEEPiSC_PSA_SD_jNS1_19radix_merge_compareILb1ELb0EiNS0_19identity_decomposerEEEEEvT0_T1_T2_T3_T4_SL_T5_ ; -- Begin function _ZN7rocprim17ROCPRIM_304000_NS6detail33device_block_merge_oddeven_kernelINS1_37wrapped_merge_sort_block_merge_configINS0_14default_configEiN2at4cuda3cub6detail10OpaqueTypeILi8EEEEEPiSC_PSA_SD_jNS1_19radix_merge_compareILb1ELb0EiNS0_19identity_decomposerEEEEEvT0_T1_T2_T3_T4_SL_T5_
	.globl	_ZN7rocprim17ROCPRIM_304000_NS6detail33device_block_merge_oddeven_kernelINS1_37wrapped_merge_sort_block_merge_configINS0_14default_configEiN2at4cuda3cub6detail10OpaqueTypeILi8EEEEEPiSC_PSA_SD_jNS1_19radix_merge_compareILb1ELb0EiNS0_19identity_decomposerEEEEEvT0_T1_T2_T3_T4_SL_T5_
	.p2align	8
	.type	_ZN7rocprim17ROCPRIM_304000_NS6detail33device_block_merge_oddeven_kernelINS1_37wrapped_merge_sort_block_merge_configINS0_14default_configEiN2at4cuda3cub6detail10OpaqueTypeILi8EEEEEPiSC_PSA_SD_jNS1_19radix_merge_compareILb1ELb0EiNS0_19identity_decomposerEEEEEvT0_T1_T2_T3_T4_SL_T5_,@function
_ZN7rocprim17ROCPRIM_304000_NS6detail33device_block_merge_oddeven_kernelINS1_37wrapped_merge_sort_block_merge_configINS0_14default_configEiN2at4cuda3cub6detail10OpaqueTypeILi8EEEEEPiSC_PSA_SD_jNS1_19radix_merge_compareILb1ELb0EiNS0_19identity_decomposerEEEEEvT0_T1_T2_T3_T4_SL_T5_: ; @_ZN7rocprim17ROCPRIM_304000_NS6detail33device_block_merge_oddeven_kernelINS1_37wrapped_merge_sort_block_merge_configINS0_14default_configEiN2at4cuda3cub6detail10OpaqueTypeILi8EEEEEPiSC_PSA_SD_jNS1_19radix_merge_compareILb1ELb0EiNS0_19identity_decomposerEEEEEvT0_T1_T2_T3_T4_SL_T5_
; %bb.0:
	s_load_dwordx2 s[16:17], s[4:5], 0x20
	s_waitcnt lgkmcnt(0)
	s_lshr_b32 s2, s16, 8
	s_cmp_lg_u32 s6, s2
	s_cselect_b64 s[0:1], -1, 0
	s_cmp_eq_u32 s6, s2
	s_cselect_b64 s[18:19], -1, 0
	s_lshl_b32 s20, s6, 8
	s_sub_i32 s2, s16, s20
	v_cmp_gt_u32_e64 s[2:3], s2, v0
	s_or_b64 s[0:1], s[0:1], s[2:3]
	s_and_saveexec_b64 s[8:9], s[0:1]
	s_cbranch_execz .LBB78_26
; %bb.1:
	s_load_dwordx8 s[8:15], s[4:5], 0x0
	s_mov_b32 s21, 0
	s_lshl_b64 s[0:1], s[20:21], 2
	v_lshlrev_b32_e32 v4, 3, v0
	v_lshlrev_b32_e32 v1, 2, v0
	s_waitcnt lgkmcnt(0)
	s_add_u32 s0, s8, s0
	s_addc_u32 s1, s9, s1
	s_lshl_b64 s[4:5], s[20:21], 3
	s_add_u32 s4, s12, s4
	s_addc_u32 s5, s13, s5
	global_load_dwordx2 v[2:3], v4, s[4:5]
	global_load_dword v6, v1, s[0:1]
	s_lshr_b32 s0, s17, 8
	s_sub_i32 s1, 0, s0
	s_and_b32 s1, s6, s1
	s_and_b32 s0, s1, s0
	s_lshl_b32 s22, s1, 8
	s_sub_i32 s6, 0, s17
	s_cmp_eq_u32 s0, 0
	s_cselect_b64 s[0:1], -1, 0
	s_and_b64 s[4:5], s[0:1], exec
	s_cselect_b32 s21, s17, s6
	s_add_i32 s21, s21, s22
	s_cmp_lt_u32 s21, s16
	v_add_u32_e32 v4, s20, v0
	s_cbranch_scc1 .LBB78_6
; %bb.2:
	s_and_b64 vcc, exec, s[18:19]
	s_cbranch_vccz .LBB78_7
; %bb.3:
	v_cmp_gt_u32_e32 vcc, s16, v4
	s_mov_b64 s[6:7], 0
	s_mov_b64 s[4:5], 0
                                        ; implicit-def: $vgpr0_vgpr1
	s_and_saveexec_b64 s[12:13], vcc
	s_cbranch_execz .LBB78_5
; %bb.4:
	v_mov_b32_e32 v5, 0
	v_lshlrev_b64 v[0:1], 3, v[4:5]
	v_mov_b32_e32 v7, s15
	v_add_co_u32_e32 v0, vcc, s14, v0
	v_addc_co_u32_e32 v1, vcc, v7, v1, vcc
	v_lshlrev_b64 v[8:9], 2, v[4:5]
	v_mov_b32_e32 v5, s11
	v_add_co_u32_e32 v8, vcc, s10, v8
	s_mov_b64 s[4:5], exec
	v_addc_co_u32_e32 v9, vcc, v5, v9, vcc
	s_waitcnt vmcnt(0)
	global_store_dword v[8:9], v6, off
.LBB78_5:
	s_or_b64 exec, exec, s[12:13]
	s_and_b64 vcc, exec, s[6:7]
	s_cbranch_vccnz .LBB78_8
	s_branch .LBB78_9
.LBB78_6:
	s_mov_b64 s[4:5], 0
                                        ; implicit-def: $vgpr0_vgpr1
	s_cbranch_execnz .LBB78_10
	s_branch .LBB78_24
.LBB78_7:
	s_mov_b64 s[4:5], 0
                                        ; implicit-def: $vgpr0_vgpr1
	s_cbranch_execz .LBB78_9
.LBB78_8:
	v_mov_b32_e32 v5, 0
	v_lshlrev_b64 v[0:1], 2, v[4:5]
	v_mov_b32_e32 v7, s11
	v_add_co_u32_e32 v0, vcc, s10, v0
	v_addc_co_u32_e32 v1, vcc, v7, v1, vcc
	s_waitcnt vmcnt(0)
	global_store_dword v[0:1], v6, off
	v_lshlrev_b64 v[0:1], 3, v[4:5]
	v_mov_b32_e32 v5, s15
	v_add_co_u32_e32 v0, vcc, s14, v0
	v_addc_co_u32_e32 v1, vcc, v5, v1, vcc
	s_or_b64 s[4:5], s[4:5], exec
.LBB78_9:
	s_branch .LBB78_24
.LBB78_10:
	s_min_u32 s12, s21, s16
	s_add_i32 s6, s12, s17
	s_min_u32 s13, s6, s16
	s_min_u32 s6, s22, s12
	s_add_i32 s22, s22, s12
	v_subrev_u32_e32 v0, s22, v4
	v_add_u32_e32 v4, s6, v0
	s_and_b64 vcc, exec, s[18:19]
	s_cbranch_vccz .LBB78_18
; %bb.11:
                                        ; implicit-def: $vgpr0_vgpr1
	s_and_saveexec_b64 s[6:7], s[2:3]
	s_cbranch_execz .LBB78_17
; %bb.12:
	s_cmp_ge_u32 s21, s13
	v_mov_b32_e32 v5, s12
	s_cbranch_scc1 .LBB78_16
; %bb.13:
	s_mov_b64 s[2:3], 0
	v_mov_b32_e32 v7, s13
	v_mov_b32_e32 v5, s12
	;; [unrolled: 1-line block ×4, first 2 shown]
.LBB78_14:                              ; =>This Inner Loop Header: Depth=1
	v_add_u32_e32 v0, v5, v7
	v_lshrrev_b32_e32 v0, 1, v0
	v_lshlrev_b64 v[10:11], 2, v[0:1]
	v_add_co_u32_e32 v10, vcc, s8, v10
	v_addc_co_u32_e32 v11, vcc, v8, v11, vcc
	global_load_dword v9, v[10:11], off
	v_add_u32_e32 v10, 1, v0
	s_waitcnt vmcnt(0)
	v_cmp_gt_i32_e32 vcc, v9, v6
	v_cndmask_b32_e64 v11, 0, 1, vcc
	v_cmp_le_i32_e32 vcc, v6, v9
	v_cndmask_b32_e64 v9, 0, 1, vcc
	v_cndmask_b32_e64 v9, v9, v11, s[0:1]
	v_and_b32_e32 v9, 1, v9
	v_cmp_eq_u32_e32 vcc, 1, v9
	v_cndmask_b32_e32 v7, v0, v7, vcc
	v_cndmask_b32_e32 v5, v5, v10, vcc
	v_cmp_ge_u32_e32 vcc, v5, v7
	s_or_b64 s[2:3], vcc, s[2:3]
	s_andn2_b64 exec, exec, s[2:3]
	s_cbranch_execnz .LBB78_14
; %bb.15:
	s_or_b64 exec, exec, s[2:3]
.LBB78_16:
	v_add_u32_e32 v0, v5, v4
	v_mov_b32_e32 v1, 0
	v_lshlrev_b64 v[8:9], 2, v[0:1]
	v_mov_b32_e32 v5, s11
	v_add_co_u32_e32 v8, vcc, s10, v8
	v_addc_co_u32_e32 v9, vcc, v5, v9, vcc
	v_lshlrev_b64 v[0:1], 3, v[0:1]
	v_mov_b32_e32 v5, s15
	v_add_co_u32_e32 v0, vcc, s14, v0
	s_waitcnt vmcnt(0)
	global_store_dword v[8:9], v6, off
	v_addc_co_u32_e32 v1, vcc, v5, v1, vcc
	s_or_b64 s[4:5], s[4:5], exec
.LBB78_17:
	s_or_b64 exec, exec, s[6:7]
	s_branch .LBB78_24
.LBB78_18:
                                        ; implicit-def: $vgpr0_vgpr1
	s_cbranch_execz .LBB78_24
; %bb.19:
	s_cmp_ge_u32 s21, s13
	v_mov_b32_e32 v5, s12
	s_cbranch_scc1 .LBB78_23
; %bb.20:
	s_mov_b64 s[2:3], 0
	v_mov_b32_e32 v7, s13
	v_mov_b32_e32 v5, s12
	;; [unrolled: 1-line block ×4, first 2 shown]
.LBB78_21:                              ; =>This Inner Loop Header: Depth=1
	v_add_u32_e32 v0, v5, v7
	v_lshrrev_b32_e32 v0, 1, v0
	v_lshlrev_b64 v[10:11], 2, v[0:1]
	v_add_co_u32_e32 v10, vcc, s8, v10
	v_addc_co_u32_e32 v11, vcc, v8, v11, vcc
	global_load_dword v9, v[10:11], off
	v_add_u32_e32 v10, 1, v0
	s_waitcnt vmcnt(0)
	v_cmp_gt_i32_e32 vcc, v9, v6
	v_cndmask_b32_e64 v11, 0, 1, vcc
	v_cmp_le_i32_e32 vcc, v6, v9
	v_cndmask_b32_e64 v9, 0, 1, vcc
	v_cndmask_b32_e64 v9, v9, v11, s[0:1]
	v_and_b32_e32 v9, 1, v9
	v_cmp_eq_u32_e32 vcc, 1, v9
	v_cndmask_b32_e32 v7, v0, v7, vcc
	v_cndmask_b32_e32 v5, v5, v10, vcc
	v_cmp_ge_u32_e32 vcc, v5, v7
	s_or_b64 s[2:3], vcc, s[2:3]
	s_andn2_b64 exec, exec, s[2:3]
	s_cbranch_execnz .LBB78_21
; %bb.22:
	s_or_b64 exec, exec, s[2:3]
.LBB78_23:
	v_add_u32_e32 v0, v5, v4
	v_mov_b32_e32 v1, 0
	v_lshlrev_b64 v[4:5], 2, v[0:1]
	v_mov_b32_e32 v7, s11
	v_add_co_u32_e32 v4, vcc, s10, v4
	v_addc_co_u32_e32 v5, vcc, v7, v5, vcc
	v_lshlrev_b64 v[0:1], 3, v[0:1]
	s_waitcnt vmcnt(0)
	global_store_dword v[4:5], v6, off
	v_mov_b32_e32 v4, s15
	v_add_co_u32_e32 v0, vcc, s14, v0
	v_addc_co_u32_e32 v1, vcc, v4, v1, vcc
	s_mov_b64 s[4:5], -1
.LBB78_24:
	s_and_b64 exec, exec, s[4:5]
	s_cbranch_execz .LBB78_26
; %bb.25:
	s_waitcnt vmcnt(1)
	global_store_dwordx2 v[0:1], v[2:3], off
.LBB78_26:
	s_endpgm
	.section	.rodata,"a",@progbits
	.p2align	6, 0x0
	.amdhsa_kernel _ZN7rocprim17ROCPRIM_304000_NS6detail33device_block_merge_oddeven_kernelINS1_37wrapped_merge_sort_block_merge_configINS0_14default_configEiN2at4cuda3cub6detail10OpaqueTypeILi8EEEEEPiSC_PSA_SD_jNS1_19radix_merge_compareILb1ELb0EiNS0_19identity_decomposerEEEEEvT0_T1_T2_T3_T4_SL_T5_
		.amdhsa_group_segment_fixed_size 0
		.amdhsa_private_segment_fixed_size 0
		.amdhsa_kernarg_size 44
		.amdhsa_user_sgpr_count 6
		.amdhsa_user_sgpr_private_segment_buffer 1
		.amdhsa_user_sgpr_dispatch_ptr 0
		.amdhsa_user_sgpr_queue_ptr 0
		.amdhsa_user_sgpr_kernarg_segment_ptr 1
		.amdhsa_user_sgpr_dispatch_id 0
		.amdhsa_user_sgpr_flat_scratch_init 0
		.amdhsa_user_sgpr_kernarg_preload_length 0
		.amdhsa_user_sgpr_kernarg_preload_offset 0
		.amdhsa_user_sgpr_private_segment_size 0
		.amdhsa_uses_dynamic_stack 0
		.amdhsa_system_sgpr_private_segment_wavefront_offset 0
		.amdhsa_system_sgpr_workgroup_id_x 1
		.amdhsa_system_sgpr_workgroup_id_y 0
		.amdhsa_system_sgpr_workgroup_id_z 0
		.amdhsa_system_sgpr_workgroup_info 0
		.amdhsa_system_vgpr_workitem_id 0
		.amdhsa_next_free_vgpr 12
		.amdhsa_next_free_sgpr 23
		.amdhsa_accum_offset 12
		.amdhsa_reserve_vcc 1
		.amdhsa_reserve_flat_scratch 0
		.amdhsa_float_round_mode_32 0
		.amdhsa_float_round_mode_16_64 0
		.amdhsa_float_denorm_mode_32 3
		.amdhsa_float_denorm_mode_16_64 3
		.amdhsa_dx10_clamp 1
		.amdhsa_ieee_mode 1
		.amdhsa_fp16_overflow 0
		.amdhsa_tg_split 0
		.amdhsa_exception_fp_ieee_invalid_op 0
		.amdhsa_exception_fp_denorm_src 0
		.amdhsa_exception_fp_ieee_div_zero 0
		.amdhsa_exception_fp_ieee_overflow 0
		.amdhsa_exception_fp_ieee_underflow 0
		.amdhsa_exception_fp_ieee_inexact 0
		.amdhsa_exception_int_div_zero 0
	.end_amdhsa_kernel
	.section	.text._ZN7rocprim17ROCPRIM_304000_NS6detail33device_block_merge_oddeven_kernelINS1_37wrapped_merge_sort_block_merge_configINS0_14default_configEiN2at4cuda3cub6detail10OpaqueTypeILi8EEEEEPiSC_PSA_SD_jNS1_19radix_merge_compareILb1ELb0EiNS0_19identity_decomposerEEEEEvT0_T1_T2_T3_T4_SL_T5_,"axG",@progbits,_ZN7rocprim17ROCPRIM_304000_NS6detail33device_block_merge_oddeven_kernelINS1_37wrapped_merge_sort_block_merge_configINS0_14default_configEiN2at4cuda3cub6detail10OpaqueTypeILi8EEEEEPiSC_PSA_SD_jNS1_19radix_merge_compareILb1ELb0EiNS0_19identity_decomposerEEEEEvT0_T1_T2_T3_T4_SL_T5_,comdat
.Lfunc_end78:
	.size	_ZN7rocprim17ROCPRIM_304000_NS6detail33device_block_merge_oddeven_kernelINS1_37wrapped_merge_sort_block_merge_configINS0_14default_configEiN2at4cuda3cub6detail10OpaqueTypeILi8EEEEEPiSC_PSA_SD_jNS1_19radix_merge_compareILb1ELb0EiNS0_19identity_decomposerEEEEEvT0_T1_T2_T3_T4_SL_T5_, .Lfunc_end78-_ZN7rocprim17ROCPRIM_304000_NS6detail33device_block_merge_oddeven_kernelINS1_37wrapped_merge_sort_block_merge_configINS0_14default_configEiN2at4cuda3cub6detail10OpaqueTypeILi8EEEEEPiSC_PSA_SD_jNS1_19radix_merge_compareILb1ELb0EiNS0_19identity_decomposerEEEEEvT0_T1_T2_T3_T4_SL_T5_
                                        ; -- End function
	.section	.AMDGPU.csdata,"",@progbits
; Kernel info:
; codeLenInByte = 856
; NumSgprs: 27
; NumVgprs: 12
; NumAgprs: 0
; TotalNumVgprs: 12
; ScratchSize: 0
; MemoryBound: 0
; FloatMode: 240
; IeeeMode: 1
; LDSByteSize: 0 bytes/workgroup (compile time only)
; SGPRBlocks: 3
; VGPRBlocks: 1
; NumSGPRsForWavesPerEU: 27
; NumVGPRsForWavesPerEU: 12
; AccumOffset: 12
; Occupancy: 8
; WaveLimiterHint : 0
; COMPUTE_PGM_RSRC2:SCRATCH_EN: 0
; COMPUTE_PGM_RSRC2:USER_SGPR: 6
; COMPUTE_PGM_RSRC2:TRAP_HANDLER: 0
; COMPUTE_PGM_RSRC2:TGID_X_EN: 1
; COMPUTE_PGM_RSRC2:TGID_Y_EN: 0
; COMPUTE_PGM_RSRC2:TGID_Z_EN: 0
; COMPUTE_PGM_RSRC2:TIDIG_COMP_CNT: 0
; COMPUTE_PGM_RSRC3_GFX90A:ACCUM_OFFSET: 2
; COMPUTE_PGM_RSRC3_GFX90A:TG_SPLIT: 0
	.section	.text._ZN7rocprim17ROCPRIM_304000_NS6detail16transform_kernelINS1_24wrapped_transform_configINS0_14default_configEiEEiPiS6_NS0_8identityIiEEEEvT1_mT2_T3_,"axG",@progbits,_ZN7rocprim17ROCPRIM_304000_NS6detail16transform_kernelINS1_24wrapped_transform_configINS0_14default_configEiEEiPiS6_NS0_8identityIiEEEEvT1_mT2_T3_,comdat
	.protected	_ZN7rocprim17ROCPRIM_304000_NS6detail16transform_kernelINS1_24wrapped_transform_configINS0_14default_configEiEEiPiS6_NS0_8identityIiEEEEvT1_mT2_T3_ ; -- Begin function _ZN7rocprim17ROCPRIM_304000_NS6detail16transform_kernelINS1_24wrapped_transform_configINS0_14default_configEiEEiPiS6_NS0_8identityIiEEEEvT1_mT2_T3_
	.globl	_ZN7rocprim17ROCPRIM_304000_NS6detail16transform_kernelINS1_24wrapped_transform_configINS0_14default_configEiEEiPiS6_NS0_8identityIiEEEEvT1_mT2_T3_
	.p2align	8
	.type	_ZN7rocprim17ROCPRIM_304000_NS6detail16transform_kernelINS1_24wrapped_transform_configINS0_14default_configEiEEiPiS6_NS0_8identityIiEEEEvT1_mT2_T3_,@function
_ZN7rocprim17ROCPRIM_304000_NS6detail16transform_kernelINS1_24wrapped_transform_configINS0_14default_configEiEEiPiS6_NS0_8identityIiEEEEvT1_mT2_T3_: ; @_ZN7rocprim17ROCPRIM_304000_NS6detail16transform_kernelINS1_24wrapped_transform_configINS0_14default_configEiEEiPiS6_NS0_8identityIiEEEEvT1_mT2_T3_
; %bb.0:
	s_load_dword s7, s[4:5], 0x20
	s_load_dwordx4 s[0:3], s[4:5], 0x0
	s_load_dwordx2 s[8:9], s[4:5], 0x10
	s_lshl_b32 s10, s6, 11
	s_mov_b32 s11, 0
	s_waitcnt lgkmcnt(0)
	s_add_i32 s7, s7, -1
	s_lshl_b64 s[4:5], s[10:11], 2
	s_add_u32 s0, s0, s4
	s_addc_u32 s1, s1, s5
	v_lshlrev_b32_e32 v1, 2, v0
	v_mov_b32_e32 v2, s1
	v_add_co_u32_e32 v4, vcc, s0, v1
	s_cmp_lg_u32 s6, s7
	v_addc_co_u32_e32 v5, vcc, 0, v2, vcc
	s_cbranch_scc0 .LBB79_2
; %bb.1:
	v_add_co_u32_e32 v2, vcc, 0x1000, v4
	global_load_dword v6, v[4:5], off
	v_addc_co_u32_e32 v3, vcc, 0, v5, vcc
	global_load_dword v3, v[2:3], off
	s_add_u32 s0, s8, s4
	s_addc_u32 s1, s9, s5
	s_mov_b64 s[6:7], -1
	s_waitcnt vmcnt(1)
	global_store_dword v1, v6, s[0:1]
	s_cbranch_execz .LBB79_3
	s_branch .LBB79_10
.LBB79_2:
	s_mov_b64 s[6:7], 0
                                        ; implicit-def: $vgpr3
.LBB79_3:
	s_sub_i32 s10, s2, s10
	v_cmp_gt_u32_e64 s[0:1], s10, v0
                                        ; implicit-def: $vgpr2_vgpr3
	s_and_saveexec_b64 s[2:3], s[0:1]
	s_cbranch_execz .LBB79_5
; %bb.4:
	global_load_dword v2, v[4:5], off
.LBB79_5:
	s_or_b64 exec, exec, s[2:3]
	v_or_b32_e32 v0, 0x400, v0
	v_cmp_gt_u32_e64 s[2:3], s10, v0
	s_and_saveexec_b64 s[10:11], s[2:3]
	s_cbranch_execnz .LBB79_13
; %bb.6:
	s_or_b64 exec, exec, s[10:11]
	s_and_saveexec_b64 s[10:11], s[0:1]
	s_cbranch_execnz .LBB79_14
.LBB79_7:
	s_or_b64 exec, exec, s[10:11]
	s_and_saveexec_b64 s[0:1], s[2:3]
.LBB79_8:
	s_or_b64 s[6:7], s[6:7], exec
.LBB79_9:
	s_or_b64 exec, exec, s[0:1]
.LBB79_10:
	s_and_saveexec_b64 s[0:1], s[6:7]
	s_cbranch_execnz .LBB79_12
; %bb.11:
	s_endpgm
.LBB79_12:
	s_add_u32 s0, s8, s4
	s_addc_u32 s1, s9, s5
	v_mov_b32_e32 v0, s1
	v_add_co_u32_e32 v1, vcc, s0, v1
	s_waitcnt vmcnt(0)
	v_addc_co_u32_e32 v2, vcc, 0, v0, vcc
	v_add_co_u32_e32 v0, vcc, 0x1000, v1
	v_addc_co_u32_e32 v1, vcc, 0, v2, vcc
	global_store_dword v[0:1], v3, off
	s_endpgm
.LBB79_13:
	v_add_co_u32_e32 v4, vcc, 0x1000, v4
	v_addc_co_u32_e32 v5, vcc, 0, v5, vcc
	global_load_dword v3, v[4:5], off
	s_or_b64 exec, exec, s[10:11]
	s_and_saveexec_b64 s[10:11], s[0:1]
	s_cbranch_execz .LBB79_7
.LBB79_14:
	s_add_u32 s0, s8, s4
	s_addc_u32 s1, s9, s5
	s_waitcnt vmcnt(0)
	global_store_dword v1, v2, s[0:1]
	s_or_b64 exec, exec, s[10:11]
	s_and_saveexec_b64 s[0:1], s[2:3]
	s_cbranch_execnz .LBB79_8
	s_branch .LBB79_9
	.section	.rodata,"a",@progbits
	.p2align	6, 0x0
	.amdhsa_kernel _ZN7rocprim17ROCPRIM_304000_NS6detail16transform_kernelINS1_24wrapped_transform_configINS0_14default_configEiEEiPiS6_NS0_8identityIiEEEEvT1_mT2_T3_
		.amdhsa_group_segment_fixed_size 0
		.amdhsa_private_segment_fixed_size 0
		.amdhsa_kernarg_size 288
		.amdhsa_user_sgpr_count 6
		.amdhsa_user_sgpr_private_segment_buffer 1
		.amdhsa_user_sgpr_dispatch_ptr 0
		.amdhsa_user_sgpr_queue_ptr 0
		.amdhsa_user_sgpr_kernarg_segment_ptr 1
		.amdhsa_user_sgpr_dispatch_id 0
		.amdhsa_user_sgpr_flat_scratch_init 0
		.amdhsa_user_sgpr_kernarg_preload_length 0
		.amdhsa_user_sgpr_kernarg_preload_offset 0
		.amdhsa_user_sgpr_private_segment_size 0
		.amdhsa_uses_dynamic_stack 0
		.amdhsa_system_sgpr_private_segment_wavefront_offset 0
		.amdhsa_system_sgpr_workgroup_id_x 1
		.amdhsa_system_sgpr_workgroup_id_y 0
		.amdhsa_system_sgpr_workgroup_id_z 0
		.amdhsa_system_sgpr_workgroup_info 0
		.amdhsa_system_vgpr_workitem_id 0
		.amdhsa_next_free_vgpr 7
		.amdhsa_next_free_sgpr 12
		.amdhsa_accum_offset 8
		.amdhsa_reserve_vcc 1
		.amdhsa_reserve_flat_scratch 0
		.amdhsa_float_round_mode_32 0
		.amdhsa_float_round_mode_16_64 0
		.amdhsa_float_denorm_mode_32 3
		.amdhsa_float_denorm_mode_16_64 3
		.amdhsa_dx10_clamp 1
		.amdhsa_ieee_mode 1
		.amdhsa_fp16_overflow 0
		.amdhsa_tg_split 0
		.amdhsa_exception_fp_ieee_invalid_op 0
		.amdhsa_exception_fp_denorm_src 0
		.amdhsa_exception_fp_ieee_div_zero 0
		.amdhsa_exception_fp_ieee_overflow 0
		.amdhsa_exception_fp_ieee_underflow 0
		.amdhsa_exception_fp_ieee_inexact 0
		.amdhsa_exception_int_div_zero 0
	.end_amdhsa_kernel
	.section	.text._ZN7rocprim17ROCPRIM_304000_NS6detail16transform_kernelINS1_24wrapped_transform_configINS0_14default_configEiEEiPiS6_NS0_8identityIiEEEEvT1_mT2_T3_,"axG",@progbits,_ZN7rocprim17ROCPRIM_304000_NS6detail16transform_kernelINS1_24wrapped_transform_configINS0_14default_configEiEEiPiS6_NS0_8identityIiEEEEvT1_mT2_T3_,comdat
.Lfunc_end79:
	.size	_ZN7rocprim17ROCPRIM_304000_NS6detail16transform_kernelINS1_24wrapped_transform_configINS0_14default_configEiEEiPiS6_NS0_8identityIiEEEEvT1_mT2_T3_, .Lfunc_end79-_ZN7rocprim17ROCPRIM_304000_NS6detail16transform_kernelINS1_24wrapped_transform_configINS0_14default_configEiEEiPiS6_NS0_8identityIiEEEEvT1_mT2_T3_
                                        ; -- End function
	.section	.AMDGPU.csdata,"",@progbits
; Kernel info:
; codeLenInByte = 352
; NumSgprs: 16
; NumVgprs: 7
; NumAgprs: 0
; TotalNumVgprs: 7
; ScratchSize: 0
; MemoryBound: 0
; FloatMode: 240
; IeeeMode: 1
; LDSByteSize: 0 bytes/workgroup (compile time only)
; SGPRBlocks: 1
; VGPRBlocks: 0
; NumSGPRsForWavesPerEU: 16
; NumVGPRsForWavesPerEU: 7
; AccumOffset: 8
; Occupancy: 8
; WaveLimiterHint : 1
; COMPUTE_PGM_RSRC2:SCRATCH_EN: 0
; COMPUTE_PGM_RSRC2:USER_SGPR: 6
; COMPUTE_PGM_RSRC2:TRAP_HANDLER: 0
; COMPUTE_PGM_RSRC2:TGID_X_EN: 1
; COMPUTE_PGM_RSRC2:TGID_Y_EN: 0
; COMPUTE_PGM_RSRC2:TGID_Z_EN: 0
; COMPUTE_PGM_RSRC2:TIDIG_COMP_CNT: 0
; COMPUTE_PGM_RSRC3_GFX90A:ACCUM_OFFSET: 1
; COMPUTE_PGM_RSRC3_GFX90A:TG_SPLIT: 0
	.section	.text._ZN7rocprim17ROCPRIM_304000_NS6detail45device_block_merge_mergepath_partition_kernelINS1_37wrapped_merge_sort_block_merge_configINS0_14default_configEiN2at4cuda3cub6detail10OpaqueTypeILi8EEEEEPijNS1_19radix_merge_compareILb1ELb1EiNS0_19identity_decomposerEEEEEvT0_T1_jPSH_T2_SH_,"axG",@progbits,_ZN7rocprim17ROCPRIM_304000_NS6detail45device_block_merge_mergepath_partition_kernelINS1_37wrapped_merge_sort_block_merge_configINS0_14default_configEiN2at4cuda3cub6detail10OpaqueTypeILi8EEEEEPijNS1_19radix_merge_compareILb1ELb1EiNS0_19identity_decomposerEEEEEvT0_T1_jPSH_T2_SH_,comdat
	.protected	_ZN7rocprim17ROCPRIM_304000_NS6detail45device_block_merge_mergepath_partition_kernelINS1_37wrapped_merge_sort_block_merge_configINS0_14default_configEiN2at4cuda3cub6detail10OpaqueTypeILi8EEEEEPijNS1_19radix_merge_compareILb1ELb1EiNS0_19identity_decomposerEEEEEvT0_T1_jPSH_T2_SH_ ; -- Begin function _ZN7rocprim17ROCPRIM_304000_NS6detail45device_block_merge_mergepath_partition_kernelINS1_37wrapped_merge_sort_block_merge_configINS0_14default_configEiN2at4cuda3cub6detail10OpaqueTypeILi8EEEEEPijNS1_19radix_merge_compareILb1ELb1EiNS0_19identity_decomposerEEEEEvT0_T1_jPSH_T2_SH_
	.globl	_ZN7rocprim17ROCPRIM_304000_NS6detail45device_block_merge_mergepath_partition_kernelINS1_37wrapped_merge_sort_block_merge_configINS0_14default_configEiN2at4cuda3cub6detail10OpaqueTypeILi8EEEEEPijNS1_19radix_merge_compareILb1ELb1EiNS0_19identity_decomposerEEEEEvT0_T1_jPSH_T2_SH_
	.p2align	8
	.type	_ZN7rocprim17ROCPRIM_304000_NS6detail45device_block_merge_mergepath_partition_kernelINS1_37wrapped_merge_sort_block_merge_configINS0_14default_configEiN2at4cuda3cub6detail10OpaqueTypeILi8EEEEEPijNS1_19radix_merge_compareILb1ELb1EiNS0_19identity_decomposerEEEEEvT0_T1_jPSH_T2_SH_,@function
_ZN7rocprim17ROCPRIM_304000_NS6detail45device_block_merge_mergepath_partition_kernelINS1_37wrapped_merge_sort_block_merge_configINS0_14default_configEiN2at4cuda3cub6detail10OpaqueTypeILi8EEEEEPijNS1_19radix_merge_compareILb1ELb1EiNS0_19identity_decomposerEEEEEvT0_T1_jPSH_T2_SH_: ; @_ZN7rocprim17ROCPRIM_304000_NS6detail45device_block_merge_mergepath_partition_kernelINS1_37wrapped_merge_sort_block_merge_configINS0_14default_configEiN2at4cuda3cub6detail10OpaqueTypeILi8EEEEEPijNS1_19radix_merge_compareILb1ELb1EiNS0_19identity_decomposerEEEEEvT0_T1_jPSH_T2_SH_
; %bb.0:
	s_load_dwordx2 s[2:3], s[4:5], 0x8
	v_lshl_or_b32 v0, s6, 7, v0
	s_waitcnt lgkmcnt(0)
	v_cmp_gt_u32_e32 vcc, s3, v0
	s_and_saveexec_b64 s[0:1], vcc
	s_cbranch_execz .LBB80_6
; %bb.1:
	s_load_dwordx2 s[0:1], s[4:5], 0x18
	s_waitcnt lgkmcnt(0)
	s_lshr_b32 s3, s1, 9
	s_and_b32 s3, s3, 0x7ffffe
	s_add_i32 s6, s3, -1
	s_sub_i32 s3, 0, s3
	v_and_b32_e32 v1, s3, v0
	v_and_b32_e32 v2, s6, v0
	v_lshlrev_b32_e32 v1, 10, v1
	v_lshlrev_b32_e32 v3, 10, v2
	v_min_u32_e32 v2, s2, v1
	v_add_u32_e32 v1, s1, v1
	v_min_u32_e32 v4, s2, v1
	v_add_u32_e32 v1, s1, v4
	v_min_u32_e32 v1, s2, v1
	v_sub_u32_e32 v5, v1, v2
	v_min_u32_e32 v6, v5, v3
	v_sub_u32_e32 v3, v4, v2
	v_sub_u32_e32 v1, v1, v4
	v_sub_u32_e64 v1, v6, v1 clamp
	v_min_u32_e32 v7, v6, v3
	v_cmp_lt_u32_e32 vcc, v1, v7
	s_and_saveexec_b64 s[2:3], vcc
	s_cbranch_execz .LBB80_5
; %bb.2:
	s_load_dwordx2 s[6:7], s[4:5], 0x0
	v_mov_b32_e32 v5, 0
	v_mov_b32_e32 v3, v5
	v_lshlrev_b64 v[8:9], 2, v[2:3]
	v_lshlrev_b64 v[10:11], 2, v[4:5]
	s_waitcnt lgkmcnt(0)
	v_mov_b32_e32 v12, s7
	v_add_co_u32_e32 v3, vcc, s6, v8
	v_addc_co_u32_e32 v8, vcc, v12, v9, vcc
	v_add_co_u32_e32 v9, vcc, s6, v10
	v_addc_co_u32_e32 v10, vcc, v12, v11, vcc
	s_mov_b64 s[6:7], 0
.LBB80_3:                               ; =>This Inner Loop Header: Depth=1
	v_add_u32_e32 v4, v7, v1
	v_lshrrev_b32_e32 v4, 1, v4
	v_lshlrev_b64 v[14:15], 2, v[4:5]
	v_mov_b32_e32 v13, v5
	v_xad_u32 v12, v4, -1, v6
	v_add_co_u32_e32 v14, vcc, v3, v14
	v_addc_co_u32_e32 v15, vcc, v8, v15, vcc
	v_lshlrev_b64 v[12:13], 2, v[12:13]
	v_add_co_u32_e32 v12, vcc, v9, v12
	v_addc_co_u32_e32 v13, vcc, v10, v13, vcc
	global_load_dword v11, v[14:15], off
	global_load_dword v16, v[12:13], off
	v_add_u32_e32 v12, 1, v4
	s_waitcnt vmcnt(1)
	v_and_b32_e32 v11, s0, v11
	s_waitcnt vmcnt(0)
	v_and_b32_e32 v13, s0, v16
	v_cmp_gt_i32_e32 vcc, v13, v11
	v_cndmask_b32_e32 v7, v7, v4, vcc
	v_cndmask_b32_e32 v1, v12, v1, vcc
	v_cmp_ge_u32_e32 vcc, v1, v7
	s_or_b64 s[6:7], vcc, s[6:7]
	s_andn2_b64 exec, exec, s[6:7]
	s_cbranch_execnz .LBB80_3
; %bb.4:
	s_or_b64 exec, exec, s[6:7]
.LBB80_5:
	s_or_b64 exec, exec, s[2:3]
	s_load_dwordx2 s[0:1], s[4:5], 0x10
	v_add_u32_e32 v2, v1, v2
	v_mov_b32_e32 v1, 0
	v_lshlrev_b64 v[0:1], 2, v[0:1]
	s_waitcnt lgkmcnt(0)
	v_mov_b32_e32 v3, s1
	v_add_co_u32_e32 v0, vcc, s0, v0
	v_addc_co_u32_e32 v1, vcc, v3, v1, vcc
	global_store_dword v[0:1], v2, off
.LBB80_6:
	s_endpgm
	.section	.rodata,"a",@progbits
	.p2align	6, 0x0
	.amdhsa_kernel _ZN7rocprim17ROCPRIM_304000_NS6detail45device_block_merge_mergepath_partition_kernelINS1_37wrapped_merge_sort_block_merge_configINS0_14default_configEiN2at4cuda3cub6detail10OpaqueTypeILi8EEEEEPijNS1_19radix_merge_compareILb1ELb1EiNS0_19identity_decomposerEEEEEvT0_T1_jPSH_T2_SH_
		.amdhsa_group_segment_fixed_size 0
		.amdhsa_private_segment_fixed_size 0
		.amdhsa_kernarg_size 32
		.amdhsa_user_sgpr_count 6
		.amdhsa_user_sgpr_private_segment_buffer 1
		.amdhsa_user_sgpr_dispatch_ptr 0
		.amdhsa_user_sgpr_queue_ptr 0
		.amdhsa_user_sgpr_kernarg_segment_ptr 1
		.amdhsa_user_sgpr_dispatch_id 0
		.amdhsa_user_sgpr_flat_scratch_init 0
		.amdhsa_user_sgpr_kernarg_preload_length 0
		.amdhsa_user_sgpr_kernarg_preload_offset 0
		.amdhsa_user_sgpr_private_segment_size 0
		.amdhsa_uses_dynamic_stack 0
		.amdhsa_system_sgpr_private_segment_wavefront_offset 0
		.amdhsa_system_sgpr_workgroup_id_x 1
		.amdhsa_system_sgpr_workgroup_id_y 0
		.amdhsa_system_sgpr_workgroup_id_z 0
		.amdhsa_system_sgpr_workgroup_info 0
		.amdhsa_system_vgpr_workitem_id 0
		.amdhsa_next_free_vgpr 17
		.amdhsa_next_free_sgpr 8
		.amdhsa_accum_offset 20
		.amdhsa_reserve_vcc 1
		.amdhsa_reserve_flat_scratch 0
		.amdhsa_float_round_mode_32 0
		.amdhsa_float_round_mode_16_64 0
		.amdhsa_float_denorm_mode_32 3
		.amdhsa_float_denorm_mode_16_64 3
		.amdhsa_dx10_clamp 1
		.amdhsa_ieee_mode 1
		.amdhsa_fp16_overflow 0
		.amdhsa_tg_split 0
		.amdhsa_exception_fp_ieee_invalid_op 0
		.amdhsa_exception_fp_denorm_src 0
		.amdhsa_exception_fp_ieee_div_zero 0
		.amdhsa_exception_fp_ieee_overflow 0
		.amdhsa_exception_fp_ieee_underflow 0
		.amdhsa_exception_fp_ieee_inexact 0
		.amdhsa_exception_int_div_zero 0
	.end_amdhsa_kernel
	.section	.text._ZN7rocprim17ROCPRIM_304000_NS6detail45device_block_merge_mergepath_partition_kernelINS1_37wrapped_merge_sort_block_merge_configINS0_14default_configEiN2at4cuda3cub6detail10OpaqueTypeILi8EEEEEPijNS1_19radix_merge_compareILb1ELb1EiNS0_19identity_decomposerEEEEEvT0_T1_jPSH_T2_SH_,"axG",@progbits,_ZN7rocprim17ROCPRIM_304000_NS6detail45device_block_merge_mergepath_partition_kernelINS1_37wrapped_merge_sort_block_merge_configINS0_14default_configEiN2at4cuda3cub6detail10OpaqueTypeILi8EEEEEPijNS1_19radix_merge_compareILb1ELb1EiNS0_19identity_decomposerEEEEEvT0_T1_jPSH_T2_SH_,comdat
.Lfunc_end80:
	.size	_ZN7rocprim17ROCPRIM_304000_NS6detail45device_block_merge_mergepath_partition_kernelINS1_37wrapped_merge_sort_block_merge_configINS0_14default_configEiN2at4cuda3cub6detail10OpaqueTypeILi8EEEEEPijNS1_19radix_merge_compareILb1ELb1EiNS0_19identity_decomposerEEEEEvT0_T1_jPSH_T2_SH_, .Lfunc_end80-_ZN7rocprim17ROCPRIM_304000_NS6detail45device_block_merge_mergepath_partition_kernelINS1_37wrapped_merge_sort_block_merge_configINS0_14default_configEiN2at4cuda3cub6detail10OpaqueTypeILi8EEEEEPijNS1_19radix_merge_compareILb1ELb1EiNS0_19identity_decomposerEEEEEvT0_T1_jPSH_T2_SH_
                                        ; -- End function
	.section	.AMDGPU.csdata,"",@progbits
; Kernel info:
; codeLenInByte = 376
; NumSgprs: 12
; NumVgprs: 17
; NumAgprs: 0
; TotalNumVgprs: 17
; ScratchSize: 0
; MemoryBound: 0
; FloatMode: 240
; IeeeMode: 1
; LDSByteSize: 0 bytes/workgroup (compile time only)
; SGPRBlocks: 1
; VGPRBlocks: 2
; NumSGPRsForWavesPerEU: 12
; NumVGPRsForWavesPerEU: 17
; AccumOffset: 20
; Occupancy: 8
; WaveLimiterHint : 0
; COMPUTE_PGM_RSRC2:SCRATCH_EN: 0
; COMPUTE_PGM_RSRC2:USER_SGPR: 6
; COMPUTE_PGM_RSRC2:TRAP_HANDLER: 0
; COMPUTE_PGM_RSRC2:TGID_X_EN: 1
; COMPUTE_PGM_RSRC2:TGID_Y_EN: 0
; COMPUTE_PGM_RSRC2:TGID_Z_EN: 0
; COMPUTE_PGM_RSRC2:TIDIG_COMP_CNT: 0
; COMPUTE_PGM_RSRC3_GFX90A:ACCUM_OFFSET: 4
; COMPUTE_PGM_RSRC3_GFX90A:TG_SPLIT: 0
	.section	.text._ZN7rocprim17ROCPRIM_304000_NS6detail35device_block_merge_mergepath_kernelINS1_37wrapped_merge_sort_block_merge_configINS0_14default_configEiN2at4cuda3cub6detail10OpaqueTypeILi8EEEEEPiSC_PSA_SD_jNS1_19radix_merge_compareILb1ELb1EiNS0_19identity_decomposerEEEEEvT0_T1_T2_T3_T4_SL_jT5_PKSL_NS1_7vsmem_tE,"axG",@progbits,_ZN7rocprim17ROCPRIM_304000_NS6detail35device_block_merge_mergepath_kernelINS1_37wrapped_merge_sort_block_merge_configINS0_14default_configEiN2at4cuda3cub6detail10OpaqueTypeILi8EEEEEPiSC_PSA_SD_jNS1_19radix_merge_compareILb1ELb1EiNS0_19identity_decomposerEEEEEvT0_T1_T2_T3_T4_SL_jT5_PKSL_NS1_7vsmem_tE,comdat
	.protected	_ZN7rocprim17ROCPRIM_304000_NS6detail35device_block_merge_mergepath_kernelINS1_37wrapped_merge_sort_block_merge_configINS0_14default_configEiN2at4cuda3cub6detail10OpaqueTypeILi8EEEEEPiSC_PSA_SD_jNS1_19radix_merge_compareILb1ELb1EiNS0_19identity_decomposerEEEEEvT0_T1_T2_T3_T4_SL_jT5_PKSL_NS1_7vsmem_tE ; -- Begin function _ZN7rocprim17ROCPRIM_304000_NS6detail35device_block_merge_mergepath_kernelINS1_37wrapped_merge_sort_block_merge_configINS0_14default_configEiN2at4cuda3cub6detail10OpaqueTypeILi8EEEEEPiSC_PSA_SD_jNS1_19radix_merge_compareILb1ELb1EiNS0_19identity_decomposerEEEEEvT0_T1_T2_T3_T4_SL_jT5_PKSL_NS1_7vsmem_tE
	.globl	_ZN7rocprim17ROCPRIM_304000_NS6detail35device_block_merge_mergepath_kernelINS1_37wrapped_merge_sort_block_merge_configINS0_14default_configEiN2at4cuda3cub6detail10OpaqueTypeILi8EEEEEPiSC_PSA_SD_jNS1_19radix_merge_compareILb1ELb1EiNS0_19identity_decomposerEEEEEvT0_T1_T2_T3_T4_SL_jT5_PKSL_NS1_7vsmem_tE
	.p2align	8
	.type	_ZN7rocprim17ROCPRIM_304000_NS6detail35device_block_merge_mergepath_kernelINS1_37wrapped_merge_sort_block_merge_configINS0_14default_configEiN2at4cuda3cub6detail10OpaqueTypeILi8EEEEEPiSC_PSA_SD_jNS1_19radix_merge_compareILb1ELb1EiNS0_19identity_decomposerEEEEEvT0_T1_T2_T3_T4_SL_jT5_PKSL_NS1_7vsmem_tE,@function
_ZN7rocprim17ROCPRIM_304000_NS6detail35device_block_merge_mergepath_kernelINS1_37wrapped_merge_sort_block_merge_configINS0_14default_configEiN2at4cuda3cub6detail10OpaqueTypeILi8EEEEEPiSC_PSA_SD_jNS1_19radix_merge_compareILb1ELb1EiNS0_19identity_decomposerEEEEEvT0_T1_T2_T3_T4_SL_jT5_PKSL_NS1_7vsmem_tE: ; @_ZN7rocprim17ROCPRIM_304000_NS6detail35device_block_merge_mergepath_kernelINS1_37wrapped_merge_sort_block_merge_configINS0_14default_configEiN2at4cuda3cub6detail10OpaqueTypeILi8EEEEEPiSC_PSA_SD_jNS1_19radix_merge_compareILb1ELb1EiNS0_19identity_decomposerEEEEEvT0_T1_T2_T3_T4_SL_jT5_PKSL_NS1_7vsmem_tE
; %bb.0:
	s_load_dwordx2 s[26:27], s[4:5], 0x40
	s_load_dwordx4 s[16:19], s[4:5], 0x20
	s_add_u32 s2, s4, 64
	s_addc_u32 s3, s5, 0
	s_waitcnt lgkmcnt(0)
	s_mul_i32 s0, s27, s8
	s_add_i32 s0, s0, s7
	s_mul_i32 s0, s0, s26
	s_add_i32 s0, s0, s6
	s_cmp_ge_u32 s0, s18
	s_cbranch_scc1 .LBB81_69
; %bb.1:
	s_load_dwordx8 s[8:15], s[4:5], 0x0
	s_load_dwordx2 s[22:23], s[4:5], 0x30
	s_lshr_b32 s30, s16, 10
	s_cmp_lg_u32 s0, s30
	s_mov_b32 s1, 0
	s_cselect_b64 s[20:21], -1, 0
	s_lshl_b64 s[4:5], s[0:1], 2
	s_waitcnt lgkmcnt(0)
	s_add_u32 s4, s22, s4
	s_addc_u32 s5, s23, s5
	s_load_dwordx2 s[22:23], s[4:5], 0x0
	s_lshr_b32 s4, s17, 9
	s_and_b32 s4, s4, 0x7ffffe
	s_sub_i32 s4, 0, s4
	s_and_b32 s5, s0, s4
	s_lshl_b32 s7, s5, 10
	s_lshl_b32 s18, s0, 10
	;; [unrolled: 1-line block ×3, first 2 shown]
	s_sub_i32 s24, s18, s7
	s_add_i32 s5, s5, s17
	s_add_i32 s25, s5, s24
	s_waitcnt lgkmcnt(0)
	s_sub_i32 s24, s25, s22
	s_sub_i32 s25, s25, s23
	;; [unrolled: 1-line block ×3, first 2 shown]
	s_min_u32 s24, s16, s24
	s_addk_i32 s25, 0x400
	s_or_b32 s4, s0, s4
	s_min_u32 s7, s16, s5
	s_add_i32 s5, s5, s17
	s_cmp_eq_u32 s4, -1
	s_cselect_b32 s4, s5, s25
	s_cselect_b32 s5, s7, s23
	s_min_u32 s4, s4, s16
	s_mov_b32 s23, s1
	s_sub_i32 s27, s5, s22
	s_sub_i32 s28, s4, s24
	s_lshl_b64 s[4:5], s[22:23], 2
	s_add_u32 s7, s8, s4
	s_mov_b32 s25, s1
	s_addc_u32 s29, s9, s5
	s_lshl_b64 s[4:5], s[24:25], 2
	s_add_u32 s4, s8, s4
	s_addc_u32 s5, s9, s5
	s_cmp_lt_u32 s6, s26
	v_mov_b32_e32 v11, 0
	s_cselect_b32 s1, 12, 18
	global_load_dword v1, v11, s[2:3] offset:14
	s_add_u32 s2, s2, s1
	s_addc_u32 s3, s3, 0
	global_load_ushort v2, v11, s[2:3]
	v_cmp_gt_u32_e32 vcc, s27, v0
	s_cmp_eq_u32 s0, s30
	s_waitcnt vmcnt(1)
	v_lshrrev_b32_e32 v3, 16, v1
	v_and_b32_e32 v1, 0xffff, v1
	v_mul_lo_u32 v1, v1, v3
	s_waitcnt vmcnt(0)
	v_mul_lo_u32 v12, v1, v2
	v_add_u32_e32 v8, v12, v0
	v_lshlrev_b32_e32 v1, 2, v0
	v_add_u32_e32 v6, v8, v12
	s_cbranch_scc1 .LBB81_3
; %bb.2:
	v_mov_b32_e32 v2, s29
	v_add_co_u32_e64 v4, s[0:1], s7, v1
	v_subrev_u32_e32 v10, s27, v0
	v_addc_co_u32_e64 v5, s[0:1], 0, v2, s[0:1]
	v_lshlrev_b64 v[2:3], 2, v[10:11]
	v_mov_b32_e32 v7, s5
	v_add_co_u32_e64 v2, s[0:1], s4, v2
	v_addc_co_u32_e64 v3, s[0:1], v7, v3, s[0:1]
	v_mov_b32_e32 v9, v11
	v_cndmask_b32_e32 v3, v3, v5, vcc
	v_cndmask_b32_e32 v2, v2, v4, vcc
	v_lshlrev_b64 v[4:5], 2, v[8:9]
	global_load_dword v2, v[2:3], off
	v_mov_b32_e32 v3, s29
	v_add_co_u32_e32 v7, vcc, s7, v4
	v_subrev_u32_e32 v10, s27, v8
	v_addc_co_u32_e32 v3, vcc, v3, v5, vcc
	v_lshlrev_b64 v[4:5], 2, v[10:11]
	v_mov_b32_e32 v9, s5
	v_add_co_u32_e32 v4, vcc, s4, v4
	v_addc_co_u32_e32 v5, vcc, v9, v5, vcc
	v_cmp_gt_u32_e32 vcc, s27, v8
	v_cndmask_b32_e32 v5, v5, v3, vcc
	v_cndmask_b32_e32 v4, v4, v7, vcc
	v_mov_b32_e32 v7, v11
	global_load_dword v3, v[4:5], off
	v_lshlrev_b64 v[4:5], 2, v[6:7]
	v_mov_b32_e32 v7, s29
	v_add_co_u32_e32 v9, vcc, s7, v4
	v_subrev_u32_e32 v10, s27, v6
	v_addc_co_u32_e32 v7, vcc, v7, v5, vcc
	v_lshlrev_b64 v[4:5], 2, v[10:11]
	v_mov_b32_e32 v10, s5
	v_add_co_u32_e32 v4, vcc, s4, v4
	v_addc_co_u32_e32 v5, vcc, v10, v5, vcc
	v_cmp_gt_u32_e32 vcc, s27, v6
	v_add_u32_e32 v10, v6, v12
	v_cndmask_b32_e32 v5, v5, v7, vcc
	v_cndmask_b32_e32 v4, v4, v9, vcc
	v_lshlrev_b64 v[14:15], 2, v[10:11]
	global_load_dword v4, v[4:5], off
	v_mov_b32_e32 v5, s29
	v_add_co_u32_e32 v7, vcc, s7, v14
	v_addc_co_u32_e32 v5, vcc, v5, v15, vcc
	v_cmp_gt_u32_e32 vcc, s27, v10
	v_subrev_u32_e32 v10, s27, v10
	v_lshlrev_b64 v[10:11], 2, v[10:11]
	v_mov_b32_e32 v9, s5
	v_add_co_u32_e64 v10, s[0:1], s4, v10
	v_addc_co_u32_e64 v9, s[0:1], v9, v11, s[0:1]
	v_cndmask_b32_e32 v11, v9, v5, vcc
	v_cndmask_b32_e32 v10, v10, v7, vcc
	global_load_dword v5, v[10:11], off
	s_add_i32 s17, s28, s27
	s_cbranch_execz .LBB81_4
	s_branch .LBB81_11
.LBB81_3:
                                        ; implicit-def: $vgpr2_vgpr3_vgpr4_vgpr5
                                        ; implicit-def: $sgpr17
.LBB81_4:
	s_add_i32 s17, s28, s27
	v_cmp_gt_u32_e32 vcc, s17, v0
                                        ; implicit-def: $vgpr2_vgpr3_vgpr4_vgpr5
	s_and_saveexec_b64 s[0:1], vcc
	s_cbranch_execnz .LBB81_70
; %bb.5:
	s_or_b64 exec, exec, s[0:1]
	v_cmp_gt_u32_e32 vcc, s17, v8
	s_and_saveexec_b64 s[2:3], vcc
	s_cbranch_execnz .LBB81_71
.LBB81_6:
	s_or_b64 exec, exec, s[2:3]
	v_cmp_gt_u32_e32 vcc, s17, v6
	s_and_saveexec_b64 s[0:1], vcc
	s_cbranch_execz .LBB81_8
.LBB81_7:
	v_mov_b32_e32 v7, 0
	v_lshlrev_b64 v[8:9], 2, v[6:7]
	s_waitcnt vmcnt(1)
	v_mov_b32_e32 v4, s29
	v_add_co_u32_e32 v10, vcc, s7, v8
	v_addc_co_u32_e32 v4, vcc, v4, v9, vcc
	v_subrev_u32_e32 v8, s27, v6
	v_mov_b32_e32 v9, v7
	v_lshlrev_b64 v[8:9], 2, v[8:9]
	v_mov_b32_e32 v7, s5
	v_add_co_u32_e32 v8, vcc, s4, v8
	v_addc_co_u32_e32 v7, vcc, v7, v9, vcc
	v_cmp_gt_u32_e32 vcc, s27, v6
	v_cndmask_b32_e32 v9, v7, v4, vcc
	v_cndmask_b32_e32 v8, v8, v10, vcc
	global_load_dword v4, v[8:9], off
.LBB81_8:
	s_or_b64 exec, exec, s[0:1]
	v_add_u32_e32 v6, v6, v12
	v_cmp_gt_u32_e32 vcc, s17, v6
	s_and_saveexec_b64 s[2:3], vcc
	s_cbranch_execz .LBB81_10
; %bb.9:
	v_mov_b32_e32 v7, 0
	v_lshlrev_b64 v[8:9], 2, v[6:7]
	s_waitcnt vmcnt(0)
	v_mov_b32_e32 v5, s29
	v_add_co_u32_e32 v8, vcc, s7, v8
	v_addc_co_u32_e32 v5, vcc, v5, v9, vcc
	v_cmp_gt_u32_e32 vcc, s27, v6
	v_subrev_u32_e32 v6, s27, v6
	v_lshlrev_b64 v[6:7], 2, v[6:7]
	v_mov_b32_e32 v9, s5
	v_add_co_u32_e64 v6, s[0:1], s4, v6
	v_addc_co_u32_e64 v7, s[0:1], v9, v7, s[0:1]
	v_cndmask_b32_e32 v7, v7, v5, vcc
	v_cndmask_b32_e32 v6, v6, v8, vcc
	global_load_dword v5, v[6:7], off
.LBB81_10:
	s_or_b64 exec, exec, s[2:3]
.LBB81_11:
	v_min_u32_e32 v7, s17, v1
	v_sub_u32_e64 v6, v7, s28 clamp
	v_min_u32_e32 v8, s27, v7
	v_cmp_lt_u32_e32 vcc, v6, v8
	s_waitcnt vmcnt(0)
	ds_write2st64_b32 v1, v2, v3 offset1:4
	ds_write2st64_b32 v1, v4, v5 offset0:8 offset1:12
	s_waitcnt lgkmcnt(0)
	s_barrier
	s_and_saveexec_b64 s[0:1], vcc
	s_cbranch_execz .LBB81_15
; %bb.12:
	v_lshlrev_b32_e32 v9, 2, v7
	v_lshl_add_u32 v9, s27, 2, v9
	s_mov_b64 s[2:3], 0
.LBB81_13:                              ; =>This Inner Loop Header: Depth=1
	v_add_u32_e32 v10, v8, v6
	v_lshrrev_b32_e32 v10, 1, v10
	v_not_b32_e32 v11, v10
	v_lshlrev_b32_e32 v12, 2, v10
	v_lshl_add_u32 v11, v11, 2, v9
	ds_read_b32 v12, v12
	ds_read_b32 v11, v11
	v_add_u32_e32 v13, 1, v10
	s_waitcnt lgkmcnt(1)
	v_and_b32_e32 v12, s19, v12
	s_waitcnt lgkmcnt(0)
	v_and_b32_e32 v11, s19, v11
	v_cmp_gt_i32_e32 vcc, v11, v12
	v_cndmask_b32_e32 v8, v8, v10, vcc
	v_cndmask_b32_e32 v6, v13, v6, vcc
	v_cmp_ge_u32_e32 vcc, v6, v8
	s_or_b64 s[2:3], vcc, s[2:3]
	s_andn2_b64 exec, exec, s[2:3]
	s_cbranch_execnz .LBB81_13
; %bb.14:
	s_or_b64 exec, exec, s[2:3]
.LBB81_15:
	s_or_b64 exec, exec, s[0:1]
	v_sub_u32_e32 v7, v7, v6
	v_add_u32_e32 v7, s27, v7
	v_cmp_ge_u32_e32 vcc, s27, v6
	v_cmp_ge_u32_e64 s[0:1], s17, v7
	s_or_b64 s[0:1], vcc, s[0:1]
                                        ; implicit-def: $vgpr10
                                        ; implicit-def: $vgpr11
                                        ; implicit-def: $vgpr12
                                        ; implicit-def: $vgpr13
	s_and_saveexec_b64 s[8:9], s[0:1]
	s_cbranch_execz .LBB81_21
; %bb.16:
	v_cmp_gt_u32_e32 vcc, s27, v6
                                        ; implicit-def: $vgpr2
	s_and_saveexec_b64 s[0:1], vcc
	s_cbranch_execz .LBB81_18
; %bb.17:
	v_lshlrev_b32_e32 v2, 2, v6
	ds_read_b32 v2, v2
.LBB81_18:
	s_or_b64 exec, exec, s[0:1]
	v_cmp_le_u32_e64 s[0:1], s17, v7
	v_cmp_gt_u32_e64 s[2:3], s17, v7
                                        ; implicit-def: $vgpr3
	s_and_saveexec_b64 s[4:5], s[2:3]
	s_cbranch_execz .LBB81_20
; %bb.19:
	v_lshlrev_b32_e32 v3, 2, v7
	ds_read_b32 v3, v3
.LBB81_20:
	s_or_b64 exec, exec, s[4:5]
	s_waitcnt lgkmcnt(0)
	v_and_b32_e32 v4, s19, v3
	v_and_b32_e32 v5, s19, v2
	v_cmp_le_i32_e64 s[2:3], v4, v5
	s_and_b64 s[2:3], vcc, s[2:3]
	s_or_b64 vcc, s[0:1], s[2:3]
	v_mov_b32_e32 v4, s17
	v_mov_b32_e32 v5, s27
	v_cndmask_b32_e32 v13, v7, v6, vcc
	v_cndmask_b32_e32 v8, v4, v5, vcc
	v_add_u32_e32 v9, 1, v13
	v_add_u32_e32 v8, -1, v8
	v_min_u32_e32 v8, v9, v8
	v_lshlrev_b32_e32 v8, 2, v8
	ds_read_b32 v8, v8
	v_cndmask_b32_e32 v7, v9, v7, vcc
	v_cndmask_b32_e32 v6, v6, v9, vcc
	v_cmp_gt_u32_e64 s[2:3], s27, v6
	v_cmp_le_u32_e64 s[0:1], s17, v7
	s_waitcnt lgkmcnt(0)
	v_cndmask_b32_e32 v10, v8, v3, vcc
	v_cndmask_b32_e32 v8, v2, v8, vcc
	v_and_b32_e32 v9, s19, v10
	v_and_b32_e32 v11, s19, v8
	v_cmp_le_i32_e64 s[4:5], v9, v11
	s_and_b64 s[2:3], s[2:3], s[4:5]
	s_or_b64 s[0:1], s[0:1], s[2:3]
	v_cndmask_b32_e64 v12, v7, v6, s[0:1]
	v_cndmask_b32_e64 v9, v4, v5, s[0:1]
	v_add_u32_e32 v11, 1, v12
	v_add_u32_e32 v9, -1, v9
	v_min_u32_e32 v9, v11, v9
	v_lshlrev_b32_e32 v9, 2, v9
	ds_read_b32 v9, v9
	v_cndmask_b32_e64 v7, v11, v7, s[0:1]
	v_cndmask_b32_e64 v6, v6, v11, s[0:1]
	v_cmp_gt_u32_e64 s[4:5], s27, v6
	v_cmp_le_u32_e64 s[2:3], s17, v7
	s_waitcnt lgkmcnt(0)
	v_cndmask_b32_e64 v14, v9, v10, s[0:1]
	v_cndmask_b32_e64 v9, v8, v9, s[0:1]
	v_and_b32_e32 v11, s19, v14
	v_and_b32_e32 v15, s19, v9
	v_cmp_le_i32_e64 s[6:7], v11, v15
	s_and_b64 s[4:5], s[4:5], s[6:7]
	s_or_b64 s[2:3], s[2:3], s[4:5]
	v_cndmask_b32_e64 v11, v7, v6, s[2:3]
	v_cndmask_b32_e64 v4, v4, v5, s[2:3]
	v_add_u32_e32 v5, 1, v11
	v_add_u32_e32 v4, -1, v4
	v_min_u32_e32 v4, v5, v4
	v_lshlrev_b32_e32 v4, 2, v4
	ds_read_b32 v15, v4
	v_cndmask_b32_e32 v2, v3, v2, vcc
	v_cndmask_b32_e64 v3, v10, v8, s[0:1]
	v_cndmask_b32_e64 v4, v14, v9, s[2:3]
	;; [unrolled: 1-line block ×3, first 2 shown]
	s_waitcnt lgkmcnt(0)
	v_cndmask_b32_e64 v8, v15, v14, s[2:3]
	v_cndmask_b32_e64 v9, v9, v15, s[2:3]
	;; [unrolled: 1-line block ×3, first 2 shown]
	v_and_b32_e32 v6, s19, v8
	v_and_b32_e32 v10, s19, v9
	v_cmp_gt_u32_e64 s[0:1], s27, v5
	v_cmp_le_i32_e64 s[2:3], v6, v10
	v_cmp_le_u32_e32 vcc, s17, v7
	s_and_b64 s[0:1], s[0:1], s[2:3]
	s_or_b64 vcc, vcc, s[0:1]
	v_cndmask_b32_e32 v10, v7, v5, vcc
	v_cndmask_b32_e32 v5, v8, v9, vcc
.LBB81_21:
	s_or_b64 exec, exec, s[8:9]
	s_lshl_b64 s[0:1], s[22:23], 3
	s_add_u32 s19, s12, s0
	s_addc_u32 s26, s13, s1
	s_lshl_b64 s[0:1], s[24:25], 3
	s_add_u32 s29, s12, s0
	v_cndmask_b32_e64 v6, 0, 1, s[20:21]
	s_addc_u32 s30, s13, s1
	v_cmp_gt_u32_e64 s[4:5], s27, v0
	v_cmp_ne_u32_e64 s[0:1], 1, v6
	s_andn2_b64 vcc, exec, s[20:21]
	v_cmp_le_u32_e64 s[2:3], s27, v0
	s_barrier
	s_cbranch_vccnz .LBB81_23
; %bb.22:
	v_subrev_u32_e32 v6, s27, v0
	v_mov_b32_e32 v7, 0
	v_lshlrev_b64 v[8:9], 3, v[6:7]
	v_mov_b32_e32 v6, s30
	v_add_co_u32_e32 v8, vcc, s29, v8
	v_addc_co_u32_e32 v6, vcc, v6, v9, vcc
	v_lshlrev_b32_e32 v20, 3, v0
	v_mov_b32_e32 v9, s26
	v_add_co_u32_e32 v21, vcc, s19, v20
	v_addc_co_u32_e32 v22, vcc, 0, v9, vcc
	v_cndmask_b32_e64 v9, v6, v22, s[4:5]
	v_cndmask_b32_e64 v8, v8, v21, s[4:5]
	v_or_b32_e32 v16, 0x100, v0
	s_movk_i32 s4, 0x800
	v_add_co_u32_e32 v17, vcc, s4, v21
	v_subrev_u32_e32 v6, s27, v16
	v_addc_co_u32_e32 v18, vcc, 0, v22, vcc
	v_lshlrev_b64 v[14:15], 3, v[6:7]
	v_mov_b32_e32 v6, s30
	v_add_co_u32_e32 v14, vcc, s29, v14
	v_addc_co_u32_e32 v6, vcc, v6, v15, vcc
	v_cmp_gt_u32_e32 vcc, s27, v16
	v_cndmask_b32_e32 v15, v6, v18, vcc
	v_or_b32_e32 v18, 0x200, v0
	s_movk_i32 s4, 0x1000
	v_cndmask_b32_e32 v14, v14, v17, vcc
	v_add_co_u32_e32 v19, vcc, s4, v21
	v_subrev_u32_e32 v6, s27, v18
	global_load_dwordx2 v[16:17], v[14:15], off
	v_addc_co_u32_e32 v23, vcc, 0, v22, vcc
	v_lshlrev_b64 v[14:15], 3, v[6:7]
	v_mov_b32_e32 v6, s30
	v_add_co_u32_e32 v14, vcc, s29, v14
	v_addc_co_u32_e32 v6, vcc, v6, v15, vcc
	v_cmp_gt_u32_e32 vcc, s27, v18
	global_load_dwordx2 v[8:9], v[8:9], off
	v_cndmask_b32_e32 v15, v6, v23, vcc
	v_cndmask_b32_e32 v14, v14, v19, vcc
	global_load_dwordx2 v[18:19], v[14:15], off
	v_or_b32_e32 v14, 0x300, v0
	s_movk_i32 s4, 0x1800
	v_add_co_u32_e32 v21, vcc, s4, v21
	v_subrev_u32_e32 v6, s27, v14
	v_addc_co_u32_e32 v22, vcc, 0, v22, vcc
	v_lshlrev_b64 v[6:7], 3, v[6:7]
	v_mov_b32_e32 v23, s30
	v_add_co_u32_e32 v6, vcc, s29, v6
	v_addc_co_u32_e32 v7, vcc, v23, v7, vcc
	v_cmp_gt_u32_e32 vcc, s27, v14
	v_or_b32_e32 v15, 0x1800, v20
	v_cndmask_b32_e32 v7, v7, v22, vcc
	v_cndmask_b32_e32 v6, v6, v21, vcc
	s_mov_b64 s[4:5], -1
	s_waitcnt vmcnt(1)
	ds_write2st64_b64 v20, v[8:9], v[16:17] offset1:4
	s_waitcnt vmcnt(0)
	ds_write_b64 v20, v[18:19] offset:4096
	s_cbranch_execz .LBB81_24
	s_branch .LBB81_43
.LBB81_23:
	s_mov_b64 s[4:5], 0
                                        ; implicit-def: $vgpr15
                                        ; implicit-def: $vgpr6_vgpr7
.LBB81_24:
	s_mov_b64 s[6:7], 0
                                        ; implicit-def: $vgpr6_vgpr7
	s_and_saveexec_b64 s[8:9], s[2:3]
	s_xor_b64 s[2:3], exec, s[8:9]
	s_cbranch_execnz .LBB81_72
; %bb.25:
	s_andn2_saveexec_b64 s[2:3], s[2:3]
	s_cbranch_execnz .LBB81_75
.LBB81_26:
	s_or_b64 exec, exec, s[2:3]
	v_add_u32_e32 v14, v1, v1
	s_and_saveexec_b64 s[2:3], s[6:7]
	s_cbranch_execz .LBB81_28
.LBB81_27:
	global_load_dwordx2 v[6:7], v[6:7], off
	s_waitcnt vmcnt(0)
	ds_write_b64 v14, v[6:7]
.LBB81_28:
	s_or_b64 exec, exec, s[2:3]
	v_or_b32_e32 v6, 0x100, v0
	v_cmp_le_u32_e32 vcc, s27, v6
	s_mov_b64 s[6:7], -1
	v_pk_mov_b32 v[8:9], s[22:23], s[22:23] op_sel:[0,1]
	s_and_saveexec_b64 s[2:3], vcc
; %bb.29:
	v_subrev_u32_e32 v6, s27, v6
	v_cmp_gt_u32_e32 vcc, s28, v6
	v_pk_mov_b32 v[8:9], s[24:25], s[24:25] op_sel:[0,1]
	s_orn2_b64 s[6:7], vcc, exec
; %bb.30:
	s_or_b64 exec, exec, s[2:3]
	s_and_saveexec_b64 s[2:3], s[6:7]
	s_cbranch_execz .LBB81_32
; %bb.31:
	v_lshlrev_b64 v[8:9], 3, v[8:9]
	v_mov_b32_e32 v7, s13
	v_add_co_u32_e32 v8, vcc, s12, v8
	v_addc_co_u32_e32 v9, vcc, v7, v9, vcc
	v_mov_b32_e32 v7, 0
	v_lshlrev_b64 v[6:7], 3, v[6:7]
	v_add_co_u32_e32 v6, vcc, v8, v6
	v_addc_co_u32_e32 v7, vcc, v9, v7, vcc
	global_load_dwordx2 v[6:7], v[6:7], off
	s_waitcnt vmcnt(0)
	ds_write_b64 v14, v[6:7] offset:2048
.LBB81_32:
	s_or_b64 exec, exec, s[2:3]
	v_or_b32_e32 v6, 0x200, v0
	v_cmp_le_u32_e32 vcc, s27, v6
	s_mov_b64 s[6:7], -1
	v_pk_mov_b32 v[8:9], s[22:23], s[22:23] op_sel:[0,1]
	s_and_saveexec_b64 s[2:3], vcc
; %bb.33:
	v_subrev_u32_e32 v6, s27, v6
	v_cmp_gt_u32_e32 vcc, s28, v6
	v_pk_mov_b32 v[8:9], s[24:25], s[24:25] op_sel:[0,1]
	s_orn2_b64 s[6:7], vcc, exec
; %bb.34:
	s_or_b64 exec, exec, s[2:3]
	s_and_saveexec_b64 s[2:3], s[6:7]
	s_cbranch_execz .LBB81_36
; %bb.35:
	v_lshlrev_b64 v[8:9], 3, v[8:9]
	v_mov_b32_e32 v7, s13
	v_add_co_u32_e32 v8, vcc, s12, v8
	v_addc_co_u32_e32 v9, vcc, v7, v9, vcc
	v_mov_b32_e32 v7, 0
	v_lshlrev_b64 v[6:7], 3, v[6:7]
	v_add_co_u32_e32 v6, vcc, v8, v6
	v_addc_co_u32_e32 v7, vcc, v9, v7, vcc
	global_load_dwordx2 v[6:7], v[6:7], off
	s_waitcnt vmcnt(0)
	ds_write_b64 v14, v[6:7] offset:4096
.LBB81_36:
	s_or_b64 exec, exec, s[2:3]
	v_or_b32_e32 v8, 0x300, v0
	v_cmp_le_u32_e32 vcc, s27, v8
                                        ; implicit-def: $vgpr15
                                        ; implicit-def: $vgpr6_vgpr7
	s_and_saveexec_b64 s[2:3], vcc
	s_xor_b64 s[2:3], exec, s[2:3]
	s_cbranch_execz .LBB81_40
; %bb.37:
	v_subrev_u32_e32 v8, s27, v8
	v_cmp_gt_u32_e32 vcc, s28, v8
	s_mov_b64 s[8:9], s[4:5]
                                        ; implicit-def: $vgpr15
                                        ; implicit-def: $vgpr6_vgpr7
	s_and_saveexec_b64 s[6:7], vcc
; %bb.38:
	v_mov_b32_e32 v9, 0
	v_lshlrev_b64 v[6:7], 3, v[8:9]
	v_mov_b32_e32 v8, s30
	v_add_co_u32_e32 v6, vcc, s29, v6
	v_or_b32_e32 v15, 0x1800, v14
	v_addc_co_u32_e32 v7, vcc, v8, v7, vcc
	s_or_b64 s[8:9], s[4:5], exec
; %bb.39:
	s_or_b64 exec, exec, s[6:7]
	s_andn2_b64 s[4:5], s[4:5], exec
	s_and_b64 s[6:7], s[8:9], exec
	s_or_b64 s[4:5], s[4:5], s[6:7]
                                        ; implicit-def: $vgpr8
                                        ; implicit-def: $vgpr14
.LBB81_40:
	s_andn2_saveexec_b64 s[2:3], s[2:3]
; %bb.41:
	v_lshlrev_b32_e32 v6, 3, v8
	v_mov_b32_e32 v7, s26
	v_add_co_u32_e32 v6, vcc, s19, v6
	v_addc_co_u32_e32 v7, vcc, 0, v7, vcc
	v_or_b32_e32 v15, 0x1800, v14
	s_or_b64 s[4:5], s[4:5], exec
; %bb.42:
	s_or_b64 exec, exec, s[2:3]
.LBB81_43:
	s_and_saveexec_b64 s[2:3], s[4:5]
	s_cbranch_execz .LBB81_45
; %bb.44:
	global_load_dwordx2 v[6:7], v[6:7], off
	s_waitcnt vmcnt(0)
	ds_write_b64 v15, v[6:7]
.LBB81_45:
	s_or_b64 exec, exec, s[2:3]
	s_and_b64 vcc, exec, s[0:1]
	v_add_u32_e32 v6, s18, v1
	s_waitcnt lgkmcnt(0)
	s_barrier
	s_cbranch_vccnz .LBB81_47
; %bb.46:
	v_lshlrev_b32_e32 v14, 3, v13
	v_lshlrev_b32_e32 v16, 3, v12
	;; [unrolled: 1-line block ×3, first 2 shown]
	ds_read_b64 v[14:15], v14
	ds_read_b64 v[16:17], v16
	;; [unrolled: 1-line block ×3, first 2 shown]
	v_mov_b32_e32 v7, 0
	v_lshlrev_b64 v[8:9], 3, v[6:7]
	v_mov_b32_e32 v20, s15
	v_add_co_u32_e32 v8, vcc, s14, v8
	v_addc_co_u32_e32 v9, vcc, v20, v9, vcc
	s_mov_b64 s[0:1], -1
	s_waitcnt lgkmcnt(1)
	global_store_dwordx4 v[8:9], v[14:17], off
	s_waitcnt lgkmcnt(0)
	global_store_dwordx2 v[8:9], v[18:19], off offset:16
	s_cbranch_execz .LBB81_48
	s_branch .LBB81_57
.LBB81_47:
	s_mov_b64 s[0:1], 0
.LBB81_48:
	v_cmp_gt_u32_e32 vcc, s17, v1
	s_and_saveexec_b64 s[2:3], vcc
	s_cbranch_execz .LBB81_50
; %bb.49:
	v_lshlrev_b32_e32 v13, 3, v13
	ds_read_b64 v[14:15], v13
	v_mov_b32_e32 v7, 0
	v_lshlrev_b64 v[8:9], 3, v[6:7]
	v_mov_b32_e32 v7, s15
	v_add_co_u32_e32 v8, vcc, s14, v8
	v_addc_co_u32_e32 v9, vcc, v7, v9, vcc
	s_waitcnt lgkmcnt(0)
	global_store_dwordx2 v[8:9], v[14:15], off
.LBB81_50:
	s_or_b64 exec, exec, s[2:3]
	v_or_b32_e32 v7, 1, v1
	v_cmp_gt_u32_e32 vcc, s17, v7
	s_and_saveexec_b64 s[2:3], vcc
	s_cbranch_execz .LBB81_52
; %bb.51:
	v_lshlrev_b32_e32 v12, 3, v12
	ds_read_b64 v[12:13], v12
	v_mov_b32_e32 v7, 0
	v_lshlrev_b64 v[8:9], 3, v[6:7]
	v_mov_b32_e32 v7, s15
	v_add_co_u32_e32 v8, vcc, s14, v8
	v_addc_co_u32_e32 v9, vcc, v7, v9, vcc
	s_waitcnt lgkmcnt(0)
	global_store_dwordx2 v[8:9], v[12:13], off offset:8
.LBB81_52:
	s_or_b64 exec, exec, s[2:3]
	v_or_b32_e32 v7, 2, v1
	v_cmp_gt_u32_e32 vcc, s17, v7
	s_and_saveexec_b64 s[2:3], vcc
	s_cbranch_execz .LBB81_54
; %bb.53:
	v_lshlrev_b32_e32 v11, 3, v11
	ds_read_b64 v[12:13], v11
	v_mov_b32_e32 v7, 0
	v_lshlrev_b64 v[8:9], 3, v[6:7]
	v_mov_b32_e32 v7, s15
	v_add_co_u32_e32 v8, vcc, s14, v8
	v_addc_co_u32_e32 v9, vcc, v7, v9, vcc
	s_waitcnt lgkmcnt(0)
	global_store_dwordx2 v[8:9], v[12:13], off offset:16
.LBB81_54:
	s_or_b64 exec, exec, s[2:3]
	v_or_b32_e32 v7, 3, v1
	v_cmp_gt_u32_e32 vcc, s17, v7
	s_and_saveexec_b64 s[2:3], vcc
; %bb.55:
	v_mov_b32_e32 v7, 0
	s_or_b64 s[0:1], s[0:1], exec
; %bb.56:
	s_or_b64 exec, exec, s[2:3]
.LBB81_57:
	s_and_saveexec_b64 s[2:3], s[0:1]
	s_cbranch_execz .LBB81_59
; %bb.58:
	v_lshlrev_b32_e32 v8, 3, v10
	ds_read_b64 v[8:9], v8
	v_lshlrev_b64 v[6:7], 3, v[6:7]
	v_mov_b32_e32 v11, s15
	v_add_co_u32_e32 v6, vcc, s14, v6
	v_addc_co_u32_e32 v7, vcc, v11, v7, vcc
	s_waitcnt lgkmcnt(0)
	global_store_dwordx2 v[6:7], v[8:9], off offset:24
.LBB81_59:
	s_or_b64 exec, exec, s[2:3]
	v_lshrrev_b32_e32 v6, 3, v0
	v_lshlrev_b32_e32 v7, 2, v1
	v_lshl_add_u32 v7, v6, 2, v7
	s_barrier
	s_barrier
	ds_write2_b32 v7, v2, v3 offset1:1
	ds_write2_b32 v7, v4, v5 offset0:2 offset1:3
	v_and_b32_e32 v2, 28, v6
	v_or_b32_e32 v6, 0x100, v0
	v_add_u32_e32 v7, v1, v2
	v_lshrrev_b32_e32 v2, 3, v6
	v_and_b32_e32 v2, 60, v2
	v_or_b32_e32 v5, 0x200, v0
	s_mov_b32 s19, 0
	v_add_u32_e32 v8, v1, v2
	v_lshrrev_b32_e32 v2, 3, v5
	s_lshl_b64 s[0:1], s[18:19], 2
	v_and_b32_e32 v2, 0x5c, v2
	v_or_b32_e32 v4, 0x300, v0
	s_add_u32 s0, s10, s0
	v_add_u32_e32 v9, v1, v2
	v_lshrrev_b32_e32 v2, 3, v4
	s_addc_u32 s1, s11, s1
	v_and_b32_e32 v2, 0x7c, v2
	v_add_u32_e32 v10, v1, v2
	v_mov_b32_e32 v3, s1
	v_add_co_u32_e32 v2, vcc, s0, v1
	v_addc_co_u32_e32 v3, vcc, 0, v3, vcc
	s_and_b64 vcc, exec, s[20:21]
	s_waitcnt lgkmcnt(0)
	s_cbranch_vccz .LBB81_61
; %bb.60:
	s_barrier
	ds_read_b32 v11, v7
	ds_read_b32 v12, v8 offset:1024
	ds_read_b32 v13, v9 offset:2048
	;; [unrolled: 1-line block ×3, first 2 shown]
	s_waitcnt lgkmcnt(3)
	global_store_dword v[2:3], v11, off
	s_waitcnt lgkmcnt(2)
	global_store_dword v[2:3], v12, off offset:1024
	s_waitcnt lgkmcnt(1)
	global_store_dword v[2:3], v13, off offset:2048
	s_mov_b64 s[0:1], -1
	s_cbranch_execz .LBB81_62
	s_branch .LBB81_67
.LBB81_61:
	s_mov_b64 s[0:1], 0
                                        ; implicit-def: $vgpr1
.LBB81_62:
	s_barrier
	s_waitcnt lgkmcnt(0)
	ds_read_b32 v11, v8 offset:1024
	ds_read_b32 v8, v9 offset:2048
	;; [unrolled: 1-line block ×3, first 2 shown]
	s_sub_i32 s2, s16, s18
	v_cmp_gt_u32_e32 vcc, s2, v0
	s_and_saveexec_b64 s[0:1], vcc
	s_cbranch_execnz .LBB81_76
; %bb.63:
	s_or_b64 exec, exec, s[0:1]
	v_cmp_gt_u32_e32 vcc, s2, v6
	s_and_saveexec_b64 s[0:1], vcc
	s_cbranch_execnz .LBB81_77
.LBB81_64:
	s_or_b64 exec, exec, s[0:1]
	v_cmp_gt_u32_e32 vcc, s2, v5
	s_and_saveexec_b64 s[0:1], vcc
	s_cbranch_execz .LBB81_66
.LBB81_65:
	s_waitcnt lgkmcnt(1)
	global_store_dword v[2:3], v8, off offset:2048
.LBB81_66:
	s_or_b64 exec, exec, s[0:1]
	v_cmp_gt_u32_e64 s[0:1], s2, v4
.LBB81_67:
	s_and_saveexec_b64 s[2:3], s[0:1]
	s_cbranch_execz .LBB81_69
; %bb.68:
	s_waitcnt lgkmcnt(0)
	global_store_dword v[2:3], v1, off offset:3072
.LBB81_69:
	s_endpgm
.LBB81_70:
	s_waitcnt vmcnt(3)
	v_mov_b32_e32 v2, s29
	s_waitcnt vmcnt(1)
	v_add_co_u32_e32 v4, vcc, s7, v1
	v_mov_b32_e32 v3, 0
	s_waitcnt vmcnt(0)
	v_addc_co_u32_e32 v5, vcc, 0, v2, vcc
	v_subrev_u32_e32 v2, s27, v0
	v_lshlrev_b64 v[2:3], 2, v[2:3]
	v_mov_b32_e32 v7, s5
	v_add_co_u32_e32 v2, vcc, s4, v2
	v_addc_co_u32_e32 v3, vcc, v7, v3, vcc
	v_cmp_gt_u32_e32 vcc, s27, v0
	v_cndmask_b32_e32 v3, v3, v5, vcc
	v_cndmask_b32_e32 v2, v2, v4, vcc
	global_load_dword v2, v[2:3], off
	s_or_b64 exec, exec, s[0:1]
	v_cmp_gt_u32_e32 vcc, s17, v8
	s_and_saveexec_b64 s[2:3], vcc
	s_cbranch_execz .LBB81_6
.LBB81_71:
	v_mov_b32_e32 v9, 0
	v_lshlrev_b64 v[10:11], 2, v[8:9]
	s_waitcnt vmcnt(2)
	v_mov_b32_e32 v3, s29
	v_add_co_u32_e32 v7, vcc, s7, v10
	v_addc_co_u32_e32 v3, vcc, v3, v11, vcc
	v_cmp_gt_u32_e32 vcc, s27, v8
	v_subrev_u32_e32 v8, s27, v8
	v_lshlrev_b64 v[8:9], 2, v[8:9]
	v_mov_b32_e32 v10, s5
	v_add_co_u32_e64 v8, s[0:1], s4, v8
	v_addc_co_u32_e64 v9, s[0:1], v10, v9, s[0:1]
	v_cndmask_b32_e32 v9, v9, v3, vcc
	v_cndmask_b32_e32 v8, v8, v7, vcc
	global_load_dword v3, v[8:9], off
	s_or_b64 exec, exec, s[2:3]
	v_cmp_gt_u32_e32 vcc, s17, v6
	s_and_saveexec_b64 s[0:1], vcc
	s_cbranch_execnz .LBB81_7
	s_branch .LBB81_8
.LBB81_72:
	v_subrev_u32_e32 v8, s27, v0
	v_cmp_gt_u32_e32 vcc, s28, v8
                                        ; implicit-def: $vgpr6_vgpr7
	s_and_saveexec_b64 s[8:9], vcc
	s_xor_b64 s[8:9], exec, s[8:9]
; %bb.73:
	v_mov_b32_e32 v9, 0
	v_lshlrev_b64 v[6:7], 3, v[8:9]
	v_mov_b32_e32 v8, s30
	v_add_co_u32_e32 v6, vcc, s29, v6
	s_mov_b64 s[6:7], exec
	v_addc_co_u32_e32 v7, vcc, v8, v7, vcc
; %bb.74:
	s_or_b64 exec, exec, s[8:9]
	s_and_b64 s[6:7], s[6:7], exec
	s_andn2_saveexec_b64 s[2:3], s[2:3]
	s_cbranch_execz .LBB81_26
.LBB81_75:
	v_lshlrev_b32_e32 v6, 3, v0
	v_mov_b32_e32 v7, s26
	v_add_co_u32_e32 v6, vcc, s19, v6
	v_addc_co_u32_e32 v7, vcc, 0, v7, vcc
	s_or_b64 s[6:7], s[6:7], exec
	s_or_b64 exec, exec, s[2:3]
	v_add_u32_e32 v14, v1, v1
	s_and_saveexec_b64 s[2:3], s[6:7]
	s_cbranch_execnz .LBB81_27
	s_branch .LBB81_28
.LBB81_76:
	ds_read_b32 v0, v7
	s_waitcnt lgkmcnt(0)
	global_store_dword v[2:3], v0, off
	s_or_b64 exec, exec, s[0:1]
	v_cmp_gt_u32_e32 vcc, s2, v6
	s_and_saveexec_b64 s[0:1], vcc
	s_cbranch_execz .LBB81_64
.LBB81_77:
	s_waitcnt lgkmcnt(2)
	global_store_dword v[2:3], v11, off offset:1024
	s_or_b64 exec, exec, s[0:1]
	v_cmp_gt_u32_e32 vcc, s2, v5
	s_and_saveexec_b64 s[0:1], vcc
	s_cbranch_execnz .LBB81_65
	s_branch .LBB81_66
	.section	.rodata,"a",@progbits
	.p2align	6, 0x0
	.amdhsa_kernel _ZN7rocprim17ROCPRIM_304000_NS6detail35device_block_merge_mergepath_kernelINS1_37wrapped_merge_sort_block_merge_configINS0_14default_configEiN2at4cuda3cub6detail10OpaqueTypeILi8EEEEEPiSC_PSA_SD_jNS1_19radix_merge_compareILb1ELb1EiNS0_19identity_decomposerEEEEEvT0_T1_T2_T3_T4_SL_jT5_PKSL_NS1_7vsmem_tE
		.amdhsa_group_segment_fixed_size 8208
		.amdhsa_private_segment_fixed_size 0
		.amdhsa_kernarg_size 320
		.amdhsa_user_sgpr_count 6
		.amdhsa_user_sgpr_private_segment_buffer 1
		.amdhsa_user_sgpr_dispatch_ptr 0
		.amdhsa_user_sgpr_queue_ptr 0
		.amdhsa_user_sgpr_kernarg_segment_ptr 1
		.amdhsa_user_sgpr_dispatch_id 0
		.amdhsa_user_sgpr_flat_scratch_init 0
		.amdhsa_user_sgpr_kernarg_preload_length 0
		.amdhsa_user_sgpr_kernarg_preload_offset 0
		.amdhsa_user_sgpr_private_segment_size 0
		.amdhsa_uses_dynamic_stack 0
		.amdhsa_system_sgpr_private_segment_wavefront_offset 0
		.amdhsa_system_sgpr_workgroup_id_x 1
		.amdhsa_system_sgpr_workgroup_id_y 1
		.amdhsa_system_sgpr_workgroup_id_z 1
		.amdhsa_system_sgpr_workgroup_info 0
		.amdhsa_system_vgpr_workitem_id 0
		.amdhsa_next_free_vgpr 24
		.amdhsa_next_free_sgpr 31
		.amdhsa_accum_offset 24
		.amdhsa_reserve_vcc 1
		.amdhsa_reserve_flat_scratch 0
		.amdhsa_float_round_mode_32 0
		.amdhsa_float_round_mode_16_64 0
		.amdhsa_float_denorm_mode_32 3
		.amdhsa_float_denorm_mode_16_64 3
		.amdhsa_dx10_clamp 1
		.amdhsa_ieee_mode 1
		.amdhsa_fp16_overflow 0
		.amdhsa_tg_split 0
		.amdhsa_exception_fp_ieee_invalid_op 0
		.amdhsa_exception_fp_denorm_src 0
		.amdhsa_exception_fp_ieee_div_zero 0
		.amdhsa_exception_fp_ieee_overflow 0
		.amdhsa_exception_fp_ieee_underflow 0
		.amdhsa_exception_fp_ieee_inexact 0
		.amdhsa_exception_int_div_zero 0
	.end_amdhsa_kernel
	.section	.text._ZN7rocprim17ROCPRIM_304000_NS6detail35device_block_merge_mergepath_kernelINS1_37wrapped_merge_sort_block_merge_configINS0_14default_configEiN2at4cuda3cub6detail10OpaqueTypeILi8EEEEEPiSC_PSA_SD_jNS1_19radix_merge_compareILb1ELb1EiNS0_19identity_decomposerEEEEEvT0_T1_T2_T3_T4_SL_jT5_PKSL_NS1_7vsmem_tE,"axG",@progbits,_ZN7rocprim17ROCPRIM_304000_NS6detail35device_block_merge_mergepath_kernelINS1_37wrapped_merge_sort_block_merge_configINS0_14default_configEiN2at4cuda3cub6detail10OpaqueTypeILi8EEEEEPiSC_PSA_SD_jNS1_19radix_merge_compareILb1ELb1EiNS0_19identity_decomposerEEEEEvT0_T1_T2_T3_T4_SL_jT5_PKSL_NS1_7vsmem_tE,comdat
.Lfunc_end81:
	.size	_ZN7rocprim17ROCPRIM_304000_NS6detail35device_block_merge_mergepath_kernelINS1_37wrapped_merge_sort_block_merge_configINS0_14default_configEiN2at4cuda3cub6detail10OpaqueTypeILi8EEEEEPiSC_PSA_SD_jNS1_19radix_merge_compareILb1ELb1EiNS0_19identity_decomposerEEEEEvT0_T1_T2_T3_T4_SL_jT5_PKSL_NS1_7vsmem_tE, .Lfunc_end81-_ZN7rocprim17ROCPRIM_304000_NS6detail35device_block_merge_mergepath_kernelINS1_37wrapped_merge_sort_block_merge_configINS0_14default_configEiN2at4cuda3cub6detail10OpaqueTypeILi8EEEEEPiSC_PSA_SD_jNS1_19radix_merge_compareILb1ELb1EiNS0_19identity_decomposerEEEEEvT0_T1_T2_T3_T4_SL_jT5_PKSL_NS1_7vsmem_tE
                                        ; -- End function
	.section	.AMDGPU.csdata,"",@progbits
; Kernel info:
; codeLenInByte = 3484
; NumSgprs: 35
; NumVgprs: 24
; NumAgprs: 0
; TotalNumVgprs: 24
; ScratchSize: 0
; MemoryBound: 1
; FloatMode: 240
; IeeeMode: 1
; LDSByteSize: 8208 bytes/workgroup (compile time only)
; SGPRBlocks: 4
; VGPRBlocks: 2
; NumSGPRsForWavesPerEU: 35
; NumVGPRsForWavesPerEU: 24
; AccumOffset: 24
; Occupancy: 7
; WaveLimiterHint : 1
; COMPUTE_PGM_RSRC2:SCRATCH_EN: 0
; COMPUTE_PGM_RSRC2:USER_SGPR: 6
; COMPUTE_PGM_RSRC2:TRAP_HANDLER: 0
; COMPUTE_PGM_RSRC2:TGID_X_EN: 1
; COMPUTE_PGM_RSRC2:TGID_Y_EN: 1
; COMPUTE_PGM_RSRC2:TGID_Z_EN: 1
; COMPUTE_PGM_RSRC2:TIDIG_COMP_CNT: 0
; COMPUTE_PGM_RSRC3_GFX90A:ACCUM_OFFSET: 5
; COMPUTE_PGM_RSRC3_GFX90A:TG_SPLIT: 0
	.section	.text._ZN7rocprim17ROCPRIM_304000_NS6detail33device_block_merge_oddeven_kernelINS1_37wrapped_merge_sort_block_merge_configINS0_14default_configEiN2at4cuda3cub6detail10OpaqueTypeILi8EEEEEPiSC_PSA_SD_jNS1_19radix_merge_compareILb1ELb1EiNS0_19identity_decomposerEEEEEvT0_T1_T2_T3_T4_SL_T5_,"axG",@progbits,_ZN7rocprim17ROCPRIM_304000_NS6detail33device_block_merge_oddeven_kernelINS1_37wrapped_merge_sort_block_merge_configINS0_14default_configEiN2at4cuda3cub6detail10OpaqueTypeILi8EEEEEPiSC_PSA_SD_jNS1_19radix_merge_compareILb1ELb1EiNS0_19identity_decomposerEEEEEvT0_T1_T2_T3_T4_SL_T5_,comdat
	.protected	_ZN7rocprim17ROCPRIM_304000_NS6detail33device_block_merge_oddeven_kernelINS1_37wrapped_merge_sort_block_merge_configINS0_14default_configEiN2at4cuda3cub6detail10OpaqueTypeILi8EEEEEPiSC_PSA_SD_jNS1_19radix_merge_compareILb1ELb1EiNS0_19identity_decomposerEEEEEvT0_T1_T2_T3_T4_SL_T5_ ; -- Begin function _ZN7rocprim17ROCPRIM_304000_NS6detail33device_block_merge_oddeven_kernelINS1_37wrapped_merge_sort_block_merge_configINS0_14default_configEiN2at4cuda3cub6detail10OpaqueTypeILi8EEEEEPiSC_PSA_SD_jNS1_19radix_merge_compareILb1ELb1EiNS0_19identity_decomposerEEEEEvT0_T1_T2_T3_T4_SL_T5_
	.globl	_ZN7rocprim17ROCPRIM_304000_NS6detail33device_block_merge_oddeven_kernelINS1_37wrapped_merge_sort_block_merge_configINS0_14default_configEiN2at4cuda3cub6detail10OpaqueTypeILi8EEEEEPiSC_PSA_SD_jNS1_19radix_merge_compareILb1ELb1EiNS0_19identity_decomposerEEEEEvT0_T1_T2_T3_T4_SL_T5_
	.p2align	8
	.type	_ZN7rocprim17ROCPRIM_304000_NS6detail33device_block_merge_oddeven_kernelINS1_37wrapped_merge_sort_block_merge_configINS0_14default_configEiN2at4cuda3cub6detail10OpaqueTypeILi8EEEEEPiSC_PSA_SD_jNS1_19radix_merge_compareILb1ELb1EiNS0_19identity_decomposerEEEEEvT0_T1_T2_T3_T4_SL_T5_,@function
_ZN7rocprim17ROCPRIM_304000_NS6detail33device_block_merge_oddeven_kernelINS1_37wrapped_merge_sort_block_merge_configINS0_14default_configEiN2at4cuda3cub6detail10OpaqueTypeILi8EEEEEPiSC_PSA_SD_jNS1_19radix_merge_compareILb1ELb1EiNS0_19identity_decomposerEEEEEvT0_T1_T2_T3_T4_SL_T5_: ; @_ZN7rocprim17ROCPRIM_304000_NS6detail33device_block_merge_oddeven_kernelINS1_37wrapped_merge_sort_block_merge_configINS0_14default_configEiN2at4cuda3cub6detail10OpaqueTypeILi8EEEEEPiSC_PSA_SD_jNS1_19radix_merge_compareILb1ELb1EiNS0_19identity_decomposerEEEEEvT0_T1_T2_T3_T4_SL_T5_
; %bb.0:
	s_load_dwordx4 s[16:19], s[4:5], 0x20
	s_waitcnt lgkmcnt(0)
	s_lshr_b32 s2, s16, 8
	s_cmp_lg_u32 s6, s2
	s_cselect_b64 s[0:1], -1, 0
	s_cmp_eq_u32 s6, s2
	s_cselect_b64 s[20:21], -1, 0
	s_lshl_b32 s22, s6, 8
	s_sub_i32 s2, s16, s22
	v_cmp_gt_u32_e64 s[2:3], s2, v0
	s_or_b64 s[0:1], s[0:1], s[2:3]
	s_and_saveexec_b64 s[8:9], s[0:1]
	s_cbranch_execz .LBB82_26
; %bb.1:
	s_load_dwordx8 s[8:15], s[4:5], 0x0
	s_mov_b32 s23, 0
	s_lshl_b64 s[0:1], s[22:23], 2
	v_lshlrev_b32_e32 v4, 3, v0
	v_lshlrev_b32_e32 v1, 2, v0
	s_waitcnt lgkmcnt(0)
	s_add_u32 s0, s8, s0
	s_addc_u32 s1, s9, s1
	s_lshl_b64 s[4:5], s[22:23], 3
	s_add_u32 s4, s12, s4
	s_addc_u32 s5, s13, s5
	global_load_dwordx2 v[2:3], v4, s[4:5]
	global_load_dword v6, v1, s[0:1]
	s_lshr_b32 s0, s17, 8
	s_sub_i32 s1, 0, s0
	s_and_b32 s1, s6, s1
	s_and_b32 s0, s1, s0
	s_lshl_b32 s23, s1, 8
	s_sub_i32 s6, 0, s17
	s_cmp_eq_u32 s0, 0
	s_cselect_b64 s[0:1], -1, 0
	s_and_b64 s[4:5], s[0:1], exec
	s_cselect_b32 s19, s17, s6
	s_add_i32 s19, s19, s23
	s_cmp_lt_u32 s19, s16
	v_add_u32_e32 v4, s22, v0
	s_cbranch_scc1 .LBB82_6
; %bb.2:
	s_and_b64 vcc, exec, s[20:21]
	s_cbranch_vccz .LBB82_7
; %bb.3:
	v_cmp_gt_u32_e32 vcc, s16, v4
	s_mov_b64 s[6:7], 0
	s_mov_b64 s[4:5], 0
                                        ; implicit-def: $vgpr0_vgpr1
	s_and_saveexec_b64 s[12:13], vcc
	s_cbranch_execz .LBB82_5
; %bb.4:
	v_mov_b32_e32 v5, 0
	v_lshlrev_b64 v[0:1], 3, v[4:5]
	v_mov_b32_e32 v7, s15
	v_add_co_u32_e32 v0, vcc, s14, v0
	v_addc_co_u32_e32 v1, vcc, v7, v1, vcc
	v_lshlrev_b64 v[8:9], 2, v[4:5]
	v_mov_b32_e32 v5, s11
	v_add_co_u32_e32 v8, vcc, s10, v8
	s_mov_b64 s[4:5], exec
	v_addc_co_u32_e32 v9, vcc, v5, v9, vcc
	s_waitcnt vmcnt(0)
	global_store_dword v[8:9], v6, off
.LBB82_5:
	s_or_b64 exec, exec, s[12:13]
	s_and_b64 vcc, exec, s[6:7]
	s_cbranch_vccnz .LBB82_8
	s_branch .LBB82_9
.LBB82_6:
	s_mov_b64 s[4:5], 0
                                        ; implicit-def: $vgpr0_vgpr1
	s_cbranch_execnz .LBB82_10
	s_branch .LBB82_24
.LBB82_7:
	s_mov_b64 s[4:5], 0
                                        ; implicit-def: $vgpr0_vgpr1
	s_cbranch_execz .LBB82_9
.LBB82_8:
	v_mov_b32_e32 v5, 0
	v_lshlrev_b64 v[0:1], 2, v[4:5]
	v_mov_b32_e32 v7, s11
	v_add_co_u32_e32 v0, vcc, s10, v0
	v_addc_co_u32_e32 v1, vcc, v7, v1, vcc
	s_waitcnt vmcnt(0)
	global_store_dword v[0:1], v6, off
	v_lshlrev_b64 v[0:1], 3, v[4:5]
	v_mov_b32_e32 v5, s15
	v_add_co_u32_e32 v0, vcc, s14, v0
	v_addc_co_u32_e32 v1, vcc, v5, v1, vcc
	s_or_b64 s[4:5], s[4:5], exec
.LBB82_9:
	s_branch .LBB82_24
.LBB82_10:
	s_min_u32 s12, s19, s16
	s_add_i32 s6, s12, s17
	s_min_u32 s13, s6, s16
	s_min_u32 s6, s23, s12
	s_add_i32 s23, s23, s12
	v_subrev_u32_e32 v0, s23, v4
	v_add_u32_e32 v4, s6, v0
	s_and_b64 vcc, exec, s[20:21]
	s_cbranch_vccz .LBB82_18
; %bb.11:
                                        ; implicit-def: $vgpr0_vgpr1
	s_and_saveexec_b64 s[6:7], s[2:3]
	s_cbranch_execz .LBB82_17
; %bb.12:
	s_cmp_ge_u32 s19, s13
	v_mov_b32_e32 v5, s12
	s_cbranch_scc1 .LBB82_16
; %bb.13:
	s_waitcnt vmcnt(0)
	v_and_b32_e32 v7, s18, v6
	s_mov_b64 s[2:3], 0
	v_mov_b32_e32 v8, s13
	v_mov_b32_e32 v5, s12
	;; [unrolled: 1-line block ×4, first 2 shown]
.LBB82_14:                              ; =>This Inner Loop Header: Depth=1
	v_add_u32_e32 v0, v5, v8
	v_lshrrev_b32_e32 v0, 1, v0
	v_lshlrev_b64 v[10:11], 2, v[0:1]
	v_add_co_u32_e32 v10, vcc, s8, v10
	v_addc_co_u32_e32 v11, vcc, v9, v11, vcc
	global_load_dword v10, v[10:11], off
	v_add_u32_e32 v11, 1, v0
	s_waitcnt vmcnt(0)
	v_and_b32_e32 v10, s18, v10
	v_cmp_gt_i32_e32 vcc, v10, v7
	v_cndmask_b32_e64 v12, 0, 1, vcc
	v_cmp_le_i32_e32 vcc, v7, v10
	v_cndmask_b32_e64 v10, 0, 1, vcc
	v_cndmask_b32_e64 v10, v10, v12, s[0:1]
	v_and_b32_e32 v10, 1, v10
	v_cmp_eq_u32_e32 vcc, 1, v10
	v_cndmask_b32_e32 v8, v0, v8, vcc
	v_cndmask_b32_e32 v5, v5, v11, vcc
	v_cmp_ge_u32_e32 vcc, v5, v8
	s_or_b64 s[2:3], vcc, s[2:3]
	s_andn2_b64 exec, exec, s[2:3]
	s_cbranch_execnz .LBB82_14
; %bb.15:
	s_or_b64 exec, exec, s[2:3]
.LBB82_16:
	v_add_u32_e32 v0, v5, v4
	v_mov_b32_e32 v1, 0
	v_lshlrev_b64 v[8:9], 2, v[0:1]
	v_mov_b32_e32 v5, s11
	v_add_co_u32_e32 v8, vcc, s10, v8
	v_addc_co_u32_e32 v9, vcc, v5, v9, vcc
	v_lshlrev_b64 v[0:1], 3, v[0:1]
	v_mov_b32_e32 v5, s15
	v_add_co_u32_e32 v0, vcc, s14, v0
	s_waitcnt vmcnt(0)
	global_store_dword v[8:9], v6, off
	v_addc_co_u32_e32 v1, vcc, v5, v1, vcc
	s_or_b64 s[4:5], s[4:5], exec
.LBB82_17:
	s_or_b64 exec, exec, s[6:7]
	s_branch .LBB82_24
.LBB82_18:
                                        ; implicit-def: $vgpr0_vgpr1
	s_cbranch_execz .LBB82_24
; %bb.19:
	s_cmp_ge_u32 s19, s13
	v_mov_b32_e32 v5, s12
	s_cbranch_scc1 .LBB82_23
; %bb.20:
	s_waitcnt vmcnt(0)
	v_and_b32_e32 v7, s18, v6
	s_mov_b64 s[2:3], 0
	v_mov_b32_e32 v8, s13
	v_mov_b32_e32 v5, s12
	;; [unrolled: 1-line block ×4, first 2 shown]
.LBB82_21:                              ; =>This Inner Loop Header: Depth=1
	v_add_u32_e32 v0, v5, v8
	v_lshrrev_b32_e32 v0, 1, v0
	v_lshlrev_b64 v[10:11], 2, v[0:1]
	v_add_co_u32_e32 v10, vcc, s8, v10
	v_addc_co_u32_e32 v11, vcc, v9, v11, vcc
	global_load_dword v10, v[10:11], off
	v_add_u32_e32 v11, 1, v0
	s_waitcnt vmcnt(0)
	v_and_b32_e32 v10, s18, v10
	v_cmp_gt_i32_e32 vcc, v10, v7
	v_cndmask_b32_e64 v12, 0, 1, vcc
	v_cmp_le_i32_e32 vcc, v7, v10
	v_cndmask_b32_e64 v10, 0, 1, vcc
	v_cndmask_b32_e64 v10, v10, v12, s[0:1]
	v_and_b32_e32 v10, 1, v10
	v_cmp_eq_u32_e32 vcc, 1, v10
	v_cndmask_b32_e32 v8, v0, v8, vcc
	v_cndmask_b32_e32 v5, v5, v11, vcc
	v_cmp_ge_u32_e32 vcc, v5, v8
	s_or_b64 s[2:3], vcc, s[2:3]
	s_andn2_b64 exec, exec, s[2:3]
	s_cbranch_execnz .LBB82_21
; %bb.22:
	s_or_b64 exec, exec, s[2:3]
.LBB82_23:
	v_add_u32_e32 v0, v5, v4
	v_mov_b32_e32 v1, 0
	v_lshlrev_b64 v[4:5], 2, v[0:1]
	v_mov_b32_e32 v7, s11
	v_add_co_u32_e32 v4, vcc, s10, v4
	v_addc_co_u32_e32 v5, vcc, v7, v5, vcc
	v_lshlrev_b64 v[0:1], 3, v[0:1]
	s_waitcnt vmcnt(0)
	global_store_dword v[4:5], v6, off
	v_mov_b32_e32 v4, s15
	v_add_co_u32_e32 v0, vcc, s14, v0
	v_addc_co_u32_e32 v1, vcc, v4, v1, vcc
	s_mov_b64 s[4:5], -1
.LBB82_24:
	s_and_b64 exec, exec, s[4:5]
	s_cbranch_execz .LBB82_26
; %bb.25:
	s_waitcnt vmcnt(1)
	global_store_dwordx2 v[0:1], v[2:3], off
.LBB82_26:
	s_endpgm
	.section	.rodata,"a",@progbits
	.p2align	6, 0x0
	.amdhsa_kernel _ZN7rocprim17ROCPRIM_304000_NS6detail33device_block_merge_oddeven_kernelINS1_37wrapped_merge_sort_block_merge_configINS0_14default_configEiN2at4cuda3cub6detail10OpaqueTypeILi8EEEEEPiSC_PSA_SD_jNS1_19radix_merge_compareILb1ELb1EiNS0_19identity_decomposerEEEEEvT0_T1_T2_T3_T4_SL_T5_
		.amdhsa_group_segment_fixed_size 0
		.amdhsa_private_segment_fixed_size 0
		.amdhsa_kernarg_size 44
		.amdhsa_user_sgpr_count 6
		.amdhsa_user_sgpr_private_segment_buffer 1
		.amdhsa_user_sgpr_dispatch_ptr 0
		.amdhsa_user_sgpr_queue_ptr 0
		.amdhsa_user_sgpr_kernarg_segment_ptr 1
		.amdhsa_user_sgpr_dispatch_id 0
		.amdhsa_user_sgpr_flat_scratch_init 0
		.amdhsa_user_sgpr_kernarg_preload_length 0
		.amdhsa_user_sgpr_kernarg_preload_offset 0
		.amdhsa_user_sgpr_private_segment_size 0
		.amdhsa_uses_dynamic_stack 0
		.amdhsa_system_sgpr_private_segment_wavefront_offset 0
		.amdhsa_system_sgpr_workgroup_id_x 1
		.amdhsa_system_sgpr_workgroup_id_y 0
		.amdhsa_system_sgpr_workgroup_id_z 0
		.amdhsa_system_sgpr_workgroup_info 0
		.amdhsa_system_vgpr_workitem_id 0
		.amdhsa_next_free_vgpr 13
		.amdhsa_next_free_sgpr 24
		.amdhsa_accum_offset 16
		.amdhsa_reserve_vcc 1
		.amdhsa_reserve_flat_scratch 0
		.amdhsa_float_round_mode_32 0
		.amdhsa_float_round_mode_16_64 0
		.amdhsa_float_denorm_mode_32 3
		.amdhsa_float_denorm_mode_16_64 3
		.amdhsa_dx10_clamp 1
		.amdhsa_ieee_mode 1
		.amdhsa_fp16_overflow 0
		.amdhsa_tg_split 0
		.amdhsa_exception_fp_ieee_invalid_op 0
		.amdhsa_exception_fp_denorm_src 0
		.amdhsa_exception_fp_ieee_div_zero 0
		.amdhsa_exception_fp_ieee_overflow 0
		.amdhsa_exception_fp_ieee_underflow 0
		.amdhsa_exception_fp_ieee_inexact 0
		.amdhsa_exception_int_div_zero 0
	.end_amdhsa_kernel
	.section	.text._ZN7rocprim17ROCPRIM_304000_NS6detail33device_block_merge_oddeven_kernelINS1_37wrapped_merge_sort_block_merge_configINS0_14default_configEiN2at4cuda3cub6detail10OpaqueTypeILi8EEEEEPiSC_PSA_SD_jNS1_19radix_merge_compareILb1ELb1EiNS0_19identity_decomposerEEEEEvT0_T1_T2_T3_T4_SL_T5_,"axG",@progbits,_ZN7rocprim17ROCPRIM_304000_NS6detail33device_block_merge_oddeven_kernelINS1_37wrapped_merge_sort_block_merge_configINS0_14default_configEiN2at4cuda3cub6detail10OpaqueTypeILi8EEEEEPiSC_PSA_SD_jNS1_19radix_merge_compareILb1ELb1EiNS0_19identity_decomposerEEEEEvT0_T1_T2_T3_T4_SL_T5_,comdat
.Lfunc_end82:
	.size	_ZN7rocprim17ROCPRIM_304000_NS6detail33device_block_merge_oddeven_kernelINS1_37wrapped_merge_sort_block_merge_configINS0_14default_configEiN2at4cuda3cub6detail10OpaqueTypeILi8EEEEEPiSC_PSA_SD_jNS1_19radix_merge_compareILb1ELb1EiNS0_19identity_decomposerEEEEEvT0_T1_T2_T3_T4_SL_T5_, .Lfunc_end82-_ZN7rocprim17ROCPRIM_304000_NS6detail33device_block_merge_oddeven_kernelINS1_37wrapped_merge_sort_block_merge_configINS0_14default_configEiN2at4cuda3cub6detail10OpaqueTypeILi8EEEEEPiSC_PSA_SD_jNS1_19radix_merge_compareILb1ELb1EiNS0_19identity_decomposerEEEEEvT0_T1_T2_T3_T4_SL_T5_
                                        ; -- End function
	.section	.AMDGPU.csdata,"",@progbits
; Kernel info:
; codeLenInByte = 880
; NumSgprs: 28
; NumVgprs: 13
; NumAgprs: 0
; TotalNumVgprs: 13
; ScratchSize: 0
; MemoryBound: 0
; FloatMode: 240
; IeeeMode: 1
; LDSByteSize: 0 bytes/workgroup (compile time only)
; SGPRBlocks: 3
; VGPRBlocks: 1
; NumSGPRsForWavesPerEU: 28
; NumVGPRsForWavesPerEU: 13
; AccumOffset: 16
; Occupancy: 8
; WaveLimiterHint : 0
; COMPUTE_PGM_RSRC2:SCRATCH_EN: 0
; COMPUTE_PGM_RSRC2:USER_SGPR: 6
; COMPUTE_PGM_RSRC2:TRAP_HANDLER: 0
; COMPUTE_PGM_RSRC2:TGID_X_EN: 1
; COMPUTE_PGM_RSRC2:TGID_Y_EN: 0
; COMPUTE_PGM_RSRC2:TGID_Z_EN: 0
; COMPUTE_PGM_RSRC2:TIDIG_COMP_CNT: 0
; COMPUTE_PGM_RSRC3_GFX90A:ACCUM_OFFSET: 3
; COMPUTE_PGM_RSRC3_GFX90A:TG_SPLIT: 0
	.section	.text._ZN7rocprim17ROCPRIM_304000_NS6detail26onesweep_histograms_kernelINS1_34wrapped_radix_sort_onesweep_configINS0_14default_configEiN2at4cuda3cub6detail10OpaqueTypeILi8EEEEELb1EPKimNS0_19identity_decomposerEEEvT1_PT2_SG_SG_T3_jj,"axG",@progbits,_ZN7rocprim17ROCPRIM_304000_NS6detail26onesweep_histograms_kernelINS1_34wrapped_radix_sort_onesweep_configINS0_14default_configEiN2at4cuda3cub6detail10OpaqueTypeILi8EEEEELb1EPKimNS0_19identity_decomposerEEEvT1_PT2_SG_SG_T3_jj,comdat
	.protected	_ZN7rocprim17ROCPRIM_304000_NS6detail26onesweep_histograms_kernelINS1_34wrapped_radix_sort_onesweep_configINS0_14default_configEiN2at4cuda3cub6detail10OpaqueTypeILi8EEEEELb1EPKimNS0_19identity_decomposerEEEvT1_PT2_SG_SG_T3_jj ; -- Begin function _ZN7rocprim17ROCPRIM_304000_NS6detail26onesweep_histograms_kernelINS1_34wrapped_radix_sort_onesweep_configINS0_14default_configEiN2at4cuda3cub6detail10OpaqueTypeILi8EEEEELb1EPKimNS0_19identity_decomposerEEEvT1_PT2_SG_SG_T3_jj
	.globl	_ZN7rocprim17ROCPRIM_304000_NS6detail26onesweep_histograms_kernelINS1_34wrapped_radix_sort_onesweep_configINS0_14default_configEiN2at4cuda3cub6detail10OpaqueTypeILi8EEEEELb1EPKimNS0_19identity_decomposerEEEvT1_PT2_SG_SG_T3_jj
	.p2align	8
	.type	_ZN7rocprim17ROCPRIM_304000_NS6detail26onesweep_histograms_kernelINS1_34wrapped_radix_sort_onesweep_configINS0_14default_configEiN2at4cuda3cub6detail10OpaqueTypeILi8EEEEELb1EPKimNS0_19identity_decomposerEEEvT1_PT2_SG_SG_T3_jj,@function
_ZN7rocprim17ROCPRIM_304000_NS6detail26onesweep_histograms_kernelINS1_34wrapped_radix_sort_onesweep_configINS0_14default_configEiN2at4cuda3cub6detail10OpaqueTypeILi8EEEEELb1EPKimNS0_19identity_decomposerEEEvT1_PT2_SG_SG_T3_jj: ; @_ZN7rocprim17ROCPRIM_304000_NS6detail26onesweep_histograms_kernelINS1_34wrapped_radix_sort_onesweep_configINS0_14default_configEiN2at4cuda3cub6detail10OpaqueTypeILi8EEEEELb1EPKimNS0_19identity_decomposerEEEvT1_PT2_SG_SG_T3_jj
; %bb.0:
	s_load_dwordx8 s[12:19], s[4:5], 0x0
	s_load_dwordx2 s[20:21], s[4:5], 0x24
	s_mov_b32 s7, 0
	s_mul_i32 s1, s6, 0x3000
	s_mul_hi_u32 s0, s6, 0x3000
	s_waitcnt lgkmcnt(0)
	v_pk_mov_b32 v[2:3], s[18:19], s[18:19] op_sel:[0,1]
	v_cmp_ge_u64_e32 vcc, s[6:7], v[2:3]
	s_add_u32 s12, s12, s1
	s_addc_u32 s13, s13, s0
	s_mov_b64 s[0:1], -1
	v_lshlrev_b32_e32 v1, 2, v0
	s_cbranch_vccz .LBB83_52
; %bb.1:
	s_mul_i32 s0, s18, 0xfffff400
	s_add_i32 s16, s0, s16
	v_mov_b32_e32 v2, s13
	v_add_co_u32_e32 v8, vcc, s12, v1
	v_addc_co_u32_e32 v9, vcc, 0, v2, vcc
	v_cmp_gt_u32_e64 s[10:11], s16, v0
                                        ; implicit-def: $vgpr2_vgpr3_vgpr4_vgpr5_vgpr6_vgpr7
	s_and_saveexec_b64 s[0:1], s[10:11]
	s_cbranch_execz .LBB83_3
; %bb.2:
	global_load_dword v2, v[8:9], off
.LBB83_3:
	s_or_b64 exec, exec, s[0:1]
	v_or_b32_e32 v10, 0x200, v0
	v_cmp_gt_u32_e64 s[8:9], s16, v10
	s_and_saveexec_b64 s[0:1], s[8:9]
	s_cbranch_execz .LBB83_5
; %bb.4:
	global_load_dword v3, v[8:9], off offset:2048
.LBB83_5:
	s_or_b64 exec, exec, s[0:1]
	v_or_b32_e32 v10, 0x400, v0
	v_cmp_gt_u32_e64 s[6:7], s16, v10
	s_and_saveexec_b64 s[0:1], s[6:7]
	s_cbranch_execz .LBB83_7
; %bb.6:
	v_add_co_u32_e32 v10, vcc, 0x1000, v8
	v_addc_co_u32_e32 v11, vcc, 0, v9, vcc
	global_load_dword v4, v[10:11], off
.LBB83_7:
	s_or_b64 exec, exec, s[0:1]
	v_or_b32_e32 v10, 0x600, v0
	v_cmp_gt_u32_e64 s[4:5], s16, v10
	s_and_saveexec_b64 s[0:1], s[4:5]
	s_cbranch_execz .LBB83_9
; %bb.8:
	v_add_co_u32_e32 v10, vcc, 0x1000, v8
	v_addc_co_u32_e32 v11, vcc, 0, v9, vcc
	global_load_dword v5, v[10:11], off offset:2048
.LBB83_9:
	s_or_b64 exec, exec, s[0:1]
	v_or_b32_e32 v10, 0x800, v0
	v_cmp_gt_u32_e64 s[2:3], s16, v10
	s_and_saveexec_b64 s[0:1], s[2:3]
	s_cbranch_execz .LBB83_11
; %bb.10:
	v_add_co_u32_e32 v10, vcc, 0x2000, v8
	v_addc_co_u32_e32 v11, vcc, 0, v9, vcc
	global_load_dword v6, v[10:11], off
.LBB83_11:
	s_or_b64 exec, exec, s[0:1]
	v_or_b32_e32 v10, 0xa00, v0
	v_cmp_gt_u32_e64 s[0:1], s16, v10
	s_and_saveexec_b64 s[16:17], s[0:1]
	s_cbranch_execz .LBB83_13
; %bb.12:
	v_add_co_u32_e32 v8, vcc, 0x2000, v8
	v_addc_co_u32_e32 v9, vcc, 0, v9, vcc
	global_load_dword v7, v[8:9], off offset:2048
.LBB83_13:
	s_or_b64 exec, exec, s[16:17]
	v_mov_b32_e32 v8, 0
	s_mov_b64 s[16:17], -1
	ds_write2st64_b32 v1, v8, v8 offset1:8
	ds_write2st64_b32 v1, v8, v8 offset0:16 offset1:24
	s_and_saveexec_b64 s[18:19], s[16:17]
	s_cbranch_execz .LBB83_15
; %bb.14:
	ds_write_b32 v1, v8 offset:8192
.LBB83_15:
	s_or_b64 exec, exec, s[18:19]
	s_and_saveexec_b64 s[18:19], s[16:17]
	s_cbranch_execz .LBB83_17
; %bb.16:
	v_mov_b32_e32 v8, 0
	ds_write_b32 v1, v8 offset:10240
.LBB83_17:
	s_or_b64 exec, exec, s[18:19]
	v_cmp_gt_u32_e64 s[16:17], 7, 6
	v_cmp_gt_u32_e64 s[22:23], 7, 5
	s_and_saveexec_b64 s[18:19], s[22:23]
	s_cbranch_execz .LBB83_19
; %bb.18:
	v_mov_b32_e32 v8, 0
	ds_write_b32 v1, v8 offset:12288
.LBB83_19:
	s_or_b64 exec, exec, s[18:19]
	s_and_saveexec_b64 s[18:19], s[16:17]
	s_cbranch_execz .LBB83_21
; %bb.20:
	v_mov_b32_e32 v8, 0
	ds_write_b32 v1, v8 offset:14336
.LBB83_21:
	s_or_b64 exec, exec, s[18:19]
	s_cmp_gt_u32 s21, s20
	s_cselect_b64 s[16:17], -1, 0
	s_cmp_le_u32 s21, s20
	s_waitcnt lgkmcnt(0)
	s_barrier
	s_cbranch_scc1 .LBB83_46
; %bb.22:
	s_waitcnt vmcnt(0)
	v_xor_b32_e32 v8, 0x7fffffff, v2
	v_and_b32_e32 v2, 3, v0
	v_lshlrev_b32_e32 v2, 2, v2
	s_sub_i32 s22, s21, s20
	v_mov_b32_e32 v9, 1
	s_mov_b32 s23, s22
	v_mov_b32_e32 v10, v2
	s_mov_b32 s24, s20
	s_branch .LBB83_24
.LBB83_23:                              ;   in Loop: Header=BB83_24 Depth=1
	s_or_b64 exec, exec, s[18:19]
	s_add_i32 s24, s24, 8
	s_add_i32 s23, s23, -8
	s_cmp_lt_u32 s24, s21
	v_add_u32_e32 v10, 0x1000, v10
	s_cbranch_scc0 .LBB83_26
.LBB83_24:                              ; =>This Inner Loop Header: Depth=1
	s_and_saveexec_b64 s[18:19], s[10:11]
	s_cbranch_execz .LBB83_23
; %bb.25:                               ;   in Loop: Header=BB83_24 Depth=1
	s_min_u32 s25, s23, 8
	v_lshrrev_b32_e32 v11, s24, v8
	v_bfe_u32 v11, v11, 0, s25
	v_lshl_add_u32 v11, v11, 4, v10
	ds_add_u32 v11, v9
	s_branch .LBB83_23
.LBB83_26:
	v_xor_b32_e32 v3, 0x7fffffff, v3
	v_mov_b32_e32 v8, 1
	s_mov_b32 s18, s22
	v_mov_b32_e32 v9, v2
	s_mov_b32 s19, s20
	s_branch .LBB83_28
.LBB83_27:                              ;   in Loop: Header=BB83_28 Depth=1
	s_or_b64 exec, exec, s[10:11]
	s_add_i32 s19, s19, 8
	s_add_i32 s18, s18, -8
	s_cmp_lt_u32 s19, s21
	v_add_u32_e32 v9, 0x1000, v9
	s_cbranch_scc0 .LBB83_30
.LBB83_28:                              ; =>This Inner Loop Header: Depth=1
	s_and_saveexec_b64 s[10:11], s[8:9]
	s_cbranch_execz .LBB83_27
; %bb.29:                               ;   in Loop: Header=BB83_28 Depth=1
	s_min_u32 s23, s18, 8
	v_lshrrev_b32_e32 v10, s19, v3
	v_bfe_u32 v10, v10, 0, s23
	v_lshl_add_u32 v10, v10, 4, v9
	ds_add_u32 v10, v8
	s_branch .LBB83_27
.LBB83_30:
	v_xor_b32_e32 v3, 0x7fffffff, v4
	;; [unrolled: 24-line block ×5, first 2 shown]
	v_mov_b32_e32 v4, 1
	s_mov_b32 s4, s20
	s_branch .LBB83_44
.LBB83_43:                              ;   in Loop: Header=BB83_44 Depth=1
	s_or_b64 exec, exec, s[2:3]
	s_add_i32 s4, s4, 8
	s_add_i32 s22, s22, -8
	s_cmp_lt_u32 s4, s21
	v_add_u32_e32 v2, 0x1000, v2
	s_cbranch_scc0 .LBB83_46
.LBB83_44:                              ; =>This Inner Loop Header: Depth=1
	s_and_saveexec_b64 s[2:3], s[0:1]
	s_cbranch_execz .LBB83_43
; %bb.45:                               ;   in Loop: Header=BB83_44 Depth=1
	s_min_u32 s5, s22, 8
	v_lshrrev_b32_e32 v5, s4, v3
	v_bfe_u32 v5, v5, 0, s5
	v_lshl_add_u32 v5, v5, 4, v2
	ds_add_u32 v5, v4
	s_branch .LBB83_43
.LBB83_46:
	s_and_b64 vcc, exec, s[16:17]
	s_waitcnt lgkmcnt(0)
	s_barrier
	s_cbranch_vccz .LBB83_51
; %bb.47:
	s_movk_i32 s0, 0x100
	v_cmp_gt_u32_e32 vcc, s0, v0
	s_waitcnt vmcnt(0)
	v_lshlrev_b32_e32 v4, 4, v0
	v_mov_b32_e32 v3, 0
	v_mov_b32_e32 v2, v0
	s_mov_b32 s4, s20
	s_branch .LBB83_49
.LBB83_48:                              ;   in Loop: Header=BB83_49 Depth=1
	s_or_b64 exec, exec, s[2:3]
	s_add_i32 s4, s4, 8
	v_add_u32_e32 v2, 0x100, v2
	s_cmp_lt_u32 s4, s21
	v_add_u32_e32 v4, 0x1000, v4
	s_cbranch_scc0 .LBB83_51
.LBB83_49:                              ; =>This Inner Loop Header: Depth=1
	s_and_saveexec_b64 s[2:3], vcc
	s_cbranch_execz .LBB83_48
; %bb.50:                               ;   in Loop: Header=BB83_49 Depth=1
	ds_read2_b32 v[6:7], v4 offset1:1
	ds_read2_b32 v[8:9], v4 offset0:2 offset1:3
	v_lshlrev_b64 v[10:11], 3, v[2:3]
	v_mov_b32_e32 v5, s15
	s_waitcnt lgkmcnt(1)
	v_add_u32_e32 v6, v7, v6
	s_waitcnt lgkmcnt(0)
	v_add3_u32 v6, v6, v8, v9
	v_add_co_u32_e64 v8, s[0:1], s14, v10
	v_addc_co_u32_e64 v9, s[0:1], v5, v11, s[0:1]
	v_mov_b32_e32 v7, v3
	global_atomic_add_x2 v[8:9], v[6:7], off
	s_branch .LBB83_48
.LBB83_51:
	s_mov_b64 s[0:1], 0
.LBB83_52:
	s_and_b64 vcc, exec, s[0:1]
	s_cbranch_vccz .LBB83_92
; %bb.53:
	s_waitcnt vmcnt(0)
	v_mov_b32_e32 v2, s13
	v_add_co_u32_e32 v5, vcc, s12, v1
	v_addc_co_u32_e32 v6, vcc, 0, v2, vcc
	v_add_co_u32_e32 v2, vcc, 0x1000, v5
	v_addc_co_u32_e32 v3, vcc, 0, v6, vcc
	v_add_co_u32_e32 v10, vcc, 0x2000, v5
	global_load_dword v4, v1, s[12:13] offset:2048
	v_addc_co_u32_e32 v11, vcc, 0, v6, vcc
	global_load_dword v5, v[2:3], off
	global_load_dword v6, v[2:3], off offset:2048
	global_load_dword v7, v[10:11], off
	global_load_dword v9, v1, s[12:13]
	global_load_dword v8, v[10:11], off offset:2048
	s_cmp_eq_u32 s20, 0
	s_cselect_b64 s[0:1], -1, 0
	s_cmp_eq_u32 s21, 32
	s_cselect_b64 s[2:3], -1, 0
	s_and_b64 s[0:1], s[0:1], s[2:3]
	s_mov_b64 s[2:3], -1
	s_and_b64 vcc, exec, s[0:1]
	v_cmp_gt_u32_e64 s[0:1], 7, 4
	v_cmp_gt_u32_e64 s[4:5], 7, 3
	s_cbranch_vccnz .LBB83_81
; %bb.54:
	v_mov_b32_e32 v2, 0
	ds_write2st64_b32 v1, v2, v2 offset1:8
	ds_write2st64_b32 v1, v2, v2 offset0:16 offset1:24
	s_and_saveexec_b64 s[2:3], s[4:5]
	s_cbranch_execz .LBB83_56
; %bb.55:
	ds_write_b32 v1, v2 offset:8192
.LBB83_56:
	s_or_b64 exec, exec, s[2:3]
	s_and_saveexec_b64 s[2:3], s[0:1]
	s_cbranch_execz .LBB83_58
; %bb.57:
	v_mov_b32_e32 v2, 0
	ds_write_b32 v1, v2 offset:10240
.LBB83_58:
	s_or_b64 exec, exec, s[2:3]
	v_cmp_gt_u32_e64 s[0:1], 7, 6
	v_cmp_gt_u32_e64 s[4:5], 7, 5
	s_and_saveexec_b64 s[2:3], s[4:5]
	s_cbranch_execz .LBB83_60
; %bb.59:
	v_mov_b32_e32 v2, 0
	ds_write_b32 v1, v2 offset:12288
.LBB83_60:
	s_or_b64 exec, exec, s[2:3]
	s_and_saveexec_b64 s[2:3], s[0:1]
	s_cbranch_execz .LBB83_62
; %bb.61:
	v_mov_b32_e32 v2, 0
	ds_write_b32 v1, v2 offset:14336
.LBB83_62:
	s_or_b64 exec, exec, s[2:3]
	s_cmp_gt_u32 s21, s20
	s_cselect_b64 s[0:1], -1, 0
	s_cmp_le_u32 s21, s20
	s_waitcnt lgkmcnt(0)
	s_barrier
	s_cbranch_scc1 .LBB83_75
; %bb.63:
	v_and_b32_e32 v2, 3, v0
	v_lshlrev_b32_e32 v2, 2, v2
	s_sub_i32 s2, s21, s20
	s_waitcnt vmcnt(1)
	v_xor_b32_e32 v3, 0x7fffffff, v9
	v_mov_b32_e32 v10, 1
	s_mov_b32 s3, s2
	v_mov_b32_e32 v11, v2
	s_mov_b32 s4, s20
.LBB83_64:                              ; =>This Inner Loop Header: Depth=1
	s_min_u32 s5, s3, 8
	v_lshrrev_b32_e32 v12, s4, v3
	v_bfe_u32 v12, v12, 0, s5
	v_lshl_add_u32 v12, v12, 4, v11
	ds_add_u32 v12, v10
	s_add_i32 s4, s4, 8
	s_add_i32 s3, s3, -8
	s_cmp_lt_u32 s4, s21
	v_add_u32_e32 v11, 0x1000, v11
	s_cbranch_scc1 .LBB83_64
; %bb.65:
	v_xor_b32_e32 v3, 0x7fffffff, v4
	v_mov_b32_e32 v10, 1
	s_mov_b32 s3, s2
	v_mov_b32_e32 v11, v2
	s_mov_b32 s4, s20
.LBB83_66:                              ; =>This Inner Loop Header: Depth=1
	s_min_u32 s5, s3, 8
	v_lshrrev_b32_e32 v12, s4, v3
	v_bfe_u32 v12, v12, 0, s5
	v_lshl_add_u32 v12, v12, 4, v11
	ds_add_u32 v12, v10
	s_add_i32 s4, s4, 8
	s_add_i32 s3, s3, -8
	s_cmp_lt_u32 s4, s21
	v_add_u32_e32 v11, 0x1000, v11
	s_cbranch_scc1 .LBB83_66
; %bb.67:
	;; [unrolled: 17-line block ×5, first 2 shown]
	s_waitcnt vmcnt(0)
	v_xor_b32_e32 v3, 0x7fffffff, v8
	v_mov_b32_e32 v10, 1
	s_mov_b32 s3, s20
.LBB83_74:                              ; =>This Inner Loop Header: Depth=1
	s_min_u32 s4, s2, 8
	v_lshrrev_b32_e32 v11, s3, v3
	v_bfe_u32 v11, v11, 0, s4
	v_lshl_add_u32 v11, v11, 4, v2
	ds_add_u32 v11, v10
	s_add_i32 s3, s3, 8
	s_add_i32 s2, s2, -8
	s_cmp_lt_u32 s3, s21
	v_add_u32_e32 v2, 0x1000, v2
	s_cbranch_scc1 .LBB83_74
.LBB83_75:
	s_and_b64 vcc, exec, s[0:1]
	s_waitcnt lgkmcnt(0)
	s_barrier
	s_cbranch_vccz .LBB83_80
; %bb.76:
	s_movk_i32 s0, 0x100
	v_cmp_gt_u32_e32 vcc, s0, v0
	v_lshlrev_b32_e32 v10, 4, v0
	v_mov_b32_e32 v3, 0
	v_mov_b32_e32 v2, v0
	s_branch .LBB83_78
.LBB83_77:                              ;   in Loop: Header=BB83_78 Depth=1
	s_or_b64 exec, exec, s[2:3]
	s_add_i32 s20, s20, 8
	v_add_u32_e32 v2, 0x100, v2
	s_cmp_ge_u32 s20, s21
	v_add_u32_e32 v10, 0x1000, v10
	s_cbranch_scc1 .LBB83_80
.LBB83_78:                              ; =>This Inner Loop Header: Depth=1
	s_and_saveexec_b64 s[2:3], vcc
	s_cbranch_execz .LBB83_77
; %bb.79:                               ;   in Loop: Header=BB83_78 Depth=1
	ds_read2_b32 v[12:13], v10 offset1:1
	ds_read2_b32 v[14:15], v10 offset0:2 offset1:3
	v_lshlrev_b64 v[16:17], 3, v[2:3]
	v_mov_b32_e32 v11, s15
	s_waitcnt lgkmcnt(1)
	v_add_u32_e32 v12, v13, v12
	s_waitcnt lgkmcnt(0)
	v_add3_u32 v12, v12, v14, v15
	v_add_co_u32_e64 v14, s[0:1], s14, v16
	v_addc_co_u32_e64 v15, s[0:1], v11, v17, s[0:1]
	v_mov_b32_e32 v13, v3
	global_atomic_add_x2 v[14:15], v[12:13], off
	s_branch .LBB83_77
.LBB83_80:
	s_mov_b64 s[2:3], 0
.LBB83_81:
	s_and_b64 vcc, exec, s[2:3]
	s_cbranch_vccz .LBB83_92
; %bb.82:
	v_mov_b32_e32 v2, 0
	v_cmp_gt_u32_e64 s[0:1], 7, 4
	v_cmp_gt_u32_e64 s[4:5], 7, 3
	ds_write2st64_b32 v1, v2, v2 offset1:8
	ds_write2st64_b32 v1, v2, v2 offset0:16 offset1:24
	s_and_saveexec_b64 s[2:3], s[4:5]
	s_cbranch_execz .LBB83_84
; %bb.83:
	ds_write_b32 v1, v2 offset:8192
.LBB83_84:
	s_or_b64 exec, exec, s[2:3]
	s_and_saveexec_b64 s[2:3], s[0:1]
	s_cbranch_execz .LBB83_86
; %bb.85:
	v_mov_b32_e32 v2, 0
	ds_write_b32 v1, v2 offset:10240
.LBB83_86:
	s_or_b64 exec, exec, s[2:3]
	v_cmp_gt_u32_e64 s[0:1], 7, 6
	v_cmp_gt_u32_e64 s[4:5], 7, 5
	s_and_saveexec_b64 s[2:3], s[4:5]
	s_cbranch_execz .LBB83_88
; %bb.87:
	v_mov_b32_e32 v2, 0
	ds_write_b32 v1, v2 offset:12288
.LBB83_88:
	s_or_b64 exec, exec, s[2:3]
	s_and_saveexec_b64 s[2:3], s[0:1]
	s_cbranch_execz .LBB83_90
; %bb.89:
	v_mov_b32_e32 v2, 0
	ds_write_b32 v1, v2 offset:14336
.LBB83_90:
	s_or_b64 exec, exec, s[2:3]
	s_waitcnt vmcnt(1)
	v_xor_b32_e32 v1, 0x7fffffff, v9
	v_xor_b32_e32 v2, 0x7fffffff, v4
	v_xor_b32_e32 v3, 0x7fffffff, v5
	v_xor_b32_e32 v4, 0x7fffffff, v6
	v_xor_b32_e32 v5, 0x7fffffff, v7
	s_waitcnt vmcnt(0)
	v_xor_b32_e32 v6, 0x7fffffff, v8
	v_and_b32_e32 v7, 3, v0
	v_lshlrev_b32_e32 v8, 2, v1
	s_movk_i32 s0, 0x3fc
	v_and_or_b32 v8, v8, s0, v7
	v_lshlrev_b32_e32 v8, 2, v8
	v_mov_b32_e32 v9, 1
	s_waitcnt lgkmcnt(0)
	s_barrier
	ds_add_u32 v8, v9
	v_bfe_u32 v8, v1, 8, 8
	v_lshl_or_b32 v8, v8, 2, v7
	v_lshlrev_b32_e32 v8, 2, v8
	ds_add_u32 v8, v9 offset:4096
	v_bfe_u32 v8, v1, 16, 8
	v_lshl_or_b32 v8, v8, 2, v7
	v_lshrrev_b32_e32 v1, 24, v1
	v_lshlrev_b32_e32 v8, 2, v8
	v_lshl_or_b32 v1, v1, 2, v7
	ds_add_u32 v8, v9 offset:8192
	v_lshlrev_b32_e32 v1, 2, v1
	ds_add_u32 v1, v9 offset:12288
	v_lshlrev_b32_e32 v1, 2, v2
	v_and_or_b32 v1, v1, s0, v7
	v_lshlrev_b32_e32 v1, 2, v1
	ds_add_u32 v1, v9
	v_bfe_u32 v1, v2, 8, 8
	v_lshl_or_b32 v1, v1, 2, v7
	v_lshlrev_b32_e32 v1, 2, v1
	ds_add_u32 v1, v9 offset:4096
	v_bfe_u32 v1, v2, 16, 8
	v_lshl_or_b32 v1, v1, 2, v7
	v_lshlrev_b32_e32 v1, 2, v1
	ds_add_u32 v1, v9 offset:8192
	v_lshrrev_b32_e32 v1, 24, v2
	v_lshl_or_b32 v1, v1, 2, v7
	v_lshlrev_b32_e32 v1, 2, v1
	ds_add_u32 v1, v9 offset:12288
	v_lshlrev_b32_e32 v1, 2, v3
	v_and_or_b32 v1, v1, s0, v7
	v_lshlrev_b32_e32 v1, 2, v1
	ds_add_u32 v1, v9
	v_bfe_u32 v1, v3, 8, 8
	v_lshl_or_b32 v1, v1, 2, v7
	v_lshlrev_b32_e32 v1, 2, v1
	ds_add_u32 v1, v9 offset:4096
	v_bfe_u32 v1, v3, 16, 8
	v_lshl_or_b32 v1, v1, 2, v7
	v_lshlrev_b32_e32 v1, 2, v1
	ds_add_u32 v1, v9 offset:8192
	v_lshrrev_b32_e32 v1, 24, v3
	v_lshl_or_b32 v1, v1, 2, v7
	;; [unrolled: 16-line block ×5, first 2 shown]
	v_lshlrev_b32_e32 v1, 2, v1
	ds_add_u32 v1, v9 offset:12288
	s_movk_i32 s0, 0x100
	v_cmp_gt_u32_e32 vcc, s0, v0
	s_waitcnt lgkmcnt(0)
	s_barrier
	s_and_saveexec_b64 s[0:1], vcc
	s_cbranch_execz .LBB83_92
; %bb.91:
	v_lshlrev_b32_e32 v6, 4, v0
	ds_read2_b32 v[2:3], v6 offset1:1
	ds_read2_b32 v[4:5], v6 offset0:2 offset1:3
	v_lshlrev_b32_e32 v7, 3, v0
	v_mov_b32_e32 v1, 0
	v_add_u32_e32 v8, 0x1000, v6
	s_waitcnt lgkmcnt(1)
	v_add_u32_e32 v0, v3, v2
	s_waitcnt lgkmcnt(0)
	v_add3_u32 v0, v0, v4, v5
	global_atomic_add_x2 v7, v[0:1], s[14:15]
	v_add_u32_e32 v0, 0x1008, v6
	ds_read2_b32 v[2:3], v8 offset1:1
	ds_read2_b32 v[4:5], v0 offset1:1
	v_or_b32_e32 v8, 0x2000, v6
	v_or_b32_e32 v9, 0x2008, v6
	s_waitcnt lgkmcnt(1)
	v_add_u32_e32 v0, v3, v2
	s_waitcnt lgkmcnt(0)
	v_add3_u32 v0, v0, v4, v5
	global_atomic_add_x2 v7, v[0:1], s[14:15] offset:2048
	ds_read2_b32 v[2:3], v8 offset1:1
	ds_read2_b32 v[4:5], v9 offset1:1
	v_or_b32_e32 v8, 0x1000, v7
	v_add_u32_e32 v9, 0x3000, v6
	v_add_u32_e32 v6, 0x3008, v6
	s_waitcnt lgkmcnt(1)
	v_add_u32_e32 v0, v3, v2
	s_waitcnt lgkmcnt(0)
	v_add3_u32 v0, v0, v4, v5
	global_atomic_add_x2 v8, v[0:1], s[14:15]
	ds_read2_b32 v[2:3], v9 offset1:1
	ds_read2_b32 v[4:5], v6 offset1:1
	s_waitcnt lgkmcnt(1)
	v_add_u32_e32 v0, v3, v2
	s_waitcnt lgkmcnt(0)
	v_add3_u32 v0, v0, v4, v5
	v_or_b32_e32 v2, 0x1800, v7
	global_atomic_add_x2 v2, v[0:1], s[14:15]
.LBB83_92:
	s_endpgm
	.section	.rodata,"a",@progbits
	.p2align	6, 0x0
	.amdhsa_kernel _ZN7rocprim17ROCPRIM_304000_NS6detail26onesweep_histograms_kernelINS1_34wrapped_radix_sort_onesweep_configINS0_14default_configEiN2at4cuda3cub6detail10OpaqueTypeILi8EEEEELb1EPKimNS0_19identity_decomposerEEEvT1_PT2_SG_SG_T3_jj
		.amdhsa_group_segment_fixed_size 16384
		.amdhsa_private_segment_fixed_size 0
		.amdhsa_kernarg_size 44
		.amdhsa_user_sgpr_count 6
		.amdhsa_user_sgpr_private_segment_buffer 1
		.amdhsa_user_sgpr_dispatch_ptr 0
		.amdhsa_user_sgpr_queue_ptr 0
		.amdhsa_user_sgpr_kernarg_segment_ptr 1
		.amdhsa_user_sgpr_dispatch_id 0
		.amdhsa_user_sgpr_flat_scratch_init 0
		.amdhsa_user_sgpr_kernarg_preload_length 0
		.amdhsa_user_sgpr_kernarg_preload_offset 0
		.amdhsa_user_sgpr_private_segment_size 0
		.amdhsa_uses_dynamic_stack 0
		.amdhsa_system_sgpr_private_segment_wavefront_offset 0
		.amdhsa_system_sgpr_workgroup_id_x 1
		.amdhsa_system_sgpr_workgroup_id_y 0
		.amdhsa_system_sgpr_workgroup_id_z 0
		.amdhsa_system_sgpr_workgroup_info 0
		.amdhsa_system_vgpr_workitem_id 0
		.amdhsa_next_free_vgpr 18
		.amdhsa_next_free_sgpr 26
		.amdhsa_accum_offset 20
		.amdhsa_reserve_vcc 1
		.amdhsa_reserve_flat_scratch 0
		.amdhsa_float_round_mode_32 0
		.amdhsa_float_round_mode_16_64 0
		.amdhsa_float_denorm_mode_32 3
		.amdhsa_float_denorm_mode_16_64 3
		.amdhsa_dx10_clamp 1
		.amdhsa_ieee_mode 1
		.amdhsa_fp16_overflow 0
		.amdhsa_tg_split 0
		.amdhsa_exception_fp_ieee_invalid_op 0
		.amdhsa_exception_fp_denorm_src 0
		.amdhsa_exception_fp_ieee_div_zero 0
		.amdhsa_exception_fp_ieee_overflow 0
		.amdhsa_exception_fp_ieee_underflow 0
		.amdhsa_exception_fp_ieee_inexact 0
		.amdhsa_exception_int_div_zero 0
	.end_amdhsa_kernel
	.section	.text._ZN7rocprim17ROCPRIM_304000_NS6detail26onesweep_histograms_kernelINS1_34wrapped_radix_sort_onesweep_configINS0_14default_configEiN2at4cuda3cub6detail10OpaqueTypeILi8EEEEELb1EPKimNS0_19identity_decomposerEEEvT1_PT2_SG_SG_T3_jj,"axG",@progbits,_ZN7rocprim17ROCPRIM_304000_NS6detail26onesweep_histograms_kernelINS1_34wrapped_radix_sort_onesweep_configINS0_14default_configEiN2at4cuda3cub6detail10OpaqueTypeILi8EEEEELb1EPKimNS0_19identity_decomposerEEEvT1_PT2_SG_SG_T3_jj,comdat
.Lfunc_end83:
	.size	_ZN7rocprim17ROCPRIM_304000_NS6detail26onesweep_histograms_kernelINS1_34wrapped_radix_sort_onesweep_configINS0_14default_configEiN2at4cuda3cub6detail10OpaqueTypeILi8EEEEELb1EPKimNS0_19identity_decomposerEEEvT1_PT2_SG_SG_T3_jj, .Lfunc_end83-_ZN7rocprim17ROCPRIM_304000_NS6detail26onesweep_histograms_kernelINS1_34wrapped_radix_sort_onesweep_configINS0_14default_configEiN2at4cuda3cub6detail10OpaqueTypeILi8EEEEELb1EPKimNS0_19identity_decomposerEEEvT1_PT2_SG_SG_T3_jj
                                        ; -- End function
	.section	.AMDGPU.csdata,"",@progbits
; Kernel info:
; codeLenInByte = 3372
; NumSgprs: 30
; NumVgprs: 18
; NumAgprs: 0
; TotalNumVgprs: 18
; ScratchSize: 0
; MemoryBound: 0
; FloatMode: 240
; IeeeMode: 1
; LDSByteSize: 16384 bytes/workgroup (compile time only)
; SGPRBlocks: 3
; VGPRBlocks: 2
; NumSGPRsForWavesPerEU: 30
; NumVGPRsForWavesPerEU: 18
; AccumOffset: 20
; Occupancy: 8
; WaveLimiterHint : 1
; COMPUTE_PGM_RSRC2:SCRATCH_EN: 0
; COMPUTE_PGM_RSRC2:USER_SGPR: 6
; COMPUTE_PGM_RSRC2:TRAP_HANDLER: 0
; COMPUTE_PGM_RSRC2:TGID_X_EN: 1
; COMPUTE_PGM_RSRC2:TGID_Y_EN: 0
; COMPUTE_PGM_RSRC2:TGID_Z_EN: 0
; COMPUTE_PGM_RSRC2:TIDIG_COMP_CNT: 0
; COMPUTE_PGM_RSRC3_GFX90A:ACCUM_OFFSET: 4
; COMPUTE_PGM_RSRC3_GFX90A:TG_SPLIT: 0
	.section	.text._ZN7rocprim17ROCPRIM_304000_NS6detail31onesweep_scan_histograms_kernelINS1_34wrapped_radix_sort_onesweep_configINS0_14default_configEiN2at4cuda3cub6detail10OpaqueTypeILi8EEEEEmEEvPT0_,"axG",@progbits,_ZN7rocprim17ROCPRIM_304000_NS6detail31onesweep_scan_histograms_kernelINS1_34wrapped_radix_sort_onesweep_configINS0_14default_configEiN2at4cuda3cub6detail10OpaqueTypeILi8EEEEEmEEvPT0_,comdat
	.protected	_ZN7rocprim17ROCPRIM_304000_NS6detail31onesweep_scan_histograms_kernelINS1_34wrapped_radix_sort_onesweep_configINS0_14default_configEiN2at4cuda3cub6detail10OpaqueTypeILi8EEEEEmEEvPT0_ ; -- Begin function _ZN7rocprim17ROCPRIM_304000_NS6detail31onesweep_scan_histograms_kernelINS1_34wrapped_radix_sort_onesweep_configINS0_14default_configEiN2at4cuda3cub6detail10OpaqueTypeILi8EEEEEmEEvPT0_
	.globl	_ZN7rocprim17ROCPRIM_304000_NS6detail31onesweep_scan_histograms_kernelINS1_34wrapped_radix_sort_onesweep_configINS0_14default_configEiN2at4cuda3cub6detail10OpaqueTypeILi8EEEEEmEEvPT0_
	.p2align	8
	.type	_ZN7rocprim17ROCPRIM_304000_NS6detail31onesweep_scan_histograms_kernelINS1_34wrapped_radix_sort_onesweep_configINS0_14default_configEiN2at4cuda3cub6detail10OpaqueTypeILi8EEEEEmEEvPT0_,@function
_ZN7rocprim17ROCPRIM_304000_NS6detail31onesweep_scan_histograms_kernelINS1_34wrapped_radix_sort_onesweep_configINS0_14default_configEiN2at4cuda3cub6detail10OpaqueTypeILi8EEEEEmEEvPT0_: ; @_ZN7rocprim17ROCPRIM_304000_NS6detail31onesweep_scan_histograms_kernelINS1_34wrapped_radix_sort_onesweep_configINS0_14default_configEiN2at4cuda3cub6detail10OpaqueTypeILi8EEEEEmEEvPT0_
; %bb.0:
	s_load_dwordx2 s[0:1], s[4:5], 0x0
	s_lshl_b32 s2, s6, 8
	s_mov_b32 s3, 0
	s_lshl_b64 s[2:3], s[2:3], 3
	v_lshlrev_b32_e32 v5, 3, v0
	s_waitcnt lgkmcnt(0)
	s_add_u32 s6, s0, s2
	s_movk_i32 s0, 0x100
	s_addc_u32 s7, s1, s3
	v_cmp_gt_u32_e32 vcc, s0, v0
                                        ; implicit-def: $vgpr2_vgpr3
	s_and_saveexec_b64 s[0:1], vcc
	s_cbranch_execz .LBB84_2
; %bb.1:
	global_load_dwordx2 v[2:3], v5, s[6:7]
.LBB84_2:
	s_or_b64 exec, exec, s[0:1]
	s_waitcnt vmcnt(0)
	v_mov_b32_dpp v4, v2 row_shr:1 row_mask:0xf bank_mask:0xf
	v_add_co_u32_e64 v4, s[0:1], v2, v4
	v_mbcnt_lo_u32_b32 v1, -1, 0
	v_addc_co_u32_e64 v8, s[0:1], 0, v3, s[0:1]
	v_mbcnt_hi_u32_b32 v6, -1, v1
	v_mov_b32_dpp v7, v3 row_shr:1 row_mask:0xf bank_mask:0xf
	v_add_co_u32_e64 v9, s[0:1], 0, v4
	v_and_b32_e32 v1, 15, v6
	v_addc_co_u32_e64 v7, s[0:1], v7, v8, s[0:1]
	v_cmp_eq_u32_e64 s[0:1], 0, v1
	v_cndmask_b32_e64 v4, v4, v2, s[0:1]
	v_cndmask_b32_e64 v7, v7, v3, s[0:1]
	v_cndmask_b32_e64 v8, v9, v2, s[0:1]
	v_mov_b32_dpp v9, v4 row_shr:2 row_mask:0xf bank_mask:0xf
	v_mov_b32_dpp v10, v7 row_shr:2 row_mask:0xf bank_mask:0xf
	v_add_co_u32_e64 v9, s[0:1], v9, v8
	v_addc_co_u32_e64 v10, s[0:1], v10, v7, s[0:1]
	v_cmp_lt_u32_e64 s[0:1], 1, v1
	v_cndmask_b32_e64 v4, v4, v9, s[0:1]
	v_cndmask_b32_e64 v7, v7, v10, s[0:1]
	v_cndmask_b32_e64 v8, v8, v9, s[0:1]
	v_mov_b32_dpp v9, v4 row_shr:4 row_mask:0xf bank_mask:0xf
	v_mov_b32_dpp v10, v7 row_shr:4 row_mask:0xf bank_mask:0xf
	v_add_co_u32_e64 v9, s[0:1], v9, v8
	v_addc_co_u32_e64 v10, s[0:1], v10, v7, s[0:1]
	v_cmp_lt_u32_e64 s[0:1], 3, v1
	;; [unrolled: 8-line block ×3, first 2 shown]
	v_cndmask_b32_e64 v11, v4, v9, s[0:1]
	v_cndmask_b32_e64 v1, v7, v10, s[0:1]
	;; [unrolled: 1-line block ×3, first 2 shown]
	v_mov_b32_dpp v7, v11 row_bcast:15 row_mask:0xf bank_mask:0xf
	v_mov_b32_dpp v8, v1 row_bcast:15 row_mask:0xf bank_mask:0xf
	v_and_b32_e32 v10, 16, v6
	v_add_co_u32_e64 v7, s[0:1], v7, v4
	v_addc_co_u32_e64 v9, s[0:1], v8, v1, s[0:1]
	v_cmp_eq_u32_e64 s[2:3], 0, v10
	v_cndmask_b32_e64 v10, v9, v1, s[2:3]
	v_cndmask_b32_e64 v8, v7, v11, s[2:3]
	v_cmp_eq_u32_e64 s[0:1], 0, v6
	v_mov_b32_dpp v10, v10 row_bcast:31 row_mask:0xf bank_mask:0xf
	v_mov_b32_dpp v8, v8 row_bcast:31 row_mask:0xf bank_mask:0xf
	v_cmp_ne_u32_e64 s[4:5], 0, v6
	s_and_saveexec_b64 s[8:9], s[4:5]
; %bb.3:
	v_cndmask_b32_e64 v1, v9, v1, s[2:3]
	v_cndmask_b32_e64 v2, v7, v4, s[2:3]
	v_cmp_lt_u32_e64 s[2:3], 31, v6
	v_cndmask_b32_e64 v4, 0, v8, s[2:3]
	v_cndmask_b32_e64 v3, 0, v10, s[2:3]
	v_add_co_u32_e64 v2, s[2:3], v4, v2
	v_addc_co_u32_e64 v3, s[2:3], v3, v1, s[2:3]
; %bb.4:
	s_or_b64 exec, exec, s[8:9]
	v_or_b32_e32 v1, 63, v0
	v_lshrrev_b32_e32 v4, 6, v0
	v_cmp_eq_u32_e64 s[2:3], v1, v0
	s_and_saveexec_b64 s[4:5], s[2:3]
	s_cbranch_execz .LBB84_6
; %bb.5:
	v_lshlrev_b32_e32 v1, 3, v4
	ds_write_b64 v1, v[2:3]
.LBB84_6:
	s_or_b64 exec, exec, s[4:5]
	v_cmp_gt_u32_e64 s[2:3], 8, v0
	s_waitcnt lgkmcnt(0)
	s_barrier
	s_and_saveexec_b64 s[4:5], s[2:3]
	s_cbranch_execz .LBB84_8
; %bb.7:
	ds_read_b64 v[8:9], v5
	v_and_b32_e32 v1, 7, v6
	s_waitcnt lgkmcnt(0)
	v_mov_b32_dpp v7, v8 row_shr:1 row_mask:0xf bank_mask:0xf
	v_add_co_u32_e64 v7, s[2:3], v8, v7
	v_addc_co_u32_e64 v11, s[2:3], 0, v9, s[2:3]
	v_mov_b32_dpp v10, v9 row_shr:1 row_mask:0xf bank_mask:0xf
	v_add_co_u32_e64 v12, s[2:3], 0, v7
	v_addc_co_u32_e64 v10, s[2:3], v10, v11, s[2:3]
	v_cmp_eq_u32_e64 s[2:3], 0, v1
	v_cndmask_b32_e64 v7, v7, v8, s[2:3]
	v_cndmask_b32_e64 v9, v10, v9, s[2:3]
	;; [unrolled: 1-line block ×3, first 2 shown]
	v_mov_b32_dpp v8, v7 row_shr:2 row_mask:0xf bank_mask:0xf
	v_add_co_u32_e64 v8, s[2:3], v10, v8
	v_addc_co_u32_e64 v12, s[2:3], 0, v9, s[2:3]
	v_mov_b32_dpp v11, v9 row_shr:2 row_mask:0xf bank_mask:0xf
	v_add_co_u32_e64 v13, s[2:3], 0, v8
	v_addc_co_u32_e64 v11, s[2:3], v12, v11, s[2:3]
	v_cmp_lt_u32_e64 s[2:3], 1, v1
	v_cndmask_b32_e64 v7, v7, v8, s[2:3]
	v_cndmask_b32_e64 v9, v9, v11, s[2:3]
	;; [unrolled: 1-line block ×3, first 2 shown]
	v_mov_b32_dpp v7, v7 row_shr:4 row_mask:0xf bank_mask:0xf
	v_cmp_lt_u32_e64 s[2:3], 3, v1
	v_mov_b32_dpp v8, v9 row_shr:4 row_mask:0xf bank_mask:0xf
	v_cndmask_b32_e64 v1, 0, v7, s[2:3]
	v_cndmask_b32_e64 v7, 0, v8, s[2:3]
	v_add_co_u32_e64 v8, s[2:3], v1, v10
	v_addc_co_u32_e64 v9, s[2:3], v7, v9, s[2:3]
	ds_write_b64 v5, v[8:9]
.LBB84_8:
	s_or_b64 exec, exec, s[4:5]
	v_cmp_lt_u32_e64 s[2:3], 63, v0
	v_pk_mov_b32 v[0:1], 0, 0
	s_waitcnt lgkmcnt(0)
	s_barrier
	s_and_saveexec_b64 s[4:5], s[2:3]
	s_cbranch_execz .LBB84_10
; %bb.9:
	v_lshl_add_u32 v0, v4, 3, -8
	ds_read_b64 v[0:1], v0
.LBB84_10:
	s_or_b64 exec, exec, s[4:5]
	s_waitcnt lgkmcnt(0)
	v_add_co_u32_e64 v2, s[2:3], v0, v2
	v_addc_co_u32_e64 v3, s[2:3], v1, v3, s[2:3]
	v_add_u32_e32 v4, -1, v6
	v_and_b32_e32 v7, 64, v6
	v_cmp_lt_i32_e64 s[2:3], v4, v7
	v_cndmask_b32_e64 v4, v4, v6, s[2:3]
	v_lshlrev_b32_e32 v4, 2, v4
	ds_bpermute_b32 v2, v4, v2
	ds_bpermute_b32 v3, v4, v3
	s_and_saveexec_b64 s[2:3], vcc
	s_cbranch_execz .LBB84_12
; %bb.11:
	s_waitcnt lgkmcnt(0)
	v_cndmask_b32_e64 v1, v3, v1, s[0:1]
	v_cndmask_b32_e64 v0, v2, v0, s[0:1]
	global_store_dwordx2 v5, v[0:1], s[6:7]
.LBB84_12:
	s_endpgm
	.section	.rodata,"a",@progbits
	.p2align	6, 0x0
	.amdhsa_kernel _ZN7rocprim17ROCPRIM_304000_NS6detail31onesweep_scan_histograms_kernelINS1_34wrapped_radix_sort_onesweep_configINS0_14default_configEiN2at4cuda3cub6detail10OpaqueTypeILi8EEEEEmEEvPT0_
		.amdhsa_group_segment_fixed_size 64
		.amdhsa_private_segment_fixed_size 0
		.amdhsa_kernarg_size 8
		.amdhsa_user_sgpr_count 6
		.amdhsa_user_sgpr_private_segment_buffer 1
		.amdhsa_user_sgpr_dispatch_ptr 0
		.amdhsa_user_sgpr_queue_ptr 0
		.amdhsa_user_sgpr_kernarg_segment_ptr 1
		.amdhsa_user_sgpr_dispatch_id 0
		.amdhsa_user_sgpr_flat_scratch_init 0
		.amdhsa_user_sgpr_kernarg_preload_length 0
		.amdhsa_user_sgpr_kernarg_preload_offset 0
		.amdhsa_user_sgpr_private_segment_size 0
		.amdhsa_uses_dynamic_stack 0
		.amdhsa_system_sgpr_private_segment_wavefront_offset 0
		.amdhsa_system_sgpr_workgroup_id_x 1
		.amdhsa_system_sgpr_workgroup_id_y 0
		.amdhsa_system_sgpr_workgroup_id_z 0
		.amdhsa_system_sgpr_workgroup_info 0
		.amdhsa_system_vgpr_workitem_id 0
		.amdhsa_next_free_vgpr 14
		.amdhsa_next_free_sgpr 10
		.amdhsa_accum_offset 16
		.amdhsa_reserve_vcc 1
		.amdhsa_reserve_flat_scratch 0
		.amdhsa_float_round_mode_32 0
		.amdhsa_float_round_mode_16_64 0
		.amdhsa_float_denorm_mode_32 3
		.amdhsa_float_denorm_mode_16_64 3
		.amdhsa_dx10_clamp 1
		.amdhsa_ieee_mode 1
		.amdhsa_fp16_overflow 0
		.amdhsa_tg_split 0
		.amdhsa_exception_fp_ieee_invalid_op 0
		.amdhsa_exception_fp_denorm_src 0
		.amdhsa_exception_fp_ieee_div_zero 0
		.amdhsa_exception_fp_ieee_overflow 0
		.amdhsa_exception_fp_ieee_underflow 0
		.amdhsa_exception_fp_ieee_inexact 0
		.amdhsa_exception_int_div_zero 0
	.end_amdhsa_kernel
	.section	.text._ZN7rocprim17ROCPRIM_304000_NS6detail31onesweep_scan_histograms_kernelINS1_34wrapped_radix_sort_onesweep_configINS0_14default_configEiN2at4cuda3cub6detail10OpaqueTypeILi8EEEEEmEEvPT0_,"axG",@progbits,_ZN7rocprim17ROCPRIM_304000_NS6detail31onesweep_scan_histograms_kernelINS1_34wrapped_radix_sort_onesweep_configINS0_14default_configEiN2at4cuda3cub6detail10OpaqueTypeILi8EEEEEmEEvPT0_,comdat
.Lfunc_end84:
	.size	_ZN7rocprim17ROCPRIM_304000_NS6detail31onesweep_scan_histograms_kernelINS1_34wrapped_radix_sort_onesweep_configINS0_14default_configEiN2at4cuda3cub6detail10OpaqueTypeILi8EEEEEmEEvPT0_, .Lfunc_end84-_ZN7rocprim17ROCPRIM_304000_NS6detail31onesweep_scan_histograms_kernelINS1_34wrapped_radix_sort_onesweep_configINS0_14default_configEiN2at4cuda3cub6detail10OpaqueTypeILi8EEEEEmEEvPT0_
                                        ; -- End function
	.section	.AMDGPU.csdata,"",@progbits
; Kernel info:
; codeLenInByte = 980
; NumSgprs: 14
; NumVgprs: 14
; NumAgprs: 0
; TotalNumVgprs: 14
; ScratchSize: 0
; MemoryBound: 0
; FloatMode: 240
; IeeeMode: 1
; LDSByteSize: 64 bytes/workgroup (compile time only)
; SGPRBlocks: 1
; VGPRBlocks: 1
; NumSGPRsForWavesPerEU: 14
; NumVGPRsForWavesPerEU: 14
; AccumOffset: 16
; Occupancy: 8
; WaveLimiterHint : 0
; COMPUTE_PGM_RSRC2:SCRATCH_EN: 0
; COMPUTE_PGM_RSRC2:USER_SGPR: 6
; COMPUTE_PGM_RSRC2:TRAP_HANDLER: 0
; COMPUTE_PGM_RSRC2:TGID_X_EN: 1
; COMPUTE_PGM_RSRC2:TGID_Y_EN: 0
; COMPUTE_PGM_RSRC2:TGID_Z_EN: 0
; COMPUTE_PGM_RSRC2:TIDIG_COMP_CNT: 0
; COMPUTE_PGM_RSRC3_GFX90A:ACCUM_OFFSET: 3
; COMPUTE_PGM_RSRC3_GFX90A:TG_SPLIT: 0
	.section	.text._ZN7rocprim17ROCPRIM_304000_NS6detail16transform_kernelINS1_24wrapped_transform_configINS0_14default_configEiEEiPKiPiNS0_8identityIiEEEEvT1_mT2_T3_,"axG",@progbits,_ZN7rocprim17ROCPRIM_304000_NS6detail16transform_kernelINS1_24wrapped_transform_configINS0_14default_configEiEEiPKiPiNS0_8identityIiEEEEvT1_mT2_T3_,comdat
	.protected	_ZN7rocprim17ROCPRIM_304000_NS6detail16transform_kernelINS1_24wrapped_transform_configINS0_14default_configEiEEiPKiPiNS0_8identityIiEEEEvT1_mT2_T3_ ; -- Begin function _ZN7rocprim17ROCPRIM_304000_NS6detail16transform_kernelINS1_24wrapped_transform_configINS0_14default_configEiEEiPKiPiNS0_8identityIiEEEEvT1_mT2_T3_
	.globl	_ZN7rocprim17ROCPRIM_304000_NS6detail16transform_kernelINS1_24wrapped_transform_configINS0_14default_configEiEEiPKiPiNS0_8identityIiEEEEvT1_mT2_T3_
	.p2align	8
	.type	_ZN7rocprim17ROCPRIM_304000_NS6detail16transform_kernelINS1_24wrapped_transform_configINS0_14default_configEiEEiPKiPiNS0_8identityIiEEEEvT1_mT2_T3_,@function
_ZN7rocprim17ROCPRIM_304000_NS6detail16transform_kernelINS1_24wrapped_transform_configINS0_14default_configEiEEiPKiPiNS0_8identityIiEEEEvT1_mT2_T3_: ; @_ZN7rocprim17ROCPRIM_304000_NS6detail16transform_kernelINS1_24wrapped_transform_configINS0_14default_configEiEEiPKiPiNS0_8identityIiEEEEvT1_mT2_T3_
; %bb.0:
	s_load_dword s7, s[4:5], 0x20
	s_load_dwordx4 s[0:3], s[4:5], 0x0
	s_load_dwordx2 s[8:9], s[4:5], 0x10
	s_lshl_b32 s10, s6, 11
	s_mov_b32 s11, 0
	s_waitcnt lgkmcnt(0)
	s_add_i32 s7, s7, -1
	s_lshl_b64 s[4:5], s[10:11], 2
	s_add_u32 s0, s0, s4
	s_addc_u32 s1, s1, s5
	v_lshlrev_b32_e32 v1, 2, v0
	v_mov_b32_e32 v2, s1
	v_add_co_u32_e32 v4, vcc, s0, v1
	s_cmp_lg_u32 s6, s7
	v_addc_co_u32_e32 v5, vcc, 0, v2, vcc
	s_cbranch_scc0 .LBB85_2
; %bb.1:
	v_add_co_u32_e32 v2, vcc, 0x1000, v4
	global_load_dword v6, v[4:5], off
	v_addc_co_u32_e32 v3, vcc, 0, v5, vcc
	global_load_dword v3, v[2:3], off
	s_add_u32 s0, s8, s4
	s_addc_u32 s1, s9, s5
	s_mov_b64 s[6:7], -1
	s_waitcnt vmcnt(1)
	global_store_dword v1, v6, s[0:1]
	s_cbranch_execz .LBB85_3
	s_branch .LBB85_10
.LBB85_2:
	s_mov_b64 s[6:7], 0
                                        ; implicit-def: $vgpr3
.LBB85_3:
	s_sub_i32 s10, s2, s10
	v_cmp_gt_u32_e64 s[0:1], s10, v0
                                        ; implicit-def: $vgpr2_vgpr3
	s_and_saveexec_b64 s[2:3], s[0:1]
	s_cbranch_execz .LBB85_5
; %bb.4:
	global_load_dword v2, v[4:5], off
.LBB85_5:
	s_or_b64 exec, exec, s[2:3]
	v_or_b32_e32 v0, 0x400, v0
	v_cmp_gt_u32_e64 s[2:3], s10, v0
	s_and_saveexec_b64 s[10:11], s[2:3]
	s_cbranch_execnz .LBB85_13
; %bb.6:
	s_or_b64 exec, exec, s[10:11]
	s_and_saveexec_b64 s[10:11], s[0:1]
	s_cbranch_execnz .LBB85_14
.LBB85_7:
	s_or_b64 exec, exec, s[10:11]
	s_and_saveexec_b64 s[0:1], s[2:3]
.LBB85_8:
	s_or_b64 s[6:7], s[6:7], exec
.LBB85_9:
	s_or_b64 exec, exec, s[0:1]
.LBB85_10:
	s_and_saveexec_b64 s[0:1], s[6:7]
	s_cbranch_execnz .LBB85_12
; %bb.11:
	s_endpgm
.LBB85_12:
	s_add_u32 s0, s8, s4
	s_addc_u32 s1, s9, s5
	v_mov_b32_e32 v0, s1
	v_add_co_u32_e32 v1, vcc, s0, v1
	s_waitcnt vmcnt(0)
	v_addc_co_u32_e32 v2, vcc, 0, v0, vcc
	v_add_co_u32_e32 v0, vcc, 0x1000, v1
	v_addc_co_u32_e32 v1, vcc, 0, v2, vcc
	global_store_dword v[0:1], v3, off
	s_endpgm
.LBB85_13:
	v_add_co_u32_e32 v4, vcc, 0x1000, v4
	v_addc_co_u32_e32 v5, vcc, 0, v5, vcc
	global_load_dword v3, v[4:5], off
	s_or_b64 exec, exec, s[10:11]
	s_and_saveexec_b64 s[10:11], s[0:1]
	s_cbranch_execz .LBB85_7
.LBB85_14:
	s_add_u32 s0, s8, s4
	s_addc_u32 s1, s9, s5
	s_waitcnt vmcnt(0)
	global_store_dword v1, v2, s[0:1]
	s_or_b64 exec, exec, s[10:11]
	s_and_saveexec_b64 s[0:1], s[2:3]
	s_cbranch_execnz .LBB85_8
	s_branch .LBB85_9
	.section	.rodata,"a",@progbits
	.p2align	6, 0x0
	.amdhsa_kernel _ZN7rocprim17ROCPRIM_304000_NS6detail16transform_kernelINS1_24wrapped_transform_configINS0_14default_configEiEEiPKiPiNS0_8identityIiEEEEvT1_mT2_T3_
		.amdhsa_group_segment_fixed_size 0
		.amdhsa_private_segment_fixed_size 0
		.amdhsa_kernarg_size 288
		.amdhsa_user_sgpr_count 6
		.amdhsa_user_sgpr_private_segment_buffer 1
		.amdhsa_user_sgpr_dispatch_ptr 0
		.amdhsa_user_sgpr_queue_ptr 0
		.amdhsa_user_sgpr_kernarg_segment_ptr 1
		.amdhsa_user_sgpr_dispatch_id 0
		.amdhsa_user_sgpr_flat_scratch_init 0
		.amdhsa_user_sgpr_kernarg_preload_length 0
		.amdhsa_user_sgpr_kernarg_preload_offset 0
		.amdhsa_user_sgpr_private_segment_size 0
		.amdhsa_uses_dynamic_stack 0
		.amdhsa_system_sgpr_private_segment_wavefront_offset 0
		.amdhsa_system_sgpr_workgroup_id_x 1
		.amdhsa_system_sgpr_workgroup_id_y 0
		.amdhsa_system_sgpr_workgroup_id_z 0
		.amdhsa_system_sgpr_workgroup_info 0
		.amdhsa_system_vgpr_workitem_id 0
		.amdhsa_next_free_vgpr 7
		.amdhsa_next_free_sgpr 12
		.amdhsa_accum_offset 8
		.amdhsa_reserve_vcc 1
		.amdhsa_reserve_flat_scratch 0
		.amdhsa_float_round_mode_32 0
		.amdhsa_float_round_mode_16_64 0
		.amdhsa_float_denorm_mode_32 3
		.amdhsa_float_denorm_mode_16_64 3
		.amdhsa_dx10_clamp 1
		.amdhsa_ieee_mode 1
		.amdhsa_fp16_overflow 0
		.amdhsa_tg_split 0
		.amdhsa_exception_fp_ieee_invalid_op 0
		.amdhsa_exception_fp_denorm_src 0
		.amdhsa_exception_fp_ieee_div_zero 0
		.amdhsa_exception_fp_ieee_overflow 0
		.amdhsa_exception_fp_ieee_underflow 0
		.amdhsa_exception_fp_ieee_inexact 0
		.amdhsa_exception_int_div_zero 0
	.end_amdhsa_kernel
	.section	.text._ZN7rocprim17ROCPRIM_304000_NS6detail16transform_kernelINS1_24wrapped_transform_configINS0_14default_configEiEEiPKiPiNS0_8identityIiEEEEvT1_mT2_T3_,"axG",@progbits,_ZN7rocprim17ROCPRIM_304000_NS6detail16transform_kernelINS1_24wrapped_transform_configINS0_14default_configEiEEiPKiPiNS0_8identityIiEEEEvT1_mT2_T3_,comdat
.Lfunc_end85:
	.size	_ZN7rocprim17ROCPRIM_304000_NS6detail16transform_kernelINS1_24wrapped_transform_configINS0_14default_configEiEEiPKiPiNS0_8identityIiEEEEvT1_mT2_T3_, .Lfunc_end85-_ZN7rocprim17ROCPRIM_304000_NS6detail16transform_kernelINS1_24wrapped_transform_configINS0_14default_configEiEEiPKiPiNS0_8identityIiEEEEvT1_mT2_T3_
                                        ; -- End function
	.section	.AMDGPU.csdata,"",@progbits
; Kernel info:
; codeLenInByte = 352
; NumSgprs: 16
; NumVgprs: 7
; NumAgprs: 0
; TotalNumVgprs: 7
; ScratchSize: 0
; MemoryBound: 0
; FloatMode: 240
; IeeeMode: 1
; LDSByteSize: 0 bytes/workgroup (compile time only)
; SGPRBlocks: 1
; VGPRBlocks: 0
; NumSGPRsForWavesPerEU: 16
; NumVGPRsForWavesPerEU: 7
; AccumOffset: 8
; Occupancy: 8
; WaveLimiterHint : 1
; COMPUTE_PGM_RSRC2:SCRATCH_EN: 0
; COMPUTE_PGM_RSRC2:USER_SGPR: 6
; COMPUTE_PGM_RSRC2:TRAP_HANDLER: 0
; COMPUTE_PGM_RSRC2:TGID_X_EN: 1
; COMPUTE_PGM_RSRC2:TGID_Y_EN: 0
; COMPUTE_PGM_RSRC2:TGID_Z_EN: 0
; COMPUTE_PGM_RSRC2:TIDIG_COMP_CNT: 0
; COMPUTE_PGM_RSRC3_GFX90A:ACCUM_OFFSET: 1
; COMPUTE_PGM_RSRC3_GFX90A:TG_SPLIT: 0
	.section	.text._ZN7rocprim17ROCPRIM_304000_NS6detail25onesweep_iteration_kernelINS1_34wrapped_radix_sort_onesweep_configINS0_14default_configEiN2at4cuda3cub6detail10OpaqueTypeILi8EEEEELb1EPKiPiPKSA_PSA_mNS0_19identity_decomposerEEEvT1_T2_T3_T4_jPT5_SO_PNS1_23onesweep_lookback_stateET6_jjj,"axG",@progbits,_ZN7rocprim17ROCPRIM_304000_NS6detail25onesweep_iteration_kernelINS1_34wrapped_radix_sort_onesweep_configINS0_14default_configEiN2at4cuda3cub6detail10OpaqueTypeILi8EEEEELb1EPKiPiPKSA_PSA_mNS0_19identity_decomposerEEEvT1_T2_T3_T4_jPT5_SO_PNS1_23onesweep_lookback_stateET6_jjj,comdat
	.protected	_ZN7rocprim17ROCPRIM_304000_NS6detail25onesweep_iteration_kernelINS1_34wrapped_radix_sort_onesweep_configINS0_14default_configEiN2at4cuda3cub6detail10OpaqueTypeILi8EEEEELb1EPKiPiPKSA_PSA_mNS0_19identity_decomposerEEEvT1_T2_T3_T4_jPT5_SO_PNS1_23onesweep_lookback_stateET6_jjj ; -- Begin function _ZN7rocprim17ROCPRIM_304000_NS6detail25onesweep_iteration_kernelINS1_34wrapped_radix_sort_onesweep_configINS0_14default_configEiN2at4cuda3cub6detail10OpaqueTypeILi8EEEEELb1EPKiPiPKSA_PSA_mNS0_19identity_decomposerEEEvT1_T2_T3_T4_jPT5_SO_PNS1_23onesweep_lookback_stateET6_jjj
	.globl	_ZN7rocprim17ROCPRIM_304000_NS6detail25onesweep_iteration_kernelINS1_34wrapped_radix_sort_onesweep_configINS0_14default_configEiN2at4cuda3cub6detail10OpaqueTypeILi8EEEEELb1EPKiPiPKSA_PSA_mNS0_19identity_decomposerEEEvT1_T2_T3_T4_jPT5_SO_PNS1_23onesweep_lookback_stateET6_jjj
	.p2align	8
	.type	_ZN7rocprim17ROCPRIM_304000_NS6detail25onesweep_iteration_kernelINS1_34wrapped_radix_sort_onesweep_configINS0_14default_configEiN2at4cuda3cub6detail10OpaqueTypeILi8EEEEELb1EPKiPiPKSA_PSA_mNS0_19identity_decomposerEEEvT1_T2_T3_T4_jPT5_SO_PNS1_23onesweep_lookback_stateET6_jjj,@function
_ZN7rocprim17ROCPRIM_304000_NS6detail25onesweep_iteration_kernelINS1_34wrapped_radix_sort_onesweep_configINS0_14default_configEiN2at4cuda3cub6detail10OpaqueTypeILi8EEEEELb1EPKiPiPKSA_PSA_mNS0_19identity_decomposerEEEvT1_T2_T3_T4_jPT5_SO_PNS1_23onesweep_lookback_stateET6_jjj: ; @_ZN7rocprim17ROCPRIM_304000_NS6detail25onesweep_iteration_kernelINS1_34wrapped_radix_sort_onesweep_configINS0_14default_configEiN2at4cuda3cub6detail10OpaqueTypeILi8EEEEELb1EPKiPiPKSA_PSA_mNS0_19identity_decomposerEEEvT1_T2_T3_T4_jPT5_SO_PNS1_23onesweep_lookback_stateET6_jjj
; %bb.0:
	s_load_dwordx4 s[48:51], s[4:5], 0x44
	s_load_dwordx8 s[36:43], s[4:5], 0x0
	s_load_dwordx4 s[44:47], s[4:5], 0x28
	s_load_dwordx2 s[34:35], s[4:5], 0x38
	s_mul_i32 s30, s6, 0xc00
	s_waitcnt lgkmcnt(0)
	s_cmp_ge_u32 s6, s50
	v_mbcnt_lo_u32_b32 v1, -1, 0
	s_cbranch_scc0 .LBB86_86
; %bb.1:
	s_load_dword s2, s[4:5], 0x20
	s_mulk_i32 s50, 0xf400
	s_mov_b32 s31, 0
	s_lshl_b64 s[0:1], s[30:31], 2
	v_and_b32_e32 v8, 0x3ff, v0
	s_waitcnt lgkmcnt(0)
	s_add_i32 s50, s50, s2
	s_add_u32 s0, s36, s0
	v_mbcnt_hi_u32_b32 v14, -1, v1
	s_addc_u32 s1, s37, s1
	v_and_b32_e32 v15, 0x1c0, v8
	v_lshlrev_b32_e32 v2, 2, v14
	v_mul_u32_u24_e32 v9, 6, v15
	v_mov_b32_e32 v3, s1
	v_add_co_u32_e32 v2, vcc, s0, v2
	v_addc_co_u32_e32 v3, vcc, 0, v3, vcc
	v_lshlrev_b32_e32 v4, 2, v9
	s_brev_b32 s8, 1
	v_add_co_u32_e32 v10, vcc, v2, v4
	s_mov_b32 s9, s8
	v_addc_co_u32_e32 v11, vcc, 0, v3, vcc
	v_or_b32_e32 v12, v14, v9
	s_mov_b32 s10, s8
	s_mov_b32 s11, s8
	;; [unrolled: 1-line block ×4, first 2 shown]
	v_pk_mov_b32 v[2:3], s[8:9], s[8:9] op_sel:[0,1]
	v_cmp_gt_u32_e32 vcc, s50, v12
	v_pk_mov_b32 v[4:5], s[10:11], s[10:11] op_sel:[0,1]
	v_pk_mov_b32 v[6:7], s[12:13], s[12:13] op_sel:[0,1]
	s_and_saveexec_b64 s[0:1], vcc
	s_cbranch_execz .LBB86_3
; %bb.2:
	global_load_dword v2, v[10:11], off
	v_bfrev_b32_e32 v3, 1
	v_mov_b32_e32 v4, v3
	v_mov_b32_e32 v5, v3
	;; [unrolled: 1-line block ×4, first 2 shown]
.LBB86_3:
	s_or_b64 exec, exec, s[0:1]
	v_add_u32_e32 v13, 64, v12
	v_cmp_gt_u32_e64 s[0:1], s50, v13
	s_and_saveexec_b64 s[2:3], s[0:1]
	s_cbranch_execz .LBB86_5
; %bb.4:
	global_load_dword v3, v[10:11], off offset:256
.LBB86_5:
	s_or_b64 exec, exec, s[2:3]
	v_add_u32_e32 v13, 0x80, v12
	v_cmp_gt_u32_e64 s[2:3], s50, v13
	s_and_saveexec_b64 s[8:9], s[2:3]
	s_cbranch_execz .LBB86_7
; %bb.6:
	global_load_dword v4, v[10:11], off offset:512
.LBB86_7:
	;; [unrolled: 8-line block ×5, first 2 shown]
	s_or_b64 exec, exec, s[12:13]
	s_load_dword s12, s[4:5], 0x5c
	s_load_dword s7, s[4:5], 0x50
	s_add_u32 s13, s4, 0x50
	s_addc_u32 s14, s5, 0
	v_mov_b32_e32 v10, 0
	s_waitcnt lgkmcnt(0)
	s_lshr_b32 s15, s12, 16
	s_cmp_lt_u32 s6, s7
	s_cselect_b32 s12, 12, 18
	s_add_u32 s12, s13, s12
	s_addc_u32 s13, s14, 0
	global_load_ushort v12, v10, s[12:13]
	s_waitcnt vmcnt(1)
	v_xor_b32_e32 v16, 0x7fffffff, v2
	v_mul_u32_u24_e32 v13, 5, v8
	s_lshl_b32 s12, -1, s49
	v_lshlrev_b32_e32 v17, 2, v13
	v_lshrrev_b32_e32 v13, s48, v16
	s_not_b32 s33, s12
	v_and_b32_e32 v13, s33, v13
	v_and_b32_e32 v19, 1, v13
	v_bfe_u32 v2, v0, 10, 10
	v_bfe_u32 v11, v0, 20, 10
	v_add_co_u32_e64 v20, s[12:13], -1, v19
	v_mad_u32_u24 v2, v11, s15, v2
	v_lshlrev_b32_e32 v11, 30, v13
	v_addc_co_u32_e64 v21, s[12:13], 0, -1, s[12:13]
	v_cmp_ne_u32_e64 s[12:13], 0, v19
	v_cmp_gt_i64_e64 s[14:15], 0, v[10:11]
	v_not_b32_e32 v19, v11
	v_lshlrev_b32_e32 v11, 29, v13
	v_xor_b32_e32 v21, s13, v21
	v_xor_b32_e32 v20, s12, v20
	v_ashrrev_i32_e32 v19, 31, v19
	v_cmp_gt_i64_e64 s[12:13], 0, v[10:11]
	v_not_b32_e32 v22, v11
	v_lshlrev_b32_e32 v11, 28, v13
	v_and_b32_e32 v21, exec_hi, v21
	v_and_b32_e32 v20, exec_lo, v20
	v_xor_b32_e32 v23, s15, v19
	v_xor_b32_e32 v19, s14, v19
	v_ashrrev_i32_e32 v22, 31, v22
	v_cmp_gt_i64_e64 s[14:15], 0, v[10:11]
	v_not_b32_e32 v24, v11
	v_lshlrev_b32_e32 v11, 27, v13
	v_and_b32_e32 v21, v21, v23
	v_and_b32_e32 v19, v20, v19
	v_xor_b32_e32 v20, s13, v22
	v_xor_b32_e32 v22, s12, v22
	v_ashrrev_i32_e32 v23, 31, v24
	v_cmp_gt_i64_e64 s[12:13], 0, v[10:11]
	v_not_b32_e32 v24, v11
	v_lshlrev_b32_e32 v11, 26, v13
	v_and_b32_e32 v20, v21, v20
	v_and_b32_e32 v19, v19, v22
	v_xor_b32_e32 v21, s15, v23
	v_xor_b32_e32 v22, s14, v23
	v_ashrrev_i32_e32 v23, 31, v24
	v_cmp_gt_i64_e64 s[14:15], 0, v[10:11]
	v_not_b32_e32 v24, v11
	v_lshlrev_b32_e32 v11, 25, v13
	v_and_b32_e32 v20, v20, v21
	v_and_b32_e32 v19, v19, v22
	v_xor_b32_e32 v21, s13, v23
	v_xor_b32_e32 v22, s12, v23
	v_ashrrev_i32_e32 v23, 31, v24
	v_not_b32_e32 v24, v11
	v_lshl_add_u32 v18, v13, 3, v13
	v_cmp_gt_i64_e64 s[12:13], 0, v[10:11]
	v_lshlrev_b32_e32 v11, 24, v13
	v_and_b32_e32 v13, v20, v21
	v_and_b32_e32 v19, v19, v22
	v_xor_b32_e32 v20, s15, v23
	v_ashrrev_i32_e32 v22, 31, v24
	v_xor_b32_e32 v21, s14, v23
	v_cmp_gt_i64_e64 s[14:15], 0, v[10:11]
	v_not_b32_e32 v11, v11
	v_and_b32_e32 v13, v13, v20
	v_xor_b32_e32 v20, s13, v22
	v_and_b32_e32 v19, v19, v21
	v_xor_b32_e32 v21, s12, v22
	v_and_b32_e32 v20, v13, v20
	v_and_b32_e32 v21, v19, v21
	ds_write2_b32 v17, v10, v10 offset0:8 offset1:9
	ds_write2_b32 v17, v10, v10 offset0:10 offset1:11
	ds_write_b32 v17, v10 offset:48
	s_waitcnt lgkmcnt(0)
	s_barrier
	s_waitcnt lgkmcnt(0)
	; wave barrier
	s_waitcnt vmcnt(0)
	v_mad_u64_u32 v[12:13], s[12:13], v2, v12, v[8:9]
	v_ashrrev_i32_e32 v2, 31, v11
	v_xor_b32_e32 v11, s15, v2
	v_xor_b32_e32 v2, s14, v2
	v_lshrrev_b32_e32 v23, 6, v12
	v_and_b32_e32 v12, v21, v2
	v_and_b32_e32 v13, v20, v11
	v_mbcnt_lo_u32_b32 v2, v12, 0
	v_add_lshl_u32 v19, v23, v18, 2
	v_mbcnt_hi_u32_b32 v18, v13, v2
	v_cmp_eq_u32_e64 s[12:13], 0, v18
	v_cmp_ne_u64_e64 s[14:15], 0, v[12:13]
	s_and_b64 s[14:15], s[14:15], s[12:13]
	s_and_saveexec_b64 s[12:13], s[14:15]
	s_cbranch_execz .LBB86_15
; %bb.14:
	v_bcnt_u32_b32 v2, v12, 0
	v_bcnt_u32_b32 v2, v13, v2
	ds_write_b32 v19, v2 offset:32
.LBB86_15:
	s_or_b64 exec, exec, s[12:13]
	v_xor_b32_e32 v12, 0x7fffffff, v3
	v_lshrrev_b32_e32 v2, s48, v12
	v_and_b32_e32 v2, s33, v2
	v_lshl_add_u32 v3, v2, 3, v2
	v_add_lshl_u32 v20, v23, v3, 2
	v_and_b32_e32 v3, 1, v2
	v_add_co_u32_e64 v11, s[12:13], -1, v3
	v_addc_co_u32_e64 v21, s[12:13], 0, -1, s[12:13]
	v_cmp_ne_u32_e64 s[12:13], 0, v3
	v_xor_b32_e32 v11, s12, v11
	v_xor_b32_e32 v3, s13, v21
	v_and_b32_e32 v21, exec_lo, v11
	v_lshlrev_b32_e32 v11, 30, v2
	v_cmp_gt_i64_e64 s[12:13], 0, v[10:11]
	v_not_b32_e32 v11, v11
	v_ashrrev_i32_e32 v11, 31, v11
	v_xor_b32_e32 v22, s13, v11
	v_xor_b32_e32 v11, s12, v11
	v_and_b32_e32 v21, v21, v11
	v_lshlrev_b32_e32 v11, 29, v2
	v_cmp_gt_i64_e64 s[12:13], 0, v[10:11]
	v_not_b32_e32 v11, v11
	v_and_b32_e32 v3, exec_hi, v3
	v_ashrrev_i32_e32 v11, 31, v11
	v_and_b32_e32 v3, v3, v22
	v_xor_b32_e32 v22, s13, v11
	v_xor_b32_e32 v11, s12, v11
	v_and_b32_e32 v21, v21, v11
	v_lshlrev_b32_e32 v11, 28, v2
	v_cmp_gt_i64_e64 s[12:13], 0, v[10:11]
	v_not_b32_e32 v11, v11
	v_ashrrev_i32_e32 v11, 31, v11
	v_and_b32_e32 v3, v3, v22
	v_xor_b32_e32 v22, s13, v11
	v_xor_b32_e32 v11, s12, v11
	v_and_b32_e32 v21, v21, v11
	v_lshlrev_b32_e32 v11, 27, v2
	v_cmp_gt_i64_e64 s[12:13], 0, v[10:11]
	v_not_b32_e32 v11, v11
	;; [unrolled: 8-line block ×4, first 2 shown]
	v_ashrrev_i32_e32 v11, 31, v11
	v_and_b32_e32 v3, v3, v22
	v_xor_b32_e32 v22, s13, v11
	v_xor_b32_e32 v11, s12, v11
	v_and_b32_e32 v21, v21, v11
	v_lshlrev_b32_e32 v11, 24, v2
	v_not_b32_e32 v2, v11
	v_cmp_gt_i64_e64 s[12:13], 0, v[10:11]
	v_ashrrev_i32_e32 v2, 31, v2
	v_xor_b32_e32 v10, s13, v2
	v_xor_b32_e32 v2, s12, v2
	; wave barrier
	ds_read_b32 v13, v20 offset:32
	v_and_b32_e32 v3, v3, v22
	v_and_b32_e32 v2, v21, v2
	;; [unrolled: 1-line block ×3, first 2 shown]
	v_mbcnt_lo_u32_b32 v10, v2, 0
	v_mbcnt_hi_u32_b32 v21, v3, v10
	v_cmp_eq_u32_e64 s[12:13], 0, v21
	v_cmp_ne_u64_e64 s[14:15], 0, v[2:3]
	s_and_b64 s[14:15], s[14:15], s[12:13]
	; wave barrier
	s_and_saveexec_b64 s[12:13], s[14:15]
	s_cbranch_execz .LBB86_17
; %bb.16:
	v_bcnt_u32_b32 v2, v2, 0
	v_bcnt_u32_b32 v2, v3, v2
	s_waitcnt lgkmcnt(0)
	v_add_u32_e32 v2, v13, v2
	ds_write_b32 v20, v2 offset:32
.LBB86_17:
	s_or_b64 exec, exec, s[12:13]
	v_xor_b32_e32 v22, 0x7fffffff, v4
	v_lshrrev_b32_e32 v2, s48, v22
	v_and_b32_e32 v4, s33, v2
	v_and_b32_e32 v3, 1, v4
	v_add_co_u32_e64 v10, s[12:13], -1, v3
	v_addc_co_u32_e64 v11, s[12:13], 0, -1, s[12:13]
	v_cmp_ne_u32_e64 s[12:13], 0, v3
	v_lshl_add_u32 v2, v4, 3, v4
	v_xor_b32_e32 v3, s13, v11
	v_add_lshl_u32 v25, v23, v2, 2
	v_mov_b32_e32 v2, 0
	v_and_b32_e32 v11, exec_hi, v3
	v_lshlrev_b32_e32 v3, 30, v4
	v_xor_b32_e32 v10, s12, v10
	v_cmp_gt_i64_e64 s[12:13], 0, v[2:3]
	v_not_b32_e32 v3, v3
	v_ashrrev_i32_e32 v3, 31, v3
	v_and_b32_e32 v10, exec_lo, v10
	v_xor_b32_e32 v26, s13, v3
	v_xor_b32_e32 v3, s12, v3
	v_and_b32_e32 v10, v10, v3
	v_lshlrev_b32_e32 v3, 29, v4
	v_cmp_gt_i64_e64 s[12:13], 0, v[2:3]
	v_not_b32_e32 v3, v3
	v_ashrrev_i32_e32 v3, 31, v3
	v_and_b32_e32 v11, v11, v26
	v_xor_b32_e32 v26, s13, v3
	v_xor_b32_e32 v3, s12, v3
	v_and_b32_e32 v10, v10, v3
	v_lshlrev_b32_e32 v3, 28, v4
	v_cmp_gt_i64_e64 s[12:13], 0, v[2:3]
	v_not_b32_e32 v3, v3
	v_ashrrev_i32_e32 v3, 31, v3
	v_and_b32_e32 v11, v11, v26
	;; [unrolled: 8-line block ×5, first 2 shown]
	v_xor_b32_e32 v26, s13, v3
	v_xor_b32_e32 v3, s12, v3
	v_and_b32_e32 v10, v10, v3
	v_lshlrev_b32_e32 v3, 24, v4
	v_cmp_gt_i64_e64 s[12:13], 0, v[2:3]
	v_not_b32_e32 v3, v3
	v_ashrrev_i32_e32 v3, 31, v3
	v_xor_b32_e32 v4, s13, v3
	v_xor_b32_e32 v3, s12, v3
	; wave barrier
	ds_read_b32 v24, v25 offset:32
	v_and_b32_e32 v11, v11, v26
	v_and_b32_e32 v10, v10, v3
	;; [unrolled: 1-line block ×3, first 2 shown]
	v_mbcnt_lo_u32_b32 v3, v10, 0
	v_mbcnt_hi_u32_b32 v26, v11, v3
	v_cmp_eq_u32_e64 s[12:13], 0, v26
	v_cmp_ne_u64_e64 s[14:15], 0, v[10:11]
	s_and_b64 s[14:15], s[14:15], s[12:13]
	; wave barrier
	s_and_saveexec_b64 s[12:13], s[14:15]
	s_cbranch_execz .LBB86_19
; %bb.18:
	v_bcnt_u32_b32 v3, v10, 0
	v_bcnt_u32_b32 v3, v11, v3
	s_waitcnt lgkmcnt(0)
	v_add_u32_e32 v3, v24, v3
	ds_write_b32 v25, v3 offset:32
.LBB86_19:
	s_or_b64 exec, exec, s[12:13]
	v_xor_b32_e32 v10, 0x7fffffff, v5
	v_lshrrev_b32_e32 v3, s48, v10
	v_and_b32_e32 v4, s33, v3
	v_lshl_add_u32 v3, v4, 3, v4
	v_add_lshl_u32 v27, v23, v3, 2
	v_and_b32_e32 v3, 1, v4
	v_add_co_u32_e64 v5, s[12:13], -1, v3
	v_addc_co_u32_e64 v28, s[12:13], 0, -1, s[12:13]
	v_cmp_ne_u32_e64 s[12:13], 0, v3
	v_xor_b32_e32 v3, s13, v28
	v_and_b32_e32 v28, exec_hi, v3
	v_lshlrev_b32_e32 v3, 30, v4
	v_xor_b32_e32 v5, s12, v5
	v_cmp_gt_i64_e64 s[12:13], 0, v[2:3]
	v_not_b32_e32 v3, v3
	v_ashrrev_i32_e32 v3, 31, v3
	v_and_b32_e32 v5, exec_lo, v5
	v_xor_b32_e32 v29, s13, v3
	v_xor_b32_e32 v3, s12, v3
	v_and_b32_e32 v5, v5, v3
	v_lshlrev_b32_e32 v3, 29, v4
	v_cmp_gt_i64_e64 s[12:13], 0, v[2:3]
	v_not_b32_e32 v3, v3
	v_ashrrev_i32_e32 v3, 31, v3
	v_and_b32_e32 v28, v28, v29
	v_xor_b32_e32 v29, s13, v3
	v_xor_b32_e32 v3, s12, v3
	v_and_b32_e32 v5, v5, v3
	v_lshlrev_b32_e32 v3, 28, v4
	v_cmp_gt_i64_e64 s[12:13], 0, v[2:3]
	v_not_b32_e32 v3, v3
	v_ashrrev_i32_e32 v3, 31, v3
	v_and_b32_e32 v28, v28, v29
	;; [unrolled: 8-line block ×5, first 2 shown]
	v_xor_b32_e32 v29, s13, v3
	v_xor_b32_e32 v3, s12, v3
	v_and_b32_e32 v5, v5, v3
	v_lshlrev_b32_e32 v3, 24, v4
	v_cmp_gt_i64_e64 s[12:13], 0, v[2:3]
	v_not_b32_e32 v2, v3
	v_ashrrev_i32_e32 v2, 31, v2
	v_xor_b32_e32 v3, s13, v2
	v_xor_b32_e32 v2, s12, v2
	; wave barrier
	ds_read_b32 v11, v27 offset:32
	v_and_b32_e32 v28, v28, v29
	v_and_b32_e32 v2, v5, v2
	;; [unrolled: 1-line block ×3, first 2 shown]
	v_mbcnt_lo_u32_b32 v4, v2, 0
	v_mbcnt_hi_u32_b32 v29, v3, v4
	v_cmp_eq_u32_e64 s[12:13], 0, v29
	v_cmp_ne_u64_e64 s[14:15], 0, v[2:3]
	s_and_b64 s[14:15], s[14:15], s[12:13]
	; wave barrier
	s_and_saveexec_b64 s[12:13], s[14:15]
	s_cbranch_execz .LBB86_21
; %bb.20:
	v_bcnt_u32_b32 v2, v2, 0
	v_bcnt_u32_b32 v2, v3, v2
	s_waitcnt lgkmcnt(0)
	v_add_u32_e32 v2, v11, v2
	ds_write_b32 v27, v2 offset:32
.LBB86_21:
	s_or_b64 exec, exec, s[12:13]
	v_xor_b32_e32 v6, 0x7fffffff, v6
	v_lshrrev_b32_e32 v2, s48, v6
	v_and_b32_e32 v4, s33, v2
	v_and_b32_e32 v3, 1, v4
	v_add_co_u32_e64 v5, s[12:13], -1, v3
	v_addc_co_u32_e64 v31, s[12:13], 0, -1, s[12:13]
	v_cmp_ne_u32_e64 s[12:13], 0, v3
	v_lshl_add_u32 v2, v4, 3, v4
	v_xor_b32_e32 v3, s13, v31
	v_add_lshl_u32 v28, v23, v2, 2
	v_mov_b32_e32 v2, 0
	v_and_b32_e32 v31, exec_hi, v3
	v_lshlrev_b32_e32 v3, 30, v4
	v_xor_b32_e32 v5, s12, v5
	v_cmp_gt_i64_e64 s[12:13], 0, v[2:3]
	v_not_b32_e32 v3, v3
	v_ashrrev_i32_e32 v3, 31, v3
	v_and_b32_e32 v5, exec_lo, v5
	v_xor_b32_e32 v32, s13, v3
	v_xor_b32_e32 v3, s12, v3
	v_and_b32_e32 v5, v5, v3
	v_lshlrev_b32_e32 v3, 29, v4
	v_cmp_gt_i64_e64 s[12:13], 0, v[2:3]
	v_not_b32_e32 v3, v3
	v_ashrrev_i32_e32 v3, 31, v3
	v_and_b32_e32 v31, v31, v32
	v_xor_b32_e32 v32, s13, v3
	v_xor_b32_e32 v3, s12, v3
	v_and_b32_e32 v5, v5, v3
	v_lshlrev_b32_e32 v3, 28, v4
	v_cmp_gt_i64_e64 s[12:13], 0, v[2:3]
	v_not_b32_e32 v3, v3
	v_ashrrev_i32_e32 v3, 31, v3
	v_and_b32_e32 v31, v31, v32
	;; [unrolled: 8-line block ×5, first 2 shown]
	v_xor_b32_e32 v32, s13, v3
	v_xor_b32_e32 v3, s12, v3
	v_and_b32_e32 v31, v31, v32
	v_and_b32_e32 v32, v5, v3
	v_lshlrev_b32_e32 v3, 24, v4
	v_cmp_gt_i64_e64 s[12:13], 0, v[2:3]
	v_not_b32_e32 v3, v3
	v_ashrrev_i32_e32 v3, 31, v3
	v_xor_b32_e32 v4, s13, v3
	v_xor_b32_e32 v3, s12, v3
	; wave barrier
	ds_read_b32 v30, v28 offset:32
	v_and_b32_e32 v5, v31, v4
	v_and_b32_e32 v4, v32, v3
	v_mbcnt_lo_u32_b32 v3, v4, 0
	v_mbcnt_hi_u32_b32 v31, v5, v3
	v_cmp_eq_u32_e64 s[12:13], 0, v31
	v_cmp_ne_u64_e64 s[14:15], 0, v[4:5]
	s_and_b64 s[14:15], s[14:15], s[12:13]
	; wave barrier
	s_and_saveexec_b64 s[12:13], s[14:15]
	s_cbranch_execz .LBB86_23
; %bb.22:
	v_bcnt_u32_b32 v3, v4, 0
	v_bcnt_u32_b32 v3, v5, v3
	s_waitcnt lgkmcnt(0)
	v_add_u32_e32 v3, v30, v3
	ds_write_b32 v28, v3 offset:32
.LBB86_23:
	s_or_b64 exec, exec, s[12:13]
	v_xor_b32_e32 v7, 0x7fffffff, v7
	v_lshrrev_b32_e32 v3, s48, v7
	v_and_b32_e32 v4, s33, v3
	v_lshl_add_u32 v3, v4, 3, v4
	v_add_lshl_u32 v33, v23, v3, 2
	v_and_b32_e32 v3, 1, v4
	v_add_co_u32_e64 v5, s[12:13], -1, v3
	v_addc_co_u32_e64 v23, s[12:13], 0, -1, s[12:13]
	v_cmp_ne_u32_e64 s[12:13], 0, v3
	v_xor_b32_e32 v3, s13, v23
	v_and_b32_e32 v23, exec_hi, v3
	v_lshlrev_b32_e32 v3, 30, v4
	v_xor_b32_e32 v5, s12, v5
	v_cmp_gt_i64_e64 s[12:13], 0, v[2:3]
	v_not_b32_e32 v3, v3
	v_ashrrev_i32_e32 v3, 31, v3
	v_and_b32_e32 v5, exec_lo, v5
	v_xor_b32_e32 v35, s13, v3
	v_xor_b32_e32 v3, s12, v3
	v_and_b32_e32 v5, v5, v3
	v_lshlrev_b32_e32 v3, 29, v4
	v_cmp_gt_i64_e64 s[12:13], 0, v[2:3]
	v_not_b32_e32 v3, v3
	v_ashrrev_i32_e32 v3, 31, v3
	v_and_b32_e32 v23, v23, v35
	v_xor_b32_e32 v35, s13, v3
	v_xor_b32_e32 v3, s12, v3
	v_and_b32_e32 v5, v5, v3
	v_lshlrev_b32_e32 v3, 28, v4
	v_cmp_gt_i64_e64 s[12:13], 0, v[2:3]
	v_not_b32_e32 v3, v3
	v_ashrrev_i32_e32 v3, 31, v3
	v_and_b32_e32 v23, v23, v35
	;; [unrolled: 8-line block ×5, first 2 shown]
	v_xor_b32_e32 v35, s13, v3
	v_xor_b32_e32 v3, s12, v3
	v_and_b32_e32 v5, v5, v3
	v_lshlrev_b32_e32 v3, 24, v4
	v_cmp_gt_i64_e64 s[12:13], 0, v[2:3]
	v_not_b32_e32 v2, v3
	v_ashrrev_i32_e32 v2, 31, v2
	v_xor_b32_e32 v3, s13, v2
	v_xor_b32_e32 v2, s12, v2
	; wave barrier
	ds_read_b32 v32, v33 offset:32
	v_and_b32_e32 v23, v23, v35
	v_and_b32_e32 v2, v5, v2
	v_and_b32_e32 v3, v23, v3
	v_mbcnt_lo_u32_b32 v4, v2, 0
	v_mbcnt_hi_u32_b32 v35, v3, v4
	v_cmp_eq_u32_e64 s[12:13], 0, v35
	v_cmp_ne_u64_e64 s[14:15], 0, v[2:3]
	v_add_u32_e32 v34, 32, v17
	s_and_b64 s[14:15], s[14:15], s[12:13]
	; wave barrier
	s_and_saveexec_b64 s[12:13], s[14:15]
	s_cbranch_execz .LBB86_25
; %bb.24:
	v_bcnt_u32_b32 v2, v2, 0
	v_bcnt_u32_b32 v2, v3, v2
	s_waitcnt lgkmcnt(0)
	v_add_u32_e32 v2, v32, v2
	ds_write_b32 v33, v2 offset:32
.LBB86_25:
	s_or_b64 exec, exec, s[12:13]
	; wave barrier
	s_waitcnt lgkmcnt(0)
	s_barrier
	ds_read2_b32 v[4:5], v17 offset0:8 offset1:9
	ds_read2_b32 v[2:3], v34 offset0:2 offset1:3
	ds_read_b32 v23, v34 offset:16
	v_min_u32_e32 v15, 0x1c0, v15
	v_or_b32_e32 v15, 63, v15
	s_waitcnt lgkmcnt(1)
	v_add3_u32 v36, v5, v4, v2
	s_waitcnt lgkmcnt(0)
	v_add3_u32 v23, v36, v3, v23
	v_and_b32_e32 v36, 15, v14
	v_cmp_ne_u32_e64 s[12:13], 0, v36
	v_mov_b32_dpp v37, v23 row_shr:1 row_mask:0xf bank_mask:0xf
	v_cndmask_b32_e64 v37, 0, v37, s[12:13]
	v_add_u32_e32 v23, v37, v23
	v_cmp_lt_u32_e64 s[12:13], 1, v36
	s_nop 0
	v_mov_b32_dpp v37, v23 row_shr:2 row_mask:0xf bank_mask:0xf
	v_cndmask_b32_e64 v37, 0, v37, s[12:13]
	v_add_u32_e32 v23, v23, v37
	v_cmp_lt_u32_e64 s[12:13], 3, v36
	s_nop 0
	;; [unrolled: 5-line block ×3, first 2 shown]
	v_mov_b32_dpp v37, v23 row_shr:8 row_mask:0xf bank_mask:0xf
	v_cndmask_b32_e64 v36, 0, v37, s[12:13]
	v_add_u32_e32 v23, v23, v36
	v_bfe_i32 v37, v14, 4, 1
	v_cmp_lt_u32_e64 s[12:13], 31, v14
	v_mov_b32_dpp v36, v23 row_bcast:15 row_mask:0xf bank_mask:0xf
	v_and_b32_e32 v36, v37, v36
	v_add_u32_e32 v23, v23, v36
	v_lshrrev_b32_e32 v37, 6, v8
	s_nop 0
	v_mov_b32_dpp v36, v23 row_bcast:31 row_mask:0xf bank_mask:0xf
	v_cndmask_b32_e64 v36, 0, v36, s[12:13]
	v_add_u32_e32 v36, v23, v36
	v_cmp_eq_u32_e64 s[12:13], v15, v8
	s_and_saveexec_b64 s[14:15], s[12:13]
	s_cbranch_execz .LBB86_27
; %bb.26:
	v_lshlrev_b32_e32 v15, 2, v37
	ds_write_b32 v15, v36
.LBB86_27:
	s_or_b64 exec, exec, s[14:15]
	v_cmp_gt_u32_e64 s[12:13], 8, v8
	v_lshlrev_b32_e32 v23, 2, v8
	s_waitcnt lgkmcnt(0)
	s_barrier
	s_and_saveexec_b64 s[14:15], s[12:13]
	s_cbranch_execz .LBB86_29
; %bb.28:
	ds_read_b32 v15, v23
	v_and_b32_e32 v38, 7, v14
	v_cmp_ne_u32_e64 s[12:13], 0, v38
	s_waitcnt lgkmcnt(0)
	v_mov_b32_dpp v39, v15 row_shr:1 row_mask:0xf bank_mask:0xf
	v_cndmask_b32_e64 v39, 0, v39, s[12:13]
	v_add_u32_e32 v15, v39, v15
	v_cmp_lt_u32_e64 s[12:13], 1, v38
	s_nop 0
	v_mov_b32_dpp v39, v15 row_shr:2 row_mask:0xf bank_mask:0xf
	v_cndmask_b32_e64 v39, 0, v39, s[12:13]
	v_add_u32_e32 v15, v15, v39
	v_cmp_lt_u32_e64 s[12:13], 3, v38
	s_nop 0
	v_mov_b32_dpp v39, v15 row_shr:4 row_mask:0xf bank_mask:0xf
	v_cndmask_b32_e64 v38, 0, v39, s[12:13]
	v_add_u32_e32 v15, v15, v38
	ds_write_b32 v23, v15
.LBB86_29:
	s_or_b64 exec, exec, s[14:15]
	v_cmp_lt_u32_e64 s[12:13], 63, v8
	v_mov_b32_e32 v15, 0
	s_waitcnt lgkmcnt(0)
	s_barrier
	s_and_saveexec_b64 s[14:15], s[12:13]
	s_cbranch_execz .LBB86_31
; %bb.30:
	v_lshl_add_u32 v15, v37, 2, -4
	ds_read_b32 v15, v15
.LBB86_31:
	s_or_b64 exec, exec, s[14:15]
	v_add_u32_e32 v37, -1, v14
	v_and_b32_e32 v38, 64, v14
	v_cmp_lt_i32_e64 s[12:13], v37, v38
	v_cndmask_b32_e64 v37, v37, v14, s[12:13]
	s_waitcnt lgkmcnt(0)
	v_add_u32_e32 v36, v15, v36
	v_lshlrev_b32_e32 v37, 2, v37
	ds_bpermute_b32 v36, v37, v36
	v_cmp_eq_u32_e64 s[12:13], 0, v14
	s_waitcnt lgkmcnt(0)
	v_cndmask_b32_e64 v15, v36, v15, s[12:13]
	v_cmp_ne_u32_e64 s[12:13], 0, v8
	v_cndmask_b32_e64 v15, 0, v15, s[12:13]
	v_add_u32_e32 v4, v15, v4
	v_add_u32_e32 v5, v4, v5
	;; [unrolled: 1-line block ×4, first 2 shown]
	ds_write2_b32 v17, v15, v4 offset0:8 offset1:9
	ds_write2_b32 v34, v5, v2 offset0:2 offset1:3
	ds_write_b32 v34, v3 offset:16
	s_waitcnt lgkmcnt(0)
	s_barrier
	ds_read_b32 v4, v19 offset:32
	ds_read_b32 v5, v20 offset:32
	;; [unrolled: 1-line block ×6, first 2 shown]
	s_movk_i32 s12, 0x100
	v_cmp_gt_u32_e64 s[12:13], s12, v8
	v_pk_mov_b32 v[2:3], 0, 0
                                        ; implicit-def: $vgpr20
	s_and_saveexec_b64 s[16:17], s[12:13]
	s_cbranch_execz .LBB86_35
; %bb.32:
	v_mul_u32_u24_e32 v2, 9, v8
	v_lshlrev_b32_e32 v20, 2, v2
	ds_read_b32 v2, v20 offset:32
	s_movk_i32 s14, 0xff
	v_cmp_ne_u32_e64 s[14:15], s14, v8
	v_mov_b32_e32 v3, 0xc00
	s_and_saveexec_b64 s[18:19], s[14:15]
	s_cbranch_execz .LBB86_34
; %bb.33:
	ds_read_b32 v3, v20 offset:68
.LBB86_34:
	s_or_b64 exec, exec, s[18:19]
	s_waitcnt lgkmcnt(0)
	v_sub_u32_e32 v20, v3, v2
	v_mov_b32_e32 v3, 0
.LBB86_35:
	s_or_b64 exec, exec, s[16:17]
	s_waitcnt lgkmcnt(5)
	v_add_u32_e32 v28, v4, v18
	s_waitcnt lgkmcnt(4)
	v_add3_u32 v27, v21, v13, v5
	v_lshlrev_b32_e32 v4, 2, v28
	s_waitcnt lgkmcnt(3)
	v_add3_u32 v26, v26, v24, v15
	s_waitcnt lgkmcnt(0)
	s_barrier
	ds_write_b32 v4, v16 offset:2048
	v_lshlrev_b32_e32 v4, 2, v27
	v_add3_u32 v25, v29, v11, v17
	ds_write_b32 v4, v12 offset:2048
	v_lshlrev_b32_e32 v4, 2, v26
	v_add3_u32 v24, v31, v30, v19
	ds_write_b32 v4, v22 offset:2048
	v_lshlrev_b32_e32 v4, 2, v25
	v_add3_u32 v21, v35, v32, v33
	ds_write_b32 v4, v10 offset:2048
	v_lshlrev_b32_e32 v4, 2, v24
	ds_write_b32 v4, v6 offset:2048
	v_lshlrev_b32_e32 v4, 2, v21
	ds_write_b32 v4, v7 offset:2048
	s_waitcnt lgkmcnt(0)
	s_barrier
	s_and_saveexec_b64 s[16:17], s[12:13]
	s_cbranch_execz .LBB86_45
; %bb.36:
	v_lshl_or_b32 v4, s6, 8, v8
	v_mov_b32_e32 v5, 0
	v_lshlrev_b64 v[6:7], 2, v[4:5]
	v_mov_b32_e32 v12, s35
	v_add_co_u32_e64 v6, s[14:15], s34, v6
	v_addc_co_u32_e64 v7, s[14:15], v12, v7, s[14:15]
	v_or_b32_e32 v4, 2.0, v20
	s_mov_b64 s[18:19], 0
	s_brev_b32 s24, 1
	s_mov_b32 s25, s6
	v_mov_b32_e32 v13, 0
	global_store_dword v[6:7], v4, off
                                        ; implicit-def: $sgpr14_sgpr15
	s_branch .LBB86_38
.LBB86_37:                              ;   in Loop: Header=BB86_38 Depth=1
	s_or_b64 exec, exec, s[20:21]
	v_and_b32_e32 v10, 0x3fffffff, v15
	v_add_u32_e32 v13, v10, v13
	v_cmp_eq_u32_e64 s[14:15], s24, v4
	s_and_b64 s[20:21], exec, s[14:15]
	s_or_b64 s[18:19], s[20:21], s[18:19]
	s_andn2_b64 exec, exec, s[18:19]
	s_cbranch_execz .LBB86_44
.LBB86_38:                              ; =>This Loop Header: Depth=1
                                        ;     Child Loop BB86_41 Depth 2
	s_or_b64 s[14:15], s[14:15], exec
	s_cmp_eq_u32 s25, 0
	s_cbranch_scc1 .LBB86_43
; %bb.39:                               ;   in Loop: Header=BB86_38 Depth=1
	s_add_i32 s25, s25, -1
	v_lshl_or_b32 v4, s25, 8, v8
	v_lshlrev_b64 v[10:11], 2, v[4:5]
	v_add_co_u32_e64 v10, s[14:15], s34, v10
	v_addc_co_u32_e64 v11, s[14:15], v12, v11, s[14:15]
	global_load_dword v15, v[10:11], off glc
	s_waitcnt vmcnt(0)
	v_and_b32_e32 v4, -2.0, v15
	v_cmp_eq_u32_e64 s[14:15], 0, v4
	s_and_saveexec_b64 s[20:21], s[14:15]
	s_cbranch_execz .LBB86_37
; %bb.40:                               ;   in Loop: Header=BB86_38 Depth=1
	s_mov_b64 s[22:23], 0
.LBB86_41:                              ;   Parent Loop BB86_38 Depth=1
                                        ; =>  This Inner Loop Header: Depth=2
	global_load_dword v15, v[10:11], off glc
	s_waitcnt vmcnt(0)
	v_and_b32_e32 v4, -2.0, v15
	v_cmp_ne_u32_e64 s[14:15], 0, v4
	s_or_b64 s[22:23], s[14:15], s[22:23]
	s_andn2_b64 exec, exec, s[22:23]
	s_cbranch_execnz .LBB86_41
; %bb.42:                               ;   in Loop: Header=BB86_38 Depth=1
	s_or_b64 exec, exec, s[22:23]
	s_branch .LBB86_37
.LBB86_43:                              ;   in Loop: Header=BB86_38 Depth=1
                                        ; implicit-def: $sgpr25
	s_and_b64 s[20:21], exec, s[14:15]
	s_or_b64 s[18:19], s[20:21], s[18:19]
	s_andn2_b64 exec, exec, s[18:19]
	s_cbranch_execnz .LBB86_38
.LBB86_44:
	s_or_b64 exec, exec, s[18:19]
	v_add_u32_e32 v4, v13, v20
	v_or_b32_e32 v4, 0x80000000, v4
	global_store_dword v[6:7], v4, off
	v_lshlrev_b32_e32 v6, 3, v8
	global_load_dwordx2 v[4:5], v6, s[44:45]
	v_sub_co_u32_e64 v7, s[14:15], v13, v2
	v_subb_co_u32_e64 v10, s[14:15], 0, v3, s[14:15]
	s_waitcnt vmcnt(0)
	v_add_co_u32_e64 v4, s[14:15], v7, v4
	v_addc_co_u32_e64 v5, s[14:15], v10, v5, s[14:15]
	ds_write_b64 v6, v[4:5]
.LBB86_45:
	s_or_b64 exec, exec, s[16:17]
	v_cmp_gt_u32_e64 s[14:15], s50, v8
	s_waitcnt lgkmcnt(0)
	s_barrier
	s_and_saveexec_b64 s[18:19], s[14:15]
	s_cbranch_execz .LBB86_47
; %bb.46:
	ds_read_b32 v6, v23 offset:2048
	v_mov_b32_e32 v7, s39
	s_waitcnt lgkmcnt(0)
	v_lshrrev_b32_e32 v4, s48, v6
	v_and_b32_e32 v4, s33, v4
	v_lshlrev_b32_e32 v4, 3, v4
	ds_read_b64 v[4:5], v4
	v_xor_b32_e32 v6, 0x7fffffff, v6
	s_waitcnt lgkmcnt(0)
	v_lshlrev_b64 v[4:5], 2, v[4:5]
	v_add_co_u32_e64 v4, s[16:17], s38, v4
	v_addc_co_u32_e64 v5, s[16:17], v7, v5, s[16:17]
	v_add_co_u32_e64 v4, s[16:17], v4, v23
	v_addc_co_u32_e64 v5, s[16:17], 0, v5, s[16:17]
	global_store_dword v[4:5], v6, off
.LBB86_47:
	s_or_b64 exec, exec, s[18:19]
	v_add_u32_e32 v22, 0x200, v8
	v_cmp_gt_u32_e64 s[16:17], s50, v22
	s_and_saveexec_b64 s[20:21], s[16:17]
	s_cbranch_execz .LBB86_49
; %bb.48:
	ds_read_b32 v6, v23 offset:4096
	v_mov_b32_e32 v7, s39
	s_waitcnt lgkmcnt(0)
	v_lshrrev_b32_e32 v4, s48, v6
	v_and_b32_e32 v4, s33, v4
	v_lshlrev_b32_e32 v4, 3, v4
	ds_read_b64 v[4:5], v4
	v_xor_b32_e32 v6, 0x7fffffff, v6
	s_waitcnt lgkmcnt(0)
	v_lshlrev_b64 v[4:5], 2, v[4:5]
	v_add_co_u32_e64 v4, s[18:19], s38, v4
	v_addc_co_u32_e64 v5, s[18:19], v7, v5, s[18:19]
	v_add_co_u32_e64 v4, s[18:19], v4, v23
	v_addc_co_u32_e64 v5, s[18:19], 0, v5, s[18:19]
	global_store_dword v[4:5], v6, off offset:2048
.LBB86_49:
	s_or_b64 exec, exec, s[20:21]
	v_or_b32_e32 v29, 0x400, v8
	v_cmp_gt_u32_e64 s[18:19], s50, v29
	s_and_saveexec_b64 s[22:23], s[18:19]
	s_cbranch_execz .LBB86_51
; %bb.50:
	ds_read_b32 v6, v23 offset:6144
	v_mov_b32_e32 v7, s39
	v_lshlrev_b32_e32 v10, 2, v29
	s_waitcnt lgkmcnt(0)
	v_lshrrev_b32_e32 v4, s48, v6
	v_and_b32_e32 v4, s33, v4
	v_lshlrev_b32_e32 v4, 3, v4
	ds_read_b64 v[4:5], v4
	v_xor_b32_e32 v6, 0x7fffffff, v6
	s_waitcnt lgkmcnt(0)
	v_lshlrev_b64 v[4:5], 2, v[4:5]
	v_add_co_u32_e64 v4, s[20:21], s38, v4
	v_addc_co_u32_e64 v5, s[20:21], v7, v5, s[20:21]
	v_add_co_u32_e64 v4, s[20:21], v4, v10
	v_addc_co_u32_e64 v5, s[20:21], 0, v5, s[20:21]
	global_store_dword v[4:5], v6, off
.LBB86_51:
	s_or_b64 exec, exec, s[22:23]
	v_add_u32_e32 v30, 0x600, v8
	v_cmp_gt_u32_e64 s[20:21], s50, v30
	s_and_saveexec_b64 s[24:25], s[20:21]
	s_cbranch_execz .LBB86_53
; %bb.52:
	ds_read_b32 v6, v23 offset:8192
	v_mov_b32_e32 v7, s39
	v_lshlrev_b32_e32 v10, 2, v30
	s_waitcnt lgkmcnt(0)
	v_lshrrev_b32_e32 v4, s48, v6
	v_and_b32_e32 v4, s33, v4
	v_lshlrev_b32_e32 v4, 3, v4
	ds_read_b64 v[4:5], v4
	v_xor_b32_e32 v6, 0x7fffffff, v6
	s_waitcnt lgkmcnt(0)
	v_lshlrev_b64 v[4:5], 2, v[4:5]
	v_add_co_u32_e64 v4, s[22:23], s38, v4
	v_addc_co_u32_e64 v5, s[22:23], v7, v5, s[22:23]
	v_add_co_u32_e64 v4, s[22:23], v4, v10
	v_addc_co_u32_e64 v5, s[22:23], 0, v5, s[22:23]
	global_store_dword v[4:5], v6, off
.LBB86_53:
	s_or_b64 exec, exec, s[24:25]
	v_or_b32_e32 v31, 0x800, v8
	v_cmp_gt_u32_e64 s[22:23], s50, v31
	s_and_saveexec_b64 s[28:29], s[22:23]
	s_cbranch_execz .LBB86_55
; %bb.54:
	ds_read_b32 v6, v23 offset:10240
	v_mov_b32_e32 v7, s39
	v_lshlrev_b32_e32 v10, 2, v31
	s_waitcnt lgkmcnt(0)
	v_lshrrev_b32_e32 v4, s48, v6
	v_and_b32_e32 v4, s33, v4
	v_lshlrev_b32_e32 v4, 3, v4
	ds_read_b64 v[4:5], v4
	v_xor_b32_e32 v6, 0x7fffffff, v6
	s_waitcnt lgkmcnt(0)
	v_lshlrev_b64 v[4:5], 2, v[4:5]
	v_add_co_u32_e64 v4, s[24:25], s38, v4
	v_addc_co_u32_e64 v5, s[24:25], v7, v5, s[24:25]
	v_add_co_u32_e64 v4, s[24:25], v4, v10
	v_addc_co_u32_e64 v5, s[24:25], 0, v5, s[24:25]
	global_store_dword v[4:5], v6, off
.LBB86_55:
	s_or_b64 exec, exec, s[28:29]
	v_add_u32_e32 v32, 0xa00, v8
	v_cmp_gt_u32_e64 s[24:25], s50, v32
	s_and_saveexec_b64 s[50:51], s[24:25]
	s_cbranch_execz .LBB86_57
; %bb.56:
	ds_read_b32 v6, v23 offset:12288
	v_mov_b32_e32 v7, s39
	v_lshlrev_b32_e32 v10, 2, v32
	s_waitcnt lgkmcnt(0)
	v_lshrrev_b32_e32 v4, s48, v6
	v_and_b32_e32 v4, s33, v4
	v_lshlrev_b32_e32 v4, 3, v4
	ds_read_b64 v[4:5], v4
	v_xor_b32_e32 v6, 0x7fffffff, v6
	s_waitcnt lgkmcnt(0)
	v_lshlrev_b64 v[4:5], 2, v[4:5]
	v_add_co_u32_e64 v4, s[28:29], s38, v4
	v_addc_co_u32_e64 v5, s[28:29], v7, v5, s[28:29]
	v_add_co_u32_e64 v4, s[28:29], v4, v10
	v_addc_co_u32_e64 v5, s[28:29], 0, v5, s[28:29]
	global_store_dword v[4:5], v6, off
.LBB86_57:
	s_or_b64 exec, exec, s[50:51]
	s_lshl_b64 s[28:29], s[30:31], 3
	s_add_u32 s28, s40, s28
	s_addc_u32 s29, s41, s29
	v_lshlrev_b32_e32 v4, 3, v14
	v_mov_b32_e32 v5, s29
	v_add_co_u32_e64 v4, s[28:29], s28, v4
	v_addc_co_u32_e64 v5, s[28:29], 0, v5, s[28:29]
	v_lshlrev_b32_e32 v6, 3, v9
	v_add_co_u32_e64 v18, s[28:29], v4, v6
	v_addc_co_u32_e64 v19, s[28:29], 0, v5, s[28:29]
                                        ; implicit-def: $vgpr4_vgpr5
	s_and_saveexec_b64 s[28:29], vcc
	s_xor_b64 s[28:29], exec, s[28:29]
	s_cbranch_execnz .LBB86_127
; %bb.58:
	s_or_b64 exec, exec, s[28:29]
                                        ; implicit-def: $vgpr6_vgpr7
	s_and_saveexec_b64 s[28:29], s[0:1]
	s_cbranch_execnz .LBB86_128
.LBB86_59:
	s_or_b64 exec, exec, s[28:29]
                                        ; implicit-def: $vgpr10_vgpr11
	s_and_saveexec_b64 s[0:1], s[2:3]
	s_cbranch_execnz .LBB86_129
.LBB86_60:
	s_or_b64 exec, exec, s[0:1]
                                        ; implicit-def: $vgpr12_vgpr13
	s_and_saveexec_b64 s[0:1], s[26:27]
	s_cbranch_execnz .LBB86_130
.LBB86_61:
	s_or_b64 exec, exec, s[0:1]
                                        ; implicit-def: $vgpr14_vgpr15
	s_and_saveexec_b64 s[0:1], s[8:9]
	s_cbranch_execnz .LBB86_131
.LBB86_62:
	s_or_b64 exec, exec, s[0:1]
                                        ; implicit-def: $vgpr16_vgpr17
	s_and_saveexec_b64 s[0:1], s[10:11]
	s_cbranch_execz .LBB86_64
.LBB86_63:
	global_load_dwordx2 v[16:17], v[18:19], off offset:2560
.LBB86_64:
	s_or_b64 exec, exec, s[0:1]
	v_mov_b32_e32 v33, 0
	v_mov_b32_e32 v35, 0
	s_and_saveexec_b64 s[0:1], s[14:15]
	s_cbranch_execz .LBB86_66
; %bb.65:
	ds_read_b32 v9, v23 offset:2048
	s_waitcnt lgkmcnt(0)
	v_lshrrev_b32_e32 v9, s48, v9
	v_and_b32_e32 v35, s33, v9
.LBB86_66:
	s_or_b64 exec, exec, s[0:1]
	s_and_saveexec_b64 s[0:1], s[16:17]
	s_cbranch_execz .LBB86_68
; %bb.67:
	ds_read_b32 v9, v23 offset:4096
	s_waitcnt lgkmcnt(0)
	v_lshrrev_b32_e32 v9, s48, v9
	v_and_b32_e32 v33, s33, v9
.LBB86_68:
	s_or_b64 exec, exec, s[0:1]
	v_mov_b32_e32 v18, 0
	v_mov_b32_e32 v34, 0
	s_and_saveexec_b64 s[0:1], s[18:19]
	s_cbranch_execz .LBB86_70
; %bb.69:
	ds_read_b32 v9, v23 offset:6144
	s_waitcnt lgkmcnt(0)
	v_lshrrev_b32_e32 v9, s48, v9
	v_and_b32_e32 v34, s33, v9
.LBB86_70:
	s_or_b64 exec, exec, s[0:1]
	s_and_saveexec_b64 s[0:1], s[20:21]
	s_cbranch_execz .LBB86_72
; %bb.71:
	ds_read_b32 v9, v23 offset:8192
	s_waitcnt lgkmcnt(0)
	v_lshrrev_b32_e32 v9, s48, v9
	v_and_b32_e32 v18, s33, v9
.LBB86_72:
	;; [unrolled: 20-line block ×3, first 2 shown]
	s_or_b64 exec, exec, s[0:1]
	v_lshlrev_b32_e32 v23, 3, v28
	s_barrier
	s_waitcnt vmcnt(0)
	ds_write_b64 v23, v[4:5] offset:2048
	v_lshlrev_b32_e32 v4, 3, v27
	ds_write_b64 v4, v[6:7] offset:2048
	v_lshlrev_b32_e32 v4, 3, v26
	;; [unrolled: 2-line block ×6, first 2 shown]
	s_waitcnt lgkmcnt(0)
	s_barrier
	s_and_saveexec_b64 s[0:1], s[14:15]
	s_cbranch_execnz .LBB86_132
; %bb.77:
	s_or_b64 exec, exec, s[0:1]
	s_and_saveexec_b64 s[0:1], s[16:17]
	s_cbranch_execnz .LBB86_133
.LBB86_78:
	s_or_b64 exec, exec, s[0:1]
	s_and_saveexec_b64 s[0:1], s[18:19]
	s_cbranch_execnz .LBB86_134
.LBB86_79:
	s_or_b64 exec, exec, s[0:1]
	s_and_saveexec_b64 s[0:1], s[20:21]
	s_cbranch_execnz .LBB86_135
.LBB86_80:
	s_or_b64 exec, exec, s[0:1]
	s_and_saveexec_b64 s[0:1], s[22:23]
	s_cbranch_execnz .LBB86_136
.LBB86_81:
	s_or_b64 exec, exec, s[0:1]
	s_and_saveexec_b64 s[0:1], s[24:25]
	s_cbranch_execz .LBB86_83
.LBB86_82:
	v_lshlrev_b32_e32 v5, 3, v9
	ds_read_b64 v[6:7], v5
	ds_read_b64 v[4:5], v4 offset:22528
	v_mov_b32_e32 v9, s43
	s_waitcnt lgkmcnt(1)
	v_lshlrev_b64 v[6:7], 3, v[6:7]
	v_add_co_u32_e32 v6, vcc, s42, v6
	v_addc_co_u32_e32 v7, vcc, v9, v7, vcc
	v_lshlrev_b32_e32 v9, 3, v32
	v_add_co_u32_e32 v6, vcc, v6, v9
	v_addc_co_u32_e32 v7, vcc, 0, v7, vcc
	s_waitcnt lgkmcnt(0)
	global_store_dwordx2 v[6:7], v[4:5], off
.LBB86_83:
	s_or_b64 exec, exec, s[0:1]
	s_add_i32 s7, s7, -1
	s_cmp_eq_u32 s6, s7
	s_cselect_b64 s[0:1], -1, 0
	s_and_b64 s[2:3], s[12:13], s[0:1]
	s_mov_b64 s[0:1], 0
	s_mov_b64 s[8:9], 0
                                        ; implicit-def: $vgpr4_vgpr5
	s_and_saveexec_b64 s[10:11], s[2:3]
	s_xor_b64 s[2:3], exec, s[10:11]
; %bb.84:
	v_add_co_u32_e32 v4, vcc, v2, v20
	s_mov_b64 s[8:9], exec
	v_mov_b32_e32 v9, 0
	v_addc_co_u32_e32 v5, vcc, 0, v3, vcc
; %bb.85:
	s_or_b64 exec, exec, s[2:3]
	s_and_b64 vcc, exec, s[0:1]
	s_cbranch_vccnz .LBB86_87
	s_branch .LBB86_124
.LBB86_86:
	s_mov_b64 s[8:9], 0
                                        ; implicit-def: $vgpr4_vgpr5
                                        ; implicit-def: $vgpr8_vgpr9
	s_cbranch_execz .LBB86_124
.LBB86_87:
	s_mov_b32 s31, 0
	s_lshl_b64 s[0:1], s[30:31], 2
	v_mbcnt_hi_u32_b32 v11, -1, v1
	s_add_u32 s0, s36, s0
	v_lshlrev_b32_e32 v1, 2, v11
	v_add_co_u32_e32 v1, vcc, s0, v1
	s_load_dword s7, s[4:5], 0x50
	s_load_dword s0, s[4:5], 0x5c
	v_and_b32_e32 v8, 0x3ff, v0
	s_addc_u32 s1, s37, s1
	v_and_b32_e32 v6, 0x1c0, v8
	v_mul_u32_u24_e32 v10, 6, v6
	v_mov_b32_e32 v3, s1
	v_addc_co_u32_e32 v3, vcc, 0, v3, vcc
	v_lshlrev_b32_e32 v4, 2, v10
	s_add_u32 s1, s4, 0x50
	v_add_co_u32_e32 v14, vcc, v1, v4
	s_addc_u32 s2, s5, 0
	s_waitcnt lgkmcnt(0)
	s_lshr_b32 s3, s0, 16
	v_addc_co_u32_e32 v15, vcc, 0, v3, vcc
	s_cmp_lt_u32 s6, s7
	global_load_dword v1, v[14:15], off
	s_cselect_b32 s0, 12, 18
	s_add_u32 s0, s1, s0
	v_mov_b32_e32 v2, 0
	s_addc_u32 s1, s2, 0
	global_load_ushort v3, v2, s[0:1]
	v_mul_u32_u24_e32 v5, 5, v8
	v_lshlrev_b32_e32 v5, 2, v5
	ds_write2_b32 v5, v2, v2 offset0:8 offset1:9
	ds_write2_b32 v5, v2, v2 offset0:10 offset1:11
	ds_write_b32 v5, v2 offset:48
	global_load_dword v12, v[14:15], off offset:256
	global_load_dword v16, v[14:15], off offset:512
	;; [unrolled: 1-line block ×5, first 2 shown]
	v_bfe_u32 v4, v0, 10, 10
	v_bfe_u32 v0, v0, 20, 10
	v_mad_u32_u24 v0, v0, s3, v4
	s_lshl_b32 s0, -1, s49
	s_not_b32 s14, s0
	s_waitcnt lgkmcnt(0)
	s_barrier
	s_waitcnt lgkmcnt(0)
	; wave barrier
	s_waitcnt vmcnt(6)
	v_xor_b32_e32 v4, 0x7fffffff, v1
	v_lshrrev_b32_e32 v1, s48, v4
	v_and_b32_e32 v9, s14, v1
	v_and_b32_e32 v7, 1, v9
	s_waitcnt vmcnt(5)
	v_mad_u64_u32 v[0:1], s[0:1], v0, v3, v[8:9]
	v_lshrrev_b32_e32 v19, 6, v0
	v_add_co_u32_e32 v0, vcc, -1, v7
	v_lshlrev_b32_e32 v3, 30, v9
	v_addc_co_u32_e64 v13, s[0:1], 0, -1, vcc
	v_lshl_add_u32 v1, v9, 3, v9
	v_cmp_ne_u32_e32 vcc, 0, v7
	v_cmp_gt_i64_e64 s[0:1], 0, v[2:3]
	v_not_b32_e32 v14, v3
	v_lshlrev_b32_e32 v3, 29, v9
	v_add_lshl_u32 v7, v19, v1, 2
	v_xor_b32_e32 v1, vcc_hi, v13
	v_xor_b32_e32 v0, vcc_lo, v0
	v_ashrrev_i32_e32 v13, 31, v14
	v_cmp_gt_i64_e32 vcc, 0, v[2:3]
	v_not_b32_e32 v14, v3
	v_lshlrev_b32_e32 v3, 28, v9
	v_and_b32_e32 v1, exec_hi, v1
	v_and_b32_e32 v0, exec_lo, v0
	v_xor_b32_e32 v15, s1, v13
	v_xor_b32_e32 v13, s0, v13
	v_ashrrev_i32_e32 v14, 31, v14
	v_cmp_gt_i64_e64 s[0:1], 0, v[2:3]
	v_not_b32_e32 v17, v3
	v_lshlrev_b32_e32 v3, 27, v9
	v_and_b32_e32 v1, v1, v15
	v_and_b32_e32 v0, v0, v13
	v_xor_b32_e32 v13, vcc_hi, v14
	v_xor_b32_e32 v14, vcc_lo, v14
	v_ashrrev_i32_e32 v15, 31, v17
	v_cmp_gt_i64_e32 vcc, 0, v[2:3]
	v_not_b32_e32 v3, v3
	v_and_b32_e32 v1, v1, v13
	v_and_b32_e32 v0, v0, v14
	v_xor_b32_e32 v13, s1, v15
	v_xor_b32_e32 v14, s0, v15
	v_ashrrev_i32_e32 v3, 31, v3
	v_and_b32_e32 v1, v1, v13
	v_and_b32_e32 v0, v0, v14
	v_xor_b32_e32 v13, vcc_hi, v3
	v_xor_b32_e32 v3, vcc_lo, v3
	v_and_b32_e32 v0, v0, v3
	v_lshlrev_b32_e32 v3, 26, v9
	v_cmp_gt_i64_e32 vcc, 0, v[2:3]
	v_not_b32_e32 v3, v3
	v_ashrrev_i32_e32 v3, 31, v3
	v_and_b32_e32 v1, v1, v13
	v_xor_b32_e32 v13, vcc_hi, v3
	v_xor_b32_e32 v3, vcc_lo, v3
	v_and_b32_e32 v0, v0, v3
	v_lshlrev_b32_e32 v3, 25, v9
	v_cmp_gt_i64_e32 vcc, 0, v[2:3]
	v_not_b32_e32 v3, v3
	v_ashrrev_i32_e32 v3, 31, v3
	;; [unrolled: 8-line block ×3, first 2 shown]
	v_xor_b32_e32 v9, vcc_hi, v3
	v_xor_b32_e32 v3, vcc_lo, v3
	v_and_b32_e32 v1, v1, v13
	v_and_b32_e32 v0, v0, v3
	;; [unrolled: 1-line block ×3, first 2 shown]
	v_mbcnt_lo_u32_b32 v3, v0, 0
	v_mbcnt_hi_u32_b32 v9, v1, v3
	v_cmp_eq_u32_e32 vcc, 0, v9
	v_cmp_ne_u64_e64 s[0:1], 0, v[0:1]
	s_and_b64 s[2:3], s[0:1], vcc
	s_and_saveexec_b64 s[0:1], s[2:3]
	s_cbranch_execz .LBB86_89
; %bb.88:
	v_bcnt_u32_b32 v0, v0, 0
	v_bcnt_u32_b32 v0, v1, v0
	ds_write_b32 v7, v0 offset:32
.LBB86_89:
	s_or_b64 exec, exec, s[0:1]
	s_waitcnt vmcnt(4)
	v_xor_b32_e32 v12, 0x7fffffff, v12
	v_lshrrev_b32_e32 v0, s48, v12
	v_and_b32_e32 v0, s14, v0
	v_lshl_add_u32 v1, v0, 3, v0
	v_add_lshl_u32 v14, v19, v1, 2
	v_and_b32_e32 v1, 1, v0
	v_add_co_u32_e32 v3, vcc, -1, v1
	v_addc_co_u32_e64 v15, s[0:1], 0, -1, vcc
	v_cmp_ne_u32_e32 vcc, 0, v1
	v_xor_b32_e32 v3, vcc_lo, v3
	v_xor_b32_e32 v1, vcc_hi, v15
	v_and_b32_e32 v15, exec_lo, v3
	v_lshlrev_b32_e32 v3, 30, v0
	v_cmp_gt_i64_e32 vcc, 0, v[2:3]
	v_not_b32_e32 v3, v3
	v_ashrrev_i32_e32 v3, 31, v3
	v_xor_b32_e32 v17, vcc_hi, v3
	v_xor_b32_e32 v3, vcc_lo, v3
	v_and_b32_e32 v15, v15, v3
	v_lshlrev_b32_e32 v3, 29, v0
	v_cmp_gt_i64_e32 vcc, 0, v[2:3]
	v_not_b32_e32 v3, v3
	v_and_b32_e32 v1, exec_hi, v1
	v_ashrrev_i32_e32 v3, 31, v3
	v_and_b32_e32 v1, v1, v17
	v_xor_b32_e32 v17, vcc_hi, v3
	v_xor_b32_e32 v3, vcc_lo, v3
	v_and_b32_e32 v15, v15, v3
	v_lshlrev_b32_e32 v3, 28, v0
	v_cmp_gt_i64_e32 vcc, 0, v[2:3]
	v_not_b32_e32 v3, v3
	v_ashrrev_i32_e32 v3, 31, v3
	v_and_b32_e32 v1, v1, v17
	v_xor_b32_e32 v17, vcc_hi, v3
	v_xor_b32_e32 v3, vcc_lo, v3
	v_and_b32_e32 v15, v15, v3
	v_lshlrev_b32_e32 v3, 27, v0
	v_cmp_gt_i64_e32 vcc, 0, v[2:3]
	v_not_b32_e32 v3, v3
	;; [unrolled: 8-line block ×4, first 2 shown]
	v_ashrrev_i32_e32 v3, 31, v3
	v_and_b32_e32 v1, v1, v17
	v_xor_b32_e32 v17, vcc_hi, v3
	v_xor_b32_e32 v3, vcc_lo, v3
	v_and_b32_e32 v15, v15, v3
	v_lshlrev_b32_e32 v3, 24, v0
	v_not_b32_e32 v0, v3
	v_cmp_gt_i64_e32 vcc, 0, v[2:3]
	v_ashrrev_i32_e32 v0, 31, v0
	v_xor_b32_e32 v2, vcc_hi, v0
	v_xor_b32_e32 v0, vcc_lo, v0
	; wave barrier
	ds_read_b32 v13, v14 offset:32
	v_and_b32_e32 v1, v1, v17
	v_and_b32_e32 v0, v15, v0
	;; [unrolled: 1-line block ×3, first 2 shown]
	v_mbcnt_lo_u32_b32 v2, v0, 0
	v_mbcnt_hi_u32_b32 v15, v1, v2
	v_cmp_eq_u32_e32 vcc, 0, v15
	v_cmp_ne_u64_e64 s[0:1], 0, v[0:1]
	s_and_b64 s[2:3], s[0:1], vcc
	; wave barrier
	s_and_saveexec_b64 s[0:1], s[2:3]
	s_cbranch_execz .LBB86_91
; %bb.90:
	v_bcnt_u32_b32 v0, v0, 0
	v_bcnt_u32_b32 v0, v1, v0
	s_waitcnt lgkmcnt(0)
	v_add_u32_e32 v0, v13, v0
	ds_write_b32 v14, v0 offset:32
.LBB86_91:
	s_or_b64 exec, exec, s[0:1]
	s_waitcnt vmcnt(3)
	v_xor_b32_e32 v16, 0x7fffffff, v16
	v_lshrrev_b32_e32 v0, s48, v16
	v_and_b32_e32 v2, s14, v0
	v_and_b32_e32 v1, 1, v2
	v_add_co_u32_e32 v3, vcc, -1, v1
	v_addc_co_u32_e64 v21, s[0:1], 0, -1, vcc
	v_cmp_ne_u32_e32 vcc, 0, v1
	v_lshl_add_u32 v0, v2, 3, v2
	v_xor_b32_e32 v1, vcc_hi, v21
	v_add_lshl_u32 v20, v19, v0, 2
	v_mov_b32_e32 v0, 0
	v_and_b32_e32 v21, exec_hi, v1
	v_lshlrev_b32_e32 v1, 30, v2
	v_xor_b32_e32 v3, vcc_lo, v3
	v_cmp_gt_i64_e32 vcc, 0, v[0:1]
	v_not_b32_e32 v1, v1
	v_ashrrev_i32_e32 v1, 31, v1
	v_and_b32_e32 v3, exec_lo, v3
	v_xor_b32_e32 v23, vcc_hi, v1
	v_xor_b32_e32 v1, vcc_lo, v1
	v_and_b32_e32 v3, v3, v1
	v_lshlrev_b32_e32 v1, 29, v2
	v_cmp_gt_i64_e32 vcc, 0, v[0:1]
	v_not_b32_e32 v1, v1
	v_ashrrev_i32_e32 v1, 31, v1
	v_and_b32_e32 v21, v21, v23
	v_xor_b32_e32 v23, vcc_hi, v1
	v_xor_b32_e32 v1, vcc_lo, v1
	v_and_b32_e32 v3, v3, v1
	v_lshlrev_b32_e32 v1, 28, v2
	v_cmp_gt_i64_e32 vcc, 0, v[0:1]
	v_not_b32_e32 v1, v1
	v_ashrrev_i32_e32 v1, 31, v1
	v_and_b32_e32 v21, v21, v23
	;; [unrolled: 8-line block ×5, first 2 shown]
	v_xor_b32_e32 v23, vcc_hi, v1
	v_xor_b32_e32 v1, vcc_lo, v1
	v_and_b32_e32 v21, v21, v23
	v_and_b32_e32 v23, v3, v1
	v_lshlrev_b32_e32 v1, 24, v2
	v_cmp_gt_i64_e32 vcc, 0, v[0:1]
	v_not_b32_e32 v1, v1
	v_ashrrev_i32_e32 v1, 31, v1
	v_xor_b32_e32 v2, vcc_hi, v1
	v_xor_b32_e32 v1, vcc_lo, v1
	; wave barrier
	ds_read_b32 v17, v20 offset:32
	v_and_b32_e32 v3, v21, v2
	v_and_b32_e32 v2, v23, v1
	v_mbcnt_lo_u32_b32 v1, v2, 0
	v_mbcnt_hi_u32_b32 v21, v3, v1
	v_cmp_eq_u32_e32 vcc, 0, v21
	v_cmp_ne_u64_e64 s[0:1], 0, v[2:3]
	s_and_b64 s[2:3], s[0:1], vcc
	; wave barrier
	s_and_saveexec_b64 s[0:1], s[2:3]
	s_cbranch_execz .LBB86_93
; %bb.92:
	v_bcnt_u32_b32 v1, v2, 0
	v_bcnt_u32_b32 v1, v3, v1
	s_waitcnt lgkmcnt(0)
	v_add_u32_e32 v1, v17, v1
	ds_write_b32 v20, v1 offset:32
.LBB86_93:
	s_or_b64 exec, exec, s[0:1]
	s_waitcnt vmcnt(2)
	v_xor_b32_e32 v22, 0x7fffffff, v22
	v_lshrrev_b32_e32 v1, s48, v22
	v_and_b32_e32 v2, s14, v1
	v_lshl_add_u32 v1, v2, 3, v2
	v_add_lshl_u32 v25, v19, v1, 2
	v_and_b32_e32 v1, 1, v2
	v_add_co_u32_e32 v3, vcc, -1, v1
	v_addc_co_u32_e64 v26, s[0:1], 0, -1, vcc
	v_cmp_ne_u32_e32 vcc, 0, v1
	v_xor_b32_e32 v1, vcc_hi, v26
	v_and_b32_e32 v26, exec_hi, v1
	v_lshlrev_b32_e32 v1, 30, v2
	v_xor_b32_e32 v3, vcc_lo, v3
	v_cmp_gt_i64_e32 vcc, 0, v[0:1]
	v_not_b32_e32 v1, v1
	v_ashrrev_i32_e32 v1, 31, v1
	v_and_b32_e32 v3, exec_lo, v3
	v_xor_b32_e32 v27, vcc_hi, v1
	v_xor_b32_e32 v1, vcc_lo, v1
	v_and_b32_e32 v3, v3, v1
	v_lshlrev_b32_e32 v1, 29, v2
	v_cmp_gt_i64_e32 vcc, 0, v[0:1]
	v_not_b32_e32 v1, v1
	v_ashrrev_i32_e32 v1, 31, v1
	v_and_b32_e32 v26, v26, v27
	v_xor_b32_e32 v27, vcc_hi, v1
	v_xor_b32_e32 v1, vcc_lo, v1
	v_and_b32_e32 v3, v3, v1
	v_lshlrev_b32_e32 v1, 28, v2
	v_cmp_gt_i64_e32 vcc, 0, v[0:1]
	v_not_b32_e32 v1, v1
	v_ashrrev_i32_e32 v1, 31, v1
	v_and_b32_e32 v26, v26, v27
	;; [unrolled: 8-line block ×5, first 2 shown]
	v_xor_b32_e32 v27, vcc_hi, v1
	v_xor_b32_e32 v1, vcc_lo, v1
	v_and_b32_e32 v3, v3, v1
	v_lshlrev_b32_e32 v1, 24, v2
	v_cmp_gt_i64_e32 vcc, 0, v[0:1]
	v_not_b32_e32 v0, v1
	v_ashrrev_i32_e32 v0, 31, v0
	v_xor_b32_e32 v1, vcc_hi, v0
	v_xor_b32_e32 v0, vcc_lo, v0
	; wave barrier
	ds_read_b32 v23, v25 offset:32
	v_and_b32_e32 v26, v26, v27
	v_and_b32_e32 v0, v3, v0
	;; [unrolled: 1-line block ×3, first 2 shown]
	v_mbcnt_lo_u32_b32 v2, v0, 0
	v_mbcnt_hi_u32_b32 v26, v1, v2
	v_cmp_eq_u32_e32 vcc, 0, v26
	v_cmp_ne_u64_e64 s[0:1], 0, v[0:1]
	s_and_b64 s[2:3], s[0:1], vcc
	; wave barrier
	s_and_saveexec_b64 s[0:1], s[2:3]
	s_cbranch_execz .LBB86_95
; %bb.94:
	v_bcnt_u32_b32 v0, v0, 0
	v_bcnt_u32_b32 v0, v1, v0
	s_waitcnt lgkmcnt(0)
	v_add_u32_e32 v0, v23, v0
	ds_write_b32 v25, v0 offset:32
.LBB86_95:
	s_or_b64 exec, exec, s[0:1]
	s_waitcnt vmcnt(1)
	v_xor_b32_e32 v24, 0x7fffffff, v24
	v_lshrrev_b32_e32 v0, s48, v24
	v_and_b32_e32 v2, s14, v0
	v_and_b32_e32 v1, 1, v2
	v_add_co_u32_e32 v3, vcc, -1, v1
	v_addc_co_u32_e64 v29, s[0:1], 0, -1, vcc
	v_cmp_ne_u32_e32 vcc, 0, v1
	v_lshl_add_u32 v0, v2, 3, v2
	v_xor_b32_e32 v1, vcc_hi, v29
	v_add_lshl_u32 v28, v19, v0, 2
	v_mov_b32_e32 v0, 0
	v_and_b32_e32 v29, exec_hi, v1
	v_lshlrev_b32_e32 v1, 30, v2
	v_xor_b32_e32 v3, vcc_lo, v3
	v_cmp_gt_i64_e32 vcc, 0, v[0:1]
	v_not_b32_e32 v1, v1
	v_ashrrev_i32_e32 v1, 31, v1
	v_and_b32_e32 v3, exec_lo, v3
	v_xor_b32_e32 v30, vcc_hi, v1
	v_xor_b32_e32 v1, vcc_lo, v1
	v_and_b32_e32 v3, v3, v1
	v_lshlrev_b32_e32 v1, 29, v2
	v_cmp_gt_i64_e32 vcc, 0, v[0:1]
	v_not_b32_e32 v1, v1
	v_ashrrev_i32_e32 v1, 31, v1
	v_and_b32_e32 v29, v29, v30
	v_xor_b32_e32 v30, vcc_hi, v1
	v_xor_b32_e32 v1, vcc_lo, v1
	v_and_b32_e32 v3, v3, v1
	v_lshlrev_b32_e32 v1, 28, v2
	v_cmp_gt_i64_e32 vcc, 0, v[0:1]
	v_not_b32_e32 v1, v1
	v_ashrrev_i32_e32 v1, 31, v1
	v_and_b32_e32 v29, v29, v30
	;; [unrolled: 8-line block ×5, first 2 shown]
	v_xor_b32_e32 v30, vcc_hi, v1
	v_xor_b32_e32 v1, vcc_lo, v1
	v_and_b32_e32 v29, v29, v30
	v_and_b32_e32 v30, v3, v1
	v_lshlrev_b32_e32 v1, 24, v2
	v_cmp_gt_i64_e32 vcc, 0, v[0:1]
	v_not_b32_e32 v1, v1
	v_ashrrev_i32_e32 v1, 31, v1
	v_xor_b32_e32 v2, vcc_hi, v1
	v_xor_b32_e32 v1, vcc_lo, v1
	; wave barrier
	ds_read_b32 v27, v28 offset:32
	v_and_b32_e32 v3, v29, v2
	v_and_b32_e32 v2, v30, v1
	v_mbcnt_lo_u32_b32 v1, v2, 0
	v_mbcnt_hi_u32_b32 v29, v3, v1
	v_cmp_eq_u32_e32 vcc, 0, v29
	v_cmp_ne_u64_e64 s[0:1], 0, v[2:3]
	s_and_b64 s[2:3], s[0:1], vcc
	; wave barrier
	s_and_saveexec_b64 s[0:1], s[2:3]
	s_cbranch_execz .LBB86_97
; %bb.96:
	v_bcnt_u32_b32 v1, v2, 0
	v_bcnt_u32_b32 v1, v3, v1
	s_waitcnt lgkmcnt(0)
	v_add_u32_e32 v1, v27, v1
	ds_write_b32 v28, v1 offset:32
.LBB86_97:
	s_or_b64 exec, exec, s[0:1]
	s_waitcnt vmcnt(0)
	v_xor_b32_e32 v30, 0x7fffffff, v18
	v_lshrrev_b32_e32 v1, s48, v30
	v_and_b32_e32 v2, s14, v1
	v_lshl_add_u32 v1, v2, 3, v2
	v_add_lshl_u32 v19, v19, v1, 2
	v_and_b32_e32 v1, 1, v2
	v_add_co_u32_e32 v3, vcc, -1, v1
	v_addc_co_u32_e64 v18, s[0:1], 0, -1, vcc
	v_cmp_ne_u32_e32 vcc, 0, v1
	v_xor_b32_e32 v1, vcc_hi, v18
	v_and_b32_e32 v18, exec_hi, v1
	v_lshlrev_b32_e32 v1, 30, v2
	v_xor_b32_e32 v3, vcc_lo, v3
	v_cmp_gt_i64_e32 vcc, 0, v[0:1]
	v_not_b32_e32 v1, v1
	v_ashrrev_i32_e32 v1, 31, v1
	v_and_b32_e32 v3, exec_lo, v3
	v_xor_b32_e32 v33, vcc_hi, v1
	v_xor_b32_e32 v1, vcc_lo, v1
	v_and_b32_e32 v3, v3, v1
	v_lshlrev_b32_e32 v1, 29, v2
	v_cmp_gt_i64_e32 vcc, 0, v[0:1]
	v_not_b32_e32 v1, v1
	v_ashrrev_i32_e32 v1, 31, v1
	v_and_b32_e32 v18, v18, v33
	v_xor_b32_e32 v33, vcc_hi, v1
	v_xor_b32_e32 v1, vcc_lo, v1
	v_and_b32_e32 v3, v3, v1
	v_lshlrev_b32_e32 v1, 28, v2
	v_cmp_gt_i64_e32 vcc, 0, v[0:1]
	v_not_b32_e32 v1, v1
	v_ashrrev_i32_e32 v1, 31, v1
	v_and_b32_e32 v18, v18, v33
	;; [unrolled: 8-line block ×5, first 2 shown]
	v_xor_b32_e32 v33, vcc_hi, v1
	v_xor_b32_e32 v1, vcc_lo, v1
	v_and_b32_e32 v3, v3, v1
	v_lshlrev_b32_e32 v1, 24, v2
	v_cmp_gt_i64_e32 vcc, 0, v[0:1]
	v_not_b32_e32 v0, v1
	v_ashrrev_i32_e32 v0, 31, v0
	v_xor_b32_e32 v1, vcc_hi, v0
	v_xor_b32_e32 v0, vcc_lo, v0
	; wave barrier
	ds_read_b32 v31, v19 offset:32
	v_and_b32_e32 v18, v18, v33
	v_and_b32_e32 v0, v3, v0
	;; [unrolled: 1-line block ×3, first 2 shown]
	v_mbcnt_lo_u32_b32 v2, v0, 0
	v_mbcnt_hi_u32_b32 v33, v1, v2
	v_cmp_eq_u32_e32 vcc, 0, v33
	v_cmp_ne_u64_e64 s[0:1], 0, v[0:1]
	v_add_u32_e32 v32, 32, v5
	s_and_b64 s[2:3], s[0:1], vcc
	; wave barrier
	s_and_saveexec_b64 s[0:1], s[2:3]
	s_cbranch_execz .LBB86_99
; %bb.98:
	v_bcnt_u32_b32 v0, v0, 0
	v_bcnt_u32_b32 v0, v1, v0
	s_waitcnt lgkmcnt(0)
	v_add_u32_e32 v0, v31, v0
	ds_write_b32 v19, v0 offset:32
.LBB86_99:
	s_or_b64 exec, exec, s[0:1]
	; wave barrier
	s_waitcnt lgkmcnt(0)
	s_barrier
	ds_read2_b32 v[2:3], v5 offset0:8 offset1:9
	ds_read2_b32 v[0:1], v32 offset0:2 offset1:3
	ds_read_b32 v18, v32 offset:16
	v_min_u32_e32 v6, 0x1c0, v6
	v_or_b32_e32 v6, 63, v6
	s_waitcnt lgkmcnt(1)
	v_add3_u32 v34, v3, v2, v0
	s_waitcnt lgkmcnt(0)
	v_add3_u32 v18, v34, v1, v18
	v_and_b32_e32 v34, 15, v11
	v_cmp_ne_u32_e32 vcc, 0, v34
	v_mov_b32_dpp v35, v18 row_shr:1 row_mask:0xf bank_mask:0xf
	v_cndmask_b32_e32 v35, 0, v35, vcc
	v_add_u32_e32 v18, v35, v18
	v_cmp_lt_u32_e32 vcc, 1, v34
	s_nop 0
	v_mov_b32_dpp v35, v18 row_shr:2 row_mask:0xf bank_mask:0xf
	v_cndmask_b32_e32 v35, 0, v35, vcc
	v_add_u32_e32 v18, v18, v35
	v_cmp_lt_u32_e32 vcc, 3, v34
	s_nop 0
	;; [unrolled: 5-line block ×3, first 2 shown]
	v_mov_b32_dpp v35, v18 row_shr:8 row_mask:0xf bank_mask:0xf
	v_cndmask_b32_e32 v34, 0, v35, vcc
	v_add_u32_e32 v18, v18, v34
	v_bfe_i32 v35, v11, 4, 1
	v_cmp_lt_u32_e32 vcc, 31, v11
	v_mov_b32_dpp v34, v18 row_bcast:15 row_mask:0xf bank_mask:0xf
	v_and_b32_e32 v34, v35, v34
	v_add_u32_e32 v18, v18, v34
	v_lshrrev_b32_e32 v35, 6, v8
	s_nop 0
	v_mov_b32_dpp v34, v18 row_bcast:31 row_mask:0xf bank_mask:0xf
	v_cndmask_b32_e32 v34, 0, v34, vcc
	v_add_u32_e32 v34, v18, v34
	v_cmp_eq_u32_e32 vcc, v6, v8
	s_and_saveexec_b64 s[0:1], vcc
	s_cbranch_execz .LBB86_101
; %bb.100:
	v_lshlrev_b32_e32 v6, 2, v35
	ds_write_b32 v6, v34
.LBB86_101:
	s_or_b64 exec, exec, s[0:1]
	v_cmp_gt_u32_e32 vcc, 8, v8
	v_lshlrev_b32_e32 v18, 2, v8
	s_waitcnt lgkmcnt(0)
	s_barrier
	s_and_saveexec_b64 s[0:1], vcc
	s_cbranch_execz .LBB86_103
; %bb.102:
	ds_read_b32 v6, v18
	v_and_b32_e32 v36, 7, v11
	v_cmp_ne_u32_e32 vcc, 0, v36
	s_waitcnt lgkmcnt(0)
	v_mov_b32_dpp v37, v6 row_shr:1 row_mask:0xf bank_mask:0xf
	v_cndmask_b32_e32 v37, 0, v37, vcc
	v_add_u32_e32 v6, v37, v6
	v_cmp_lt_u32_e32 vcc, 1, v36
	s_nop 0
	v_mov_b32_dpp v37, v6 row_shr:2 row_mask:0xf bank_mask:0xf
	v_cndmask_b32_e32 v37, 0, v37, vcc
	v_add_u32_e32 v6, v6, v37
	v_cmp_lt_u32_e32 vcc, 3, v36
	s_nop 0
	v_mov_b32_dpp v37, v6 row_shr:4 row_mask:0xf bank_mask:0xf
	v_cndmask_b32_e32 v36, 0, v37, vcc
	v_add_u32_e32 v6, v6, v36
	ds_write_b32 v18, v6
.LBB86_103:
	s_or_b64 exec, exec, s[0:1]
	v_cmp_lt_u32_e32 vcc, 63, v8
	v_mov_b32_e32 v6, 0
	s_waitcnt lgkmcnt(0)
	s_barrier
	s_and_saveexec_b64 s[0:1], vcc
	s_cbranch_execz .LBB86_105
; %bb.104:
	v_lshl_add_u32 v6, v35, 2, -4
	ds_read_b32 v6, v6
.LBB86_105:
	s_or_b64 exec, exec, s[0:1]
	v_add_u32_e32 v35, -1, v11
	v_and_b32_e32 v36, 64, v11
	v_cmp_lt_i32_e32 vcc, v35, v36
	v_cndmask_b32_e32 v35, v35, v11, vcc
	s_waitcnt lgkmcnt(0)
	v_add_u32_e32 v34, v6, v34
	v_lshlrev_b32_e32 v35, 2, v35
	ds_bpermute_b32 v34, v35, v34
	v_cmp_eq_u32_e32 vcc, 0, v11
	s_movk_i32 s2, 0xff
	s_movk_i32 s3, 0x100
	v_cmp_lt_u32_e64 s[0:1], s2, v8
	s_waitcnt lgkmcnt(0)
	v_cndmask_b32_e32 v6, v34, v6, vcc
	v_cmp_ne_u32_e32 vcc, 0, v8
	v_cndmask_b32_e32 v6, 0, v6, vcc
	v_add_u32_e32 v2, v6, v2
	v_add_u32_e32 v3, v2, v3
	;; [unrolled: 1-line block ×4, first 2 shown]
	ds_write2_b32 v5, v6, v2 offset0:8 offset1:9
	ds_write2_b32 v32, v3, v0 offset0:2 offset1:3
	ds_write_b32 v32, v1 offset:16
	s_waitcnt lgkmcnt(0)
	s_barrier
	ds_read_b32 v2, v7 offset:32
	ds_read_b32 v3, v14 offset:32
	;; [unrolled: 1-line block ×6, first 2 shown]
	v_cmp_gt_u32_e32 vcc, s3, v8
	v_pk_mov_b32 v[0:1], 0, 0
                                        ; implicit-def: $vgpr14
	s_and_saveexec_b64 s[4:5], vcc
	s_cbranch_execz .LBB86_109
; %bb.106:
	v_mul_u32_u24_e32 v0, 9, v8
	v_lshlrev_b32_e32 v14, 2, v0
	ds_read_b32 v0, v14 offset:32
	v_cmp_ne_u32_e64 s[2:3], s2, v8
	v_mov_b32_e32 v1, 0xc00
	s_and_saveexec_b64 s[10:11], s[2:3]
	s_cbranch_execz .LBB86_108
; %bb.107:
	ds_read_b32 v1, v14 offset:68
.LBB86_108:
	s_or_b64 exec, exec, s[10:11]
	s_waitcnt lgkmcnt(0)
	v_sub_u32_e32 v14, v1, v0
	v_mov_b32_e32 v1, 0
.LBB86_109:
	s_or_b64 exec, exec, s[4:5]
	s_waitcnt lgkmcnt(5)
	v_add_u32_e32 v25, v2, v9
	s_waitcnt lgkmcnt(4)
	v_add3_u32 v20, v15, v13, v3
	v_lshlrev_b32_e32 v2, 2, v25
	s_waitcnt lgkmcnt(3)
	v_add3_u32 v19, v21, v17, v5
	s_waitcnt lgkmcnt(0)
	s_barrier
	ds_write_b32 v2, v4 offset:2048
	v_lshlrev_b32_e32 v2, 2, v20
	v_add3_u32 v17, v26, v23, v6
	ds_write_b32 v2, v12 offset:2048
	v_lshlrev_b32_e32 v2, 2, v19
	v_add3_u32 v15, v29, v27, v7
	;; [unrolled: 3-line block ×3, first 2 shown]
	ds_write_b32 v2, v22 offset:2048
	v_lshlrev_b32_e32 v2, 2, v15
	ds_write_b32 v2, v24 offset:2048
	v_lshlrev_b32_e32 v2, 2, v13
	ds_write_b32 v2, v30 offset:2048
	s_waitcnt lgkmcnt(0)
	s_barrier
	s_and_saveexec_b64 s[2:3], s[0:1]
	s_xor_b64 s[0:1], exec, s[2:3]
; %bb.110:
	v_mov_b32_e32 v9, 0
; %bb.111:
	s_andn2_saveexec_b64 s[2:3], s[0:1]
	s_cbranch_execz .LBB86_121
; %bb.112:
	v_lshl_or_b32 v2, s6, 8, v8
	v_mov_b32_e32 v3, 0
	v_lshlrev_b64 v[4:5], 2, v[2:3]
	v_mov_b32_e32 v9, s35
	v_add_co_u32_e64 v4, s[0:1], s34, v4
	v_addc_co_u32_e64 v5, s[0:1], v9, v5, s[0:1]
	v_or_b32_e32 v2, 2.0, v14
	s_mov_b64 s[4:5], 0
	s_brev_b32 s15, 1
	s_mov_b32 s16, s6
	v_mov_b32_e32 v12, 0
	global_store_dword v[4:5], v2, off
                                        ; implicit-def: $sgpr0_sgpr1
	s_branch .LBB86_115
.LBB86_113:                             ;   in Loop: Header=BB86_115 Depth=1
	s_or_b64 exec, exec, s[12:13]
.LBB86_114:                             ;   in Loop: Header=BB86_115 Depth=1
	s_or_b64 exec, exec, s[10:11]
	v_and_b32_e32 v6, 0x3fffffff, v16
	v_add_u32_e32 v12, v6, v12
	v_cmp_eq_u32_e64 s[0:1], s15, v2
	s_and_b64 s[10:11], exec, s[0:1]
	s_or_b64 s[4:5], s[10:11], s[4:5]
	s_andn2_b64 exec, exec, s[4:5]
	s_cbranch_execz .LBB86_120
.LBB86_115:                             ; =>This Loop Header: Depth=1
                                        ;     Child Loop BB86_118 Depth 2
	s_or_b64 s[0:1], s[0:1], exec
	s_cmp_eq_u32 s16, 0
	s_cbranch_scc1 .LBB86_119
; %bb.116:                              ;   in Loop: Header=BB86_115 Depth=1
	s_add_i32 s16, s16, -1
	v_lshl_or_b32 v2, s16, 8, v8
	v_lshlrev_b64 v[6:7], 2, v[2:3]
	v_add_co_u32_e64 v6, s[0:1], s34, v6
	v_addc_co_u32_e64 v7, s[0:1], v9, v7, s[0:1]
	global_load_dword v16, v[6:7], off glc
	s_waitcnt vmcnt(0)
	v_and_b32_e32 v2, -2.0, v16
	v_cmp_eq_u32_e64 s[0:1], 0, v2
	s_and_saveexec_b64 s[10:11], s[0:1]
	s_cbranch_execz .LBB86_114
; %bb.117:                              ;   in Loop: Header=BB86_115 Depth=1
	s_mov_b64 s[12:13], 0
.LBB86_118:                             ;   Parent Loop BB86_115 Depth=1
                                        ; =>  This Inner Loop Header: Depth=2
	global_load_dword v16, v[6:7], off glc
	s_waitcnt vmcnt(0)
	v_and_b32_e32 v2, -2.0, v16
	v_cmp_ne_u32_e64 s[0:1], 0, v2
	s_or_b64 s[12:13], s[0:1], s[12:13]
	s_andn2_b64 exec, exec, s[12:13]
	s_cbranch_execnz .LBB86_118
	s_branch .LBB86_113
.LBB86_119:                             ;   in Loop: Header=BB86_115 Depth=1
                                        ; implicit-def: $sgpr16
	s_and_b64 s[10:11], exec, s[0:1]
	s_or_b64 s[4:5], s[10:11], s[4:5]
	s_andn2_b64 exec, exec, s[4:5]
	s_cbranch_execnz .LBB86_115
.LBB86_120:
	s_or_b64 exec, exec, s[4:5]
	v_add_u32_e32 v2, v12, v14
	v_or_b32_e32 v2, 0x80000000, v2
	global_store_dword v[4:5], v2, off
	v_lshlrev_b32_e32 v4, 3, v8
	global_load_dwordx2 v[2:3], v4, s[44:45]
	v_sub_co_u32_e64 v5, s[0:1], v12, v0
	v_subb_co_u32_e64 v6, s[0:1], 0, v1, s[0:1]
	v_mov_b32_e32 v9, 0
	s_waitcnt vmcnt(0)
	v_add_co_u32_e64 v2, s[0:1], v5, v2
	v_addc_co_u32_e64 v3, s[0:1], v6, v3, s[0:1]
	ds_write_b64 v4, v[2:3]
.LBB86_121:
	s_or_b64 exec, exec, s[2:3]
	s_waitcnt lgkmcnt(0)
	s_barrier
	ds_read2st64_b32 v[2:3], v18 offset0:16 offset1:24
	v_lshlrev_b32_e32 v6, 2, v8
	ds_read2st64_b32 v[4:5], v18 offset0:32 offset1:40
	ds_read_b32 v12, v18 offset:12288
	ds_read_b32 v24, v6 offset:2048
	s_waitcnt lgkmcnt(3)
	v_lshrrev_b32_e32 v7, s48, v2
	v_and_b32_e32 v7, s14, v7
	v_lshlrev_b32_e32 v16, 3, v7
	s_waitcnt lgkmcnt(2)
	v_lshrrev_b32_e32 v7, s48, v4
	s_waitcnt lgkmcnt(0)
	v_lshrrev_b32_e32 v28, s48, v24
	v_and_b32_e32 v7, s14, v7
	v_and_b32_e32 v28, s14, v28
	v_lshlrev_b32_e32 v21, 3, v7
	v_lshrrev_b32_e32 v7, s48, v12
	v_lshlrev_b32_e32 v47, 3, v28
	v_lshrrev_b32_e32 v28, s48, v3
	v_and_b32_e32 v7, s14, v7
	v_and_b32_e32 v28, s14, v28
	v_lshlrev_b32_e32 v46, 3, v7
	ds_read_b64 v[6:7], v16
	ds_read_b64 v[22:23], v21
	ds_read_b64 v[26:27], v46
	v_lshlrev_b32_e32 v48, 3, v28
	ds_read_b64 v[28:29], v47
	v_mov_b32_e32 v34, s39
	v_lshlrev_b32_e32 v11, 3, v11
	v_lshlrev_b32_e32 v10, 3, v10
	v_lshrrev_b32_e32 v30, s48, v5
	s_waitcnt lgkmcnt(0)
	v_lshlrev_b64 v[28:29], 2, v[28:29]
	v_add_co_u32_e64 v35, s[0:1], s38, v28
	v_addc_co_u32_e64 v36, s[0:1], v34, v29, s[0:1]
	v_lshlrev_b64 v[28:29], 2, v[8:9]
	v_add_co_u32_e64 v34, s[0:1], v35, v28
	v_addc_co_u32_e64 v35, s[0:1], v36, v29, s[0:1]
	s_lshl_b64 s[0:1], s[30:31], 3
	s_add_u32 s0, s40, s0
	s_addc_u32 s1, s41, s1
	v_mov_b32_e32 v36, s1
	v_add_co_u32_e64 v11, s[0:1], s0, v11
	v_addc_co_u32_e64 v36, s[0:1], 0, v36, s[0:1]
	v_add_co_u32_e64 v10, s[0:1], v11, v10
	v_and_b32_e32 v30, s14, v30
	v_addc_co_u32_e64 v11, s[0:1], 0, v36, s[0:1]
	v_xor_b32_e32 v24, 0x7fffffff, v24
	v_lshlrev_b32_e32 v49, 3, v30
	ds_read_b64 v[30:31], v48
	ds_read_b64 v[32:33], v49
	global_load_dwordx2 v[36:37], v[10:11], off
	global_load_dwordx2 v[38:39], v[10:11], off offset:1024
	global_load_dwordx2 v[40:41], v[10:11], off offset:1536
	v_lshlrev_b64 v[6:7], 2, v[6:7]
	global_store_dword v[34:35], v24, off
	global_load_dwordx2 v[34:35], v[10:11], off offset:512
	s_nop 0
	global_load_dwordx2 v[42:43], v[10:11], off offset:2048
	global_load_dwordx2 v[44:45], v[10:11], off offset:2560
	v_mov_b32_e32 v24, s39
	v_add_co_u32_e64 v6, s[0:1], s38, v6
	v_addc_co_u32_e64 v7, s[0:1], v24, v7, s[0:1]
	v_add_co_u32_e64 v6, s[0:1], v6, v28
	v_xor_b32_e32 v2, 0x7fffffff, v2
	v_addc_co_u32_e64 v7, s[0:1], v7, v29, s[0:1]
	global_store_dword v[6:7], v2, off offset:2048
	v_xor_b32_e32 v6, 0x7fffffff, v3
	s_waitcnt lgkmcnt(1)
	v_lshlrev_b64 v[2:3], 2, v[30:31]
	v_or_b32_e32 v24, 0x400, v8
	v_mov_b32_e32 v7, s39
	v_add_co_u32_e64 v2, s[0:1], s38, v2
	v_addc_co_u32_e64 v3, s[0:1], v7, v3, s[0:1]
	v_lshlrev_b32_e32 v7, 2, v24
	v_add_co_u32_e64 v2, s[0:1], v2, v7
	v_addc_co_u32_e64 v3, s[0:1], 0, v3, s[0:1]
	global_store_dword v[2:3], v6, off
	v_lshlrev_b64 v[2:3], 2, v[22:23]
	v_add_u32_e32 v28, 0x600, v8
	v_mov_b32_e32 v6, s39
	v_add_co_u32_e64 v2, s[0:1], s38, v2
	v_addc_co_u32_e64 v3, s[0:1], v6, v3, s[0:1]
	v_lshlrev_b32_e32 v6, 2, v28
	v_add_co_u32_e64 v2, s[0:1], v2, v6
	v_xor_b32_e32 v4, 0x7fffffff, v4
	v_addc_co_u32_e64 v3, s[0:1], 0, v3, s[0:1]
	global_store_dword v[2:3], v4, off
	s_waitcnt lgkmcnt(0)
	v_lshlrev_b64 v[2:3], 2, v[32:33]
	v_or_b32_e32 v22, 0x800, v8
	v_xor_b32_e32 v4, 0x7fffffff, v5
	v_mov_b32_e32 v5, s39
	v_add_co_u32_e64 v2, s[0:1], s38, v2
	v_addc_co_u32_e64 v3, s[0:1], v5, v3, s[0:1]
	v_lshlrev_b32_e32 v5, 2, v22
	v_add_co_u32_e64 v2, s[0:1], v2, v5
	v_addc_co_u32_e64 v3, s[0:1], 0, v3, s[0:1]
	global_store_dword v[2:3], v4, off
	v_lshlrev_b64 v[2:3], 2, v[26:27]
	v_add_u32_e32 v23, 0xa00, v8
	v_mov_b32_e32 v5, s39
	v_add_co_u32_e64 v2, s[0:1], s38, v2
	v_addc_co_u32_e64 v3, s[0:1], v5, v3, s[0:1]
	v_lshlrev_b32_e32 v5, 2, v23
	v_add_co_u32_e64 v2, s[0:1], v2, v5
	v_xor_b32_e32 v4, 0x7fffffff, v12
	v_addc_co_u32_e64 v3, s[0:1], 0, v3, s[0:1]
	global_store_dword v[2:3], v4, off
	v_lshlrev_b32_e32 v2, 3, v25
	s_barrier
	v_mov_b32_e32 v5, s43
	v_lshlrev_b32_e32 v4, 3, v8
	s_waitcnt vmcnt(11)
	ds_write_b64 v2, v[36:37] offset:2048
	v_lshlrev_b32_e32 v2, 3, v20
	s_movk_i32 s2, 0x800
	v_mov_b32_e32 v25, s43
	s_add_i32 s7, s7, -1
	s_waitcnt vmcnt(7)
	ds_write_b64 v2, v[34:35] offset:2048
	v_lshlrev_b32_e32 v2, 3, v19
	ds_write_b64 v2, v[38:39] offset:2048
	v_lshlrev_b32_e32 v2, 3, v17
	;; [unrolled: 2-line block ×3, first 2 shown]
	s_waitcnt vmcnt(6)
	ds_write_b64 v2, v[42:43] offset:2048
	v_lshlrev_b32_e32 v2, 3, v13
	s_waitcnt vmcnt(5)
	ds_write_b64 v2, v[44:45] offset:2048
	s_waitcnt lgkmcnt(0)
	s_barrier
	ds_read_b64 v[2:3], v47
	ds_read_b64 v[6:7], v16
	;; [unrolled: 1-line block ×4, first 2 shown]
	s_cmp_eq_u32 s6, s7
	s_waitcnt lgkmcnt(2)
	v_lshlrev_b64 v[6:7], 3, v[6:7]
	v_lshlrev_b64 v[2:3], 3, v[2:3]
	v_add_co_u32_e64 v15, s[0:1], s42, v2
	v_addc_co_u32_e64 v5, s[0:1], v5, v3, s[0:1]
	v_lshlrev_b64 v[2:3], 3, v[8:9]
	v_add_co_u32_e64 v2, s[0:1], v15, v2
	v_addc_co_u32_e64 v3, s[0:1], v5, v3, s[0:1]
	ds_read_b64 v[4:5], v4 offset:2048
	v_add3_u32 v15, v18, s2, v18
	ds_read_b64 v[16:17], v49
	ds_read_b64 v[18:19], v15 offset:20480
	ds_read_b64 v[20:21], v46
	v_add_co_u32_e64 v6, s[0:1], s42, v6
	s_waitcnt lgkmcnt(3)
	global_store_dwordx2 v[2:3], v[4:5], off
	ds_read2st64_b64 v[2:5], v15 offset0:8 offset1:16
	v_addc_co_u32_e64 v7, s[0:1], v25, v7, s[0:1]
	v_mov_b32_e32 v25, 0x1000
	v_lshl_add_u32 v25, v8, 3, v25
	v_add_co_u32_e64 v6, s[0:1], v6, v25
	v_addc_co_u32_e64 v7, s[0:1], 0, v7, s[0:1]
	s_waitcnt lgkmcnt(0)
	global_store_dwordx2 v[6:7], v[2:3], off
	v_lshlrev_b64 v[2:3], 3, v[10:11]
	v_mov_b32_e32 v6, s43
	v_add_co_u32_e64 v2, s[0:1], s42, v2
	v_addc_co_u32_e64 v3, s[0:1], v6, v3, s[0:1]
	v_lshlrev_b32_e32 v6, 3, v24
	v_add_co_u32_e64 v2, s[0:1], v2, v6
	v_addc_co_u32_e64 v3, s[0:1], 0, v3, s[0:1]
	global_store_dwordx2 v[2:3], v[4:5], off
	ds_read2st64_b64 v[2:5], v15 offset0:24 offset1:32
	v_lshlrev_b64 v[6:7], 3, v[12:13]
	v_mov_b32_e32 v10, s43
	v_add_co_u32_e64 v6, s[0:1], s42, v6
	v_addc_co_u32_e64 v7, s[0:1], v10, v7, s[0:1]
	v_lshlrev_b32_e32 v10, 3, v28
	v_add_co_u32_e64 v6, s[0:1], v6, v10
	v_addc_co_u32_e64 v7, s[0:1], 0, v7, s[0:1]
	s_waitcnt lgkmcnt(0)
	global_store_dwordx2 v[6:7], v[2:3], off
	v_lshlrev_b64 v[2:3], 3, v[16:17]
	v_mov_b32_e32 v6, s43
	v_add_co_u32_e64 v2, s[0:1], s42, v2
	v_addc_co_u32_e64 v3, s[0:1], v6, v3, s[0:1]
	v_lshlrev_b32_e32 v6, 3, v22
	v_add_co_u32_e64 v2, s[0:1], v2, v6
	v_addc_co_u32_e64 v3, s[0:1], 0, v3, s[0:1]
	global_store_dwordx2 v[2:3], v[4:5], off
	v_lshlrev_b64 v[2:3], 3, v[20:21]
	v_mov_b32_e32 v4, s43
	v_add_co_u32_e64 v2, s[0:1], s42, v2
	v_addc_co_u32_e64 v3, s[0:1], v4, v3, s[0:1]
	v_lshlrev_b32_e32 v4, 3, v23
	v_add_co_u32_e64 v2, s[0:1], v2, v4
	v_addc_co_u32_e64 v3, s[0:1], 0, v3, s[0:1]
	s_cselect_b64 s[0:1], -1, 0
	s_and_b64 s[2:3], vcc, s[0:1]
	global_store_dwordx2 v[2:3], v[18:19], off
                                        ; implicit-def: $vgpr4_vgpr5
	s_and_saveexec_b64 s[0:1], s[2:3]
; %bb.122:
	v_add_co_u32_e32 v4, vcc, v0, v14
	v_addc_co_u32_e32 v5, vcc, 0, v1, vcc
	s_or_b64 s[8:9], s[8:9], exec
; %bb.123:
	s_or_b64 exec, exec, s[0:1]
.LBB86_124:
	s_and_saveexec_b64 s[0:1], s[8:9]
	s_cbranch_execnz .LBB86_126
; %bb.125:
	s_endpgm
.LBB86_126:
	v_lshlrev_b32_e32 v2, 3, v8
	ds_read_b64 v[2:3], v2
	v_lshlrev_b64 v[0:1], 3, v[8:9]
	v_mov_b32_e32 v6, s47
	v_add_co_u32_e32 v0, vcc, s46, v0
	v_addc_co_u32_e32 v1, vcc, v6, v1, vcc
	s_waitcnt lgkmcnt(0)
	v_add_co_u32_e32 v2, vcc, v2, v4
	v_addc_co_u32_e32 v3, vcc, v3, v5, vcc
	global_store_dwordx2 v[0:1], v[2:3], off
	s_endpgm
.LBB86_127:
	global_load_dwordx2 v[4:5], v[18:19], off
	s_or_b64 exec, exec, s[28:29]
                                        ; implicit-def: $vgpr6_vgpr7
	s_and_saveexec_b64 s[28:29], s[0:1]
	s_cbranch_execz .LBB86_59
.LBB86_128:
	global_load_dwordx2 v[6:7], v[18:19], off offset:512
	s_or_b64 exec, exec, s[28:29]
                                        ; implicit-def: $vgpr10_vgpr11
	s_and_saveexec_b64 s[0:1], s[2:3]
	s_cbranch_execz .LBB86_60
.LBB86_129:
	global_load_dwordx2 v[10:11], v[18:19], off offset:1024
	s_or_b64 exec, exec, s[0:1]
                                        ; implicit-def: $vgpr12_vgpr13
	s_and_saveexec_b64 s[0:1], s[26:27]
	s_cbranch_execz .LBB86_61
.LBB86_130:
	global_load_dwordx2 v[12:13], v[18:19], off offset:1536
	s_or_b64 exec, exec, s[0:1]
                                        ; implicit-def: $vgpr14_vgpr15
	s_and_saveexec_b64 s[0:1], s[8:9]
	s_cbranch_execz .LBB86_62
.LBB86_131:
	global_load_dwordx2 v[14:15], v[18:19], off offset:2048
	s_or_b64 exec, exec, s[0:1]
                                        ; implicit-def: $vgpr16_vgpr17
	s_and_saveexec_b64 s[0:1], s[10:11]
	s_cbranch_execnz .LBB86_63
	s_branch .LBB86_64
.LBB86_132:
	v_lshlrev_b32_e32 v5, 3, v35
	ds_read_b64 v[6:7], v5
	ds_read_b64 v[10:11], v4 offset:2048
	v_mov_b32_e32 v5, s43
	s_waitcnt lgkmcnt(1)
	v_lshlrev_b64 v[6:7], 3, v[6:7]
	v_add_co_u32_e32 v6, vcc, s42, v6
	v_addc_co_u32_e32 v5, vcc, v5, v7, vcc
	v_add_co_u32_e32 v6, vcc, v6, v4
	v_addc_co_u32_e32 v7, vcc, 0, v5, vcc
	s_waitcnt lgkmcnt(0)
	global_store_dwordx2 v[6:7], v[10:11], off
	s_or_b64 exec, exec, s[0:1]
	s_and_saveexec_b64 s[0:1], s[16:17]
	s_cbranch_execz .LBB86_78
.LBB86_133:
	v_lshlrev_b32_e32 v5, 3, v33
	ds_read_b64 v[6:7], v5
	ds_read_b64 v[10:11], v4 offset:6144
	v_mov_b32_e32 v5, s43
	s_waitcnt lgkmcnt(1)
	v_lshlrev_b64 v[6:7], 3, v[6:7]
	v_add_co_u32_e32 v6, vcc, s42, v6
	v_addc_co_u32_e32 v5, vcc, v5, v7, vcc
	v_lshlrev_b32_e32 v7, 3, v22
	v_add_co_u32_e32 v6, vcc, v6, v7
	v_addc_co_u32_e32 v7, vcc, 0, v5, vcc
	s_waitcnt lgkmcnt(0)
	global_store_dwordx2 v[6:7], v[10:11], off
	s_or_b64 exec, exec, s[0:1]
	s_and_saveexec_b64 s[0:1], s[18:19]
	s_cbranch_execz .LBB86_79
.LBB86_134:
	v_lshlrev_b32_e32 v5, 3, v34
	ds_read_b64 v[6:7], v5
	ds_read_b64 v[10:11], v4 offset:10240
	v_mov_b32_e32 v5, s43
	s_waitcnt lgkmcnt(1)
	v_lshlrev_b64 v[6:7], 3, v[6:7]
	v_add_co_u32_e32 v6, vcc, s42, v6
	v_addc_co_u32_e32 v5, vcc, v5, v7, vcc
	v_lshlrev_b32_e32 v7, 3, v29
	v_add_co_u32_e32 v6, vcc, v6, v7
	v_addc_co_u32_e32 v7, vcc, 0, v5, vcc
	s_waitcnt lgkmcnt(0)
	global_store_dwordx2 v[6:7], v[10:11], off
	s_or_b64 exec, exec, s[0:1]
	s_and_saveexec_b64 s[0:1], s[20:21]
	s_cbranch_execz .LBB86_80
.LBB86_135:
	v_lshlrev_b32_e32 v5, 3, v18
	ds_read_b64 v[6:7], v5
	ds_read_b64 v[10:11], v4 offset:14336
	v_mov_b32_e32 v5, s43
	s_waitcnt lgkmcnt(1)
	v_lshlrev_b64 v[6:7], 3, v[6:7]
	v_add_co_u32_e32 v6, vcc, s42, v6
	v_addc_co_u32_e32 v5, vcc, v5, v7, vcc
	v_lshlrev_b32_e32 v7, 3, v30
	v_add_co_u32_e32 v6, vcc, v6, v7
	v_addc_co_u32_e32 v7, vcc, 0, v5, vcc
	s_waitcnt lgkmcnt(0)
	global_store_dwordx2 v[6:7], v[10:11], off
	s_or_b64 exec, exec, s[0:1]
	s_and_saveexec_b64 s[0:1], s[22:23]
	s_cbranch_execz .LBB86_81
.LBB86_136:
	v_lshlrev_b32_e32 v5, 3, v19
	ds_read_b64 v[6:7], v5
	ds_read_b64 v[10:11], v4 offset:18432
	v_mov_b32_e32 v5, s43
	s_waitcnt lgkmcnt(1)
	v_lshlrev_b64 v[6:7], 3, v[6:7]
	v_add_co_u32_e32 v6, vcc, s42, v6
	v_addc_co_u32_e32 v5, vcc, v5, v7, vcc
	v_lshlrev_b32_e32 v7, 3, v31
	v_add_co_u32_e32 v6, vcc, v6, v7
	v_addc_co_u32_e32 v7, vcc, 0, v5, vcc
	s_waitcnt lgkmcnt(0)
	global_store_dwordx2 v[6:7], v[10:11], off
	s_or_b64 exec, exec, s[0:1]
	s_and_saveexec_b64 s[0:1], s[24:25]
	s_cbranch_execnz .LBB86_82
	s_branch .LBB86_83
	.section	.rodata,"a",@progbits
	.p2align	6, 0x0
	.amdhsa_kernel _ZN7rocprim17ROCPRIM_304000_NS6detail25onesweep_iteration_kernelINS1_34wrapped_radix_sort_onesweep_configINS0_14default_configEiN2at4cuda3cub6detail10OpaqueTypeILi8EEEEELb1EPKiPiPKSA_PSA_mNS0_19identity_decomposerEEEvT1_T2_T3_T4_jPT5_SO_PNS1_23onesweep_lookback_stateET6_jjj
		.amdhsa_group_segment_fixed_size 26624
		.amdhsa_private_segment_fixed_size 0
		.amdhsa_kernarg_size 336
		.amdhsa_user_sgpr_count 6
		.amdhsa_user_sgpr_private_segment_buffer 1
		.amdhsa_user_sgpr_dispatch_ptr 0
		.amdhsa_user_sgpr_queue_ptr 0
		.amdhsa_user_sgpr_kernarg_segment_ptr 1
		.amdhsa_user_sgpr_dispatch_id 0
		.amdhsa_user_sgpr_flat_scratch_init 0
		.amdhsa_user_sgpr_kernarg_preload_length 0
		.amdhsa_user_sgpr_kernarg_preload_offset 0
		.amdhsa_user_sgpr_private_segment_size 0
		.amdhsa_uses_dynamic_stack 0
		.amdhsa_system_sgpr_private_segment_wavefront_offset 0
		.amdhsa_system_sgpr_workgroup_id_x 1
		.amdhsa_system_sgpr_workgroup_id_y 0
		.amdhsa_system_sgpr_workgroup_id_z 0
		.amdhsa_system_sgpr_workgroup_info 0
		.amdhsa_system_vgpr_workitem_id 2
		.amdhsa_next_free_vgpr 50
		.amdhsa_next_free_sgpr 52
		.amdhsa_accum_offset 52
		.amdhsa_reserve_vcc 1
		.amdhsa_reserve_flat_scratch 0
		.amdhsa_float_round_mode_32 0
		.amdhsa_float_round_mode_16_64 0
		.amdhsa_float_denorm_mode_32 3
		.amdhsa_float_denorm_mode_16_64 3
		.amdhsa_dx10_clamp 1
		.amdhsa_ieee_mode 1
		.amdhsa_fp16_overflow 0
		.amdhsa_tg_split 0
		.amdhsa_exception_fp_ieee_invalid_op 0
		.amdhsa_exception_fp_denorm_src 0
		.amdhsa_exception_fp_ieee_div_zero 0
		.amdhsa_exception_fp_ieee_overflow 0
		.amdhsa_exception_fp_ieee_underflow 0
		.amdhsa_exception_fp_ieee_inexact 0
		.amdhsa_exception_int_div_zero 0
	.end_amdhsa_kernel
	.section	.text._ZN7rocprim17ROCPRIM_304000_NS6detail25onesweep_iteration_kernelINS1_34wrapped_radix_sort_onesweep_configINS0_14default_configEiN2at4cuda3cub6detail10OpaqueTypeILi8EEEEELb1EPKiPiPKSA_PSA_mNS0_19identity_decomposerEEEvT1_T2_T3_T4_jPT5_SO_PNS1_23onesweep_lookback_stateET6_jjj,"axG",@progbits,_ZN7rocprim17ROCPRIM_304000_NS6detail25onesweep_iteration_kernelINS1_34wrapped_radix_sort_onesweep_configINS0_14default_configEiN2at4cuda3cub6detail10OpaqueTypeILi8EEEEELb1EPKiPiPKSA_PSA_mNS0_19identity_decomposerEEEvT1_T2_T3_T4_jPT5_SO_PNS1_23onesweep_lookback_stateET6_jjj,comdat
.Lfunc_end86:
	.size	_ZN7rocprim17ROCPRIM_304000_NS6detail25onesweep_iteration_kernelINS1_34wrapped_radix_sort_onesweep_configINS0_14default_configEiN2at4cuda3cub6detail10OpaqueTypeILi8EEEEELb1EPKiPiPKSA_PSA_mNS0_19identity_decomposerEEEvT1_T2_T3_T4_jPT5_SO_PNS1_23onesweep_lookback_stateET6_jjj, .Lfunc_end86-_ZN7rocprim17ROCPRIM_304000_NS6detail25onesweep_iteration_kernelINS1_34wrapped_radix_sort_onesweep_configINS0_14default_configEiN2at4cuda3cub6detail10OpaqueTypeILi8EEEEELb1EPKiPiPKSA_PSA_mNS0_19identity_decomposerEEEvT1_T2_T3_T4_jPT5_SO_PNS1_23onesweep_lookback_stateET6_jjj
                                        ; -- End function
	.section	.AMDGPU.csdata,"",@progbits
; Kernel info:
; codeLenInByte = 11364
; NumSgprs: 56
; NumVgprs: 50
; NumAgprs: 0
; TotalNumVgprs: 50
; ScratchSize: 0
; MemoryBound: 0
; FloatMode: 240
; IeeeMode: 1
; LDSByteSize: 26624 bytes/workgroup (compile time only)
; SGPRBlocks: 6
; VGPRBlocks: 6
; NumSGPRsForWavesPerEU: 56
; NumVGPRsForWavesPerEU: 50
; AccumOffset: 52
; Occupancy: 4
; WaveLimiterHint : 1
; COMPUTE_PGM_RSRC2:SCRATCH_EN: 0
; COMPUTE_PGM_RSRC2:USER_SGPR: 6
; COMPUTE_PGM_RSRC2:TRAP_HANDLER: 0
; COMPUTE_PGM_RSRC2:TGID_X_EN: 1
; COMPUTE_PGM_RSRC2:TGID_Y_EN: 0
; COMPUTE_PGM_RSRC2:TGID_Z_EN: 0
; COMPUTE_PGM_RSRC2:TIDIG_COMP_CNT: 2
; COMPUTE_PGM_RSRC3_GFX90A:ACCUM_OFFSET: 12
; COMPUTE_PGM_RSRC3_GFX90A:TG_SPLIT: 0
	.section	.text._ZN7rocprim17ROCPRIM_304000_NS6detail25onesweep_iteration_kernelINS1_34wrapped_radix_sort_onesweep_configINS0_14default_configEiN2at4cuda3cub6detail10OpaqueTypeILi8EEEEELb1EPiSC_PSA_SD_mNS0_19identity_decomposerEEEvT1_T2_T3_T4_jPT5_SK_PNS1_23onesweep_lookback_stateET6_jjj,"axG",@progbits,_ZN7rocprim17ROCPRIM_304000_NS6detail25onesweep_iteration_kernelINS1_34wrapped_radix_sort_onesweep_configINS0_14default_configEiN2at4cuda3cub6detail10OpaqueTypeILi8EEEEELb1EPiSC_PSA_SD_mNS0_19identity_decomposerEEEvT1_T2_T3_T4_jPT5_SK_PNS1_23onesweep_lookback_stateET6_jjj,comdat
	.protected	_ZN7rocprim17ROCPRIM_304000_NS6detail25onesweep_iteration_kernelINS1_34wrapped_radix_sort_onesweep_configINS0_14default_configEiN2at4cuda3cub6detail10OpaqueTypeILi8EEEEELb1EPiSC_PSA_SD_mNS0_19identity_decomposerEEEvT1_T2_T3_T4_jPT5_SK_PNS1_23onesweep_lookback_stateET6_jjj ; -- Begin function _ZN7rocprim17ROCPRIM_304000_NS6detail25onesweep_iteration_kernelINS1_34wrapped_radix_sort_onesweep_configINS0_14default_configEiN2at4cuda3cub6detail10OpaqueTypeILi8EEEEELb1EPiSC_PSA_SD_mNS0_19identity_decomposerEEEvT1_T2_T3_T4_jPT5_SK_PNS1_23onesweep_lookback_stateET6_jjj
	.globl	_ZN7rocprim17ROCPRIM_304000_NS6detail25onesweep_iteration_kernelINS1_34wrapped_radix_sort_onesweep_configINS0_14default_configEiN2at4cuda3cub6detail10OpaqueTypeILi8EEEEELb1EPiSC_PSA_SD_mNS0_19identity_decomposerEEEvT1_T2_T3_T4_jPT5_SK_PNS1_23onesweep_lookback_stateET6_jjj
	.p2align	8
	.type	_ZN7rocprim17ROCPRIM_304000_NS6detail25onesweep_iteration_kernelINS1_34wrapped_radix_sort_onesweep_configINS0_14default_configEiN2at4cuda3cub6detail10OpaqueTypeILi8EEEEELb1EPiSC_PSA_SD_mNS0_19identity_decomposerEEEvT1_T2_T3_T4_jPT5_SK_PNS1_23onesweep_lookback_stateET6_jjj,@function
_ZN7rocprim17ROCPRIM_304000_NS6detail25onesweep_iteration_kernelINS1_34wrapped_radix_sort_onesweep_configINS0_14default_configEiN2at4cuda3cub6detail10OpaqueTypeILi8EEEEELb1EPiSC_PSA_SD_mNS0_19identity_decomposerEEEvT1_T2_T3_T4_jPT5_SK_PNS1_23onesweep_lookback_stateET6_jjj: ; @_ZN7rocprim17ROCPRIM_304000_NS6detail25onesweep_iteration_kernelINS1_34wrapped_radix_sort_onesweep_configINS0_14default_configEiN2at4cuda3cub6detail10OpaqueTypeILi8EEEEELb1EPiSC_PSA_SD_mNS0_19identity_decomposerEEEvT1_T2_T3_T4_jPT5_SK_PNS1_23onesweep_lookback_stateET6_jjj
; %bb.0:
	s_load_dwordx4 s[48:51], s[4:5], 0x44
	s_load_dwordx8 s[36:43], s[4:5], 0x0
	s_load_dwordx4 s[44:47], s[4:5], 0x28
	s_load_dwordx2 s[34:35], s[4:5], 0x38
	s_mul_i32 s30, s6, 0xc00
	s_waitcnt lgkmcnt(0)
	s_cmp_ge_u32 s6, s50
	v_mbcnt_lo_u32_b32 v1, -1, 0
	s_cbranch_scc0 .LBB87_86
; %bb.1:
	s_load_dword s2, s[4:5], 0x20
	s_mulk_i32 s50, 0xf400
	s_mov_b32 s31, 0
	s_lshl_b64 s[0:1], s[30:31], 2
	v_and_b32_e32 v8, 0x3ff, v0
	s_waitcnt lgkmcnt(0)
	s_add_i32 s50, s50, s2
	s_add_u32 s0, s36, s0
	v_mbcnt_hi_u32_b32 v14, -1, v1
	s_addc_u32 s1, s37, s1
	v_and_b32_e32 v15, 0x1c0, v8
	v_lshlrev_b32_e32 v2, 2, v14
	v_mul_u32_u24_e32 v9, 6, v15
	v_mov_b32_e32 v3, s1
	v_add_co_u32_e32 v2, vcc, s0, v2
	v_addc_co_u32_e32 v3, vcc, 0, v3, vcc
	v_lshlrev_b32_e32 v4, 2, v9
	s_brev_b32 s8, 1
	v_add_co_u32_e32 v10, vcc, v2, v4
	s_mov_b32 s9, s8
	v_addc_co_u32_e32 v11, vcc, 0, v3, vcc
	v_or_b32_e32 v12, v14, v9
	s_mov_b32 s10, s8
	s_mov_b32 s11, s8
	;; [unrolled: 1-line block ×4, first 2 shown]
	v_pk_mov_b32 v[2:3], s[8:9], s[8:9] op_sel:[0,1]
	v_cmp_gt_u32_e32 vcc, s50, v12
	v_pk_mov_b32 v[4:5], s[10:11], s[10:11] op_sel:[0,1]
	v_pk_mov_b32 v[6:7], s[12:13], s[12:13] op_sel:[0,1]
	s_and_saveexec_b64 s[0:1], vcc
	s_cbranch_execz .LBB87_3
; %bb.2:
	global_load_dword v2, v[10:11], off
	v_bfrev_b32_e32 v3, 1
	v_mov_b32_e32 v4, v3
	v_mov_b32_e32 v5, v3
	;; [unrolled: 1-line block ×4, first 2 shown]
.LBB87_3:
	s_or_b64 exec, exec, s[0:1]
	v_add_u32_e32 v13, 64, v12
	v_cmp_gt_u32_e64 s[0:1], s50, v13
	s_and_saveexec_b64 s[2:3], s[0:1]
	s_cbranch_execz .LBB87_5
; %bb.4:
	global_load_dword v3, v[10:11], off offset:256
.LBB87_5:
	s_or_b64 exec, exec, s[2:3]
	v_add_u32_e32 v13, 0x80, v12
	v_cmp_gt_u32_e64 s[2:3], s50, v13
	s_and_saveexec_b64 s[8:9], s[2:3]
	s_cbranch_execz .LBB87_7
; %bb.6:
	global_load_dword v4, v[10:11], off offset:512
.LBB87_7:
	s_or_b64 exec, exec, s[8:9]
	v_add_u32_e32 v13, 0xc0, v12
	v_cmp_gt_u32_e64 s[26:27], s50, v13
	s_and_saveexec_b64 s[8:9], s[26:27]
	s_cbranch_execz .LBB87_9
; %bb.8:
	global_load_dword v5, v[10:11], off offset:768
.LBB87_9:
	s_or_b64 exec, exec, s[8:9]
	v_add_u32_e32 v13, 0x100, v12
	v_cmp_gt_u32_e64 s[8:9], s50, v13
	s_and_saveexec_b64 s[10:11], s[8:9]
	s_cbranch_execz .LBB87_11
; %bb.10:
	global_load_dword v6, v[10:11], off offset:1024
.LBB87_11:
	s_or_b64 exec, exec, s[10:11]
	v_add_u32_e32 v12, 0x140, v12
	v_cmp_gt_u32_e64 s[10:11], s50, v12
	s_and_saveexec_b64 s[12:13], s[10:11]
	s_cbranch_execz .LBB87_13
; %bb.12:
	global_load_dword v7, v[10:11], off offset:1280
.LBB87_13:
	s_or_b64 exec, exec, s[12:13]
	s_load_dword s12, s[4:5], 0x5c
	s_load_dword s7, s[4:5], 0x50
	s_add_u32 s13, s4, 0x50
	s_addc_u32 s14, s5, 0
	v_mov_b32_e32 v10, 0
	s_waitcnt lgkmcnt(0)
	s_lshr_b32 s15, s12, 16
	s_cmp_lt_u32 s6, s7
	s_cselect_b32 s12, 12, 18
	s_add_u32 s12, s13, s12
	s_addc_u32 s13, s14, 0
	global_load_ushort v12, v10, s[12:13]
	s_waitcnt vmcnt(1)
	v_xor_b32_e32 v16, 0x7fffffff, v2
	v_mul_u32_u24_e32 v13, 5, v8
	s_lshl_b32 s12, -1, s49
	v_lshlrev_b32_e32 v17, 2, v13
	v_lshrrev_b32_e32 v13, s48, v16
	s_not_b32 s33, s12
	v_and_b32_e32 v13, s33, v13
	v_and_b32_e32 v19, 1, v13
	v_bfe_u32 v2, v0, 10, 10
	v_bfe_u32 v11, v0, 20, 10
	v_add_co_u32_e64 v20, s[12:13], -1, v19
	v_mad_u32_u24 v2, v11, s15, v2
	v_lshlrev_b32_e32 v11, 30, v13
	v_addc_co_u32_e64 v21, s[12:13], 0, -1, s[12:13]
	v_cmp_ne_u32_e64 s[12:13], 0, v19
	v_cmp_gt_i64_e64 s[14:15], 0, v[10:11]
	v_not_b32_e32 v19, v11
	v_lshlrev_b32_e32 v11, 29, v13
	v_xor_b32_e32 v21, s13, v21
	v_xor_b32_e32 v20, s12, v20
	v_ashrrev_i32_e32 v19, 31, v19
	v_cmp_gt_i64_e64 s[12:13], 0, v[10:11]
	v_not_b32_e32 v22, v11
	v_lshlrev_b32_e32 v11, 28, v13
	v_and_b32_e32 v21, exec_hi, v21
	v_and_b32_e32 v20, exec_lo, v20
	v_xor_b32_e32 v23, s15, v19
	v_xor_b32_e32 v19, s14, v19
	v_ashrrev_i32_e32 v22, 31, v22
	v_cmp_gt_i64_e64 s[14:15], 0, v[10:11]
	v_not_b32_e32 v24, v11
	v_lshlrev_b32_e32 v11, 27, v13
	v_and_b32_e32 v21, v21, v23
	v_and_b32_e32 v19, v20, v19
	v_xor_b32_e32 v20, s13, v22
	v_xor_b32_e32 v22, s12, v22
	v_ashrrev_i32_e32 v23, 31, v24
	v_cmp_gt_i64_e64 s[12:13], 0, v[10:11]
	v_not_b32_e32 v24, v11
	v_lshlrev_b32_e32 v11, 26, v13
	v_and_b32_e32 v20, v21, v20
	v_and_b32_e32 v19, v19, v22
	;; [unrolled: 8-line block ×3, first 2 shown]
	v_xor_b32_e32 v21, s13, v23
	v_xor_b32_e32 v22, s12, v23
	v_ashrrev_i32_e32 v23, 31, v24
	v_not_b32_e32 v24, v11
	v_lshl_add_u32 v18, v13, 3, v13
	v_cmp_gt_i64_e64 s[12:13], 0, v[10:11]
	v_lshlrev_b32_e32 v11, 24, v13
	v_and_b32_e32 v13, v20, v21
	v_and_b32_e32 v19, v19, v22
	v_xor_b32_e32 v20, s15, v23
	v_ashrrev_i32_e32 v22, 31, v24
	v_xor_b32_e32 v21, s14, v23
	v_cmp_gt_i64_e64 s[14:15], 0, v[10:11]
	v_not_b32_e32 v11, v11
	v_and_b32_e32 v13, v13, v20
	v_xor_b32_e32 v20, s13, v22
	v_and_b32_e32 v19, v19, v21
	v_xor_b32_e32 v21, s12, v22
	v_and_b32_e32 v20, v13, v20
	v_and_b32_e32 v21, v19, v21
	ds_write2_b32 v17, v10, v10 offset0:8 offset1:9
	ds_write2_b32 v17, v10, v10 offset0:10 offset1:11
	ds_write_b32 v17, v10 offset:48
	s_waitcnt lgkmcnt(0)
	s_barrier
	s_waitcnt lgkmcnt(0)
	; wave barrier
	s_waitcnt vmcnt(0)
	v_mad_u64_u32 v[12:13], s[12:13], v2, v12, v[8:9]
	v_ashrrev_i32_e32 v2, 31, v11
	v_xor_b32_e32 v11, s15, v2
	v_xor_b32_e32 v2, s14, v2
	v_lshrrev_b32_e32 v23, 6, v12
	v_and_b32_e32 v12, v21, v2
	v_and_b32_e32 v13, v20, v11
	v_mbcnt_lo_u32_b32 v2, v12, 0
	v_add_lshl_u32 v19, v23, v18, 2
	v_mbcnt_hi_u32_b32 v18, v13, v2
	v_cmp_eq_u32_e64 s[12:13], 0, v18
	v_cmp_ne_u64_e64 s[14:15], 0, v[12:13]
	s_and_b64 s[14:15], s[14:15], s[12:13]
	s_and_saveexec_b64 s[12:13], s[14:15]
	s_cbranch_execz .LBB87_15
; %bb.14:
	v_bcnt_u32_b32 v2, v12, 0
	v_bcnt_u32_b32 v2, v13, v2
	ds_write_b32 v19, v2 offset:32
.LBB87_15:
	s_or_b64 exec, exec, s[12:13]
	v_xor_b32_e32 v12, 0x7fffffff, v3
	v_lshrrev_b32_e32 v2, s48, v12
	v_and_b32_e32 v2, s33, v2
	v_lshl_add_u32 v3, v2, 3, v2
	v_add_lshl_u32 v20, v23, v3, 2
	v_and_b32_e32 v3, 1, v2
	v_add_co_u32_e64 v11, s[12:13], -1, v3
	v_addc_co_u32_e64 v21, s[12:13], 0, -1, s[12:13]
	v_cmp_ne_u32_e64 s[12:13], 0, v3
	v_xor_b32_e32 v11, s12, v11
	v_xor_b32_e32 v3, s13, v21
	v_and_b32_e32 v21, exec_lo, v11
	v_lshlrev_b32_e32 v11, 30, v2
	v_cmp_gt_i64_e64 s[12:13], 0, v[10:11]
	v_not_b32_e32 v11, v11
	v_ashrrev_i32_e32 v11, 31, v11
	v_xor_b32_e32 v22, s13, v11
	v_xor_b32_e32 v11, s12, v11
	v_and_b32_e32 v21, v21, v11
	v_lshlrev_b32_e32 v11, 29, v2
	v_cmp_gt_i64_e64 s[12:13], 0, v[10:11]
	v_not_b32_e32 v11, v11
	v_and_b32_e32 v3, exec_hi, v3
	v_ashrrev_i32_e32 v11, 31, v11
	v_and_b32_e32 v3, v3, v22
	v_xor_b32_e32 v22, s13, v11
	v_xor_b32_e32 v11, s12, v11
	v_and_b32_e32 v21, v21, v11
	v_lshlrev_b32_e32 v11, 28, v2
	v_cmp_gt_i64_e64 s[12:13], 0, v[10:11]
	v_not_b32_e32 v11, v11
	v_ashrrev_i32_e32 v11, 31, v11
	v_and_b32_e32 v3, v3, v22
	v_xor_b32_e32 v22, s13, v11
	v_xor_b32_e32 v11, s12, v11
	v_and_b32_e32 v21, v21, v11
	v_lshlrev_b32_e32 v11, 27, v2
	v_cmp_gt_i64_e64 s[12:13], 0, v[10:11]
	v_not_b32_e32 v11, v11
	;; [unrolled: 8-line block ×4, first 2 shown]
	v_ashrrev_i32_e32 v11, 31, v11
	v_and_b32_e32 v3, v3, v22
	v_xor_b32_e32 v22, s13, v11
	v_xor_b32_e32 v11, s12, v11
	v_and_b32_e32 v21, v21, v11
	v_lshlrev_b32_e32 v11, 24, v2
	v_not_b32_e32 v2, v11
	v_cmp_gt_i64_e64 s[12:13], 0, v[10:11]
	v_ashrrev_i32_e32 v2, 31, v2
	v_xor_b32_e32 v10, s13, v2
	v_xor_b32_e32 v2, s12, v2
	; wave barrier
	ds_read_b32 v13, v20 offset:32
	v_and_b32_e32 v3, v3, v22
	v_and_b32_e32 v2, v21, v2
	;; [unrolled: 1-line block ×3, first 2 shown]
	v_mbcnt_lo_u32_b32 v10, v2, 0
	v_mbcnt_hi_u32_b32 v21, v3, v10
	v_cmp_eq_u32_e64 s[12:13], 0, v21
	v_cmp_ne_u64_e64 s[14:15], 0, v[2:3]
	s_and_b64 s[14:15], s[14:15], s[12:13]
	; wave barrier
	s_and_saveexec_b64 s[12:13], s[14:15]
	s_cbranch_execz .LBB87_17
; %bb.16:
	v_bcnt_u32_b32 v2, v2, 0
	v_bcnt_u32_b32 v2, v3, v2
	s_waitcnt lgkmcnt(0)
	v_add_u32_e32 v2, v13, v2
	ds_write_b32 v20, v2 offset:32
.LBB87_17:
	s_or_b64 exec, exec, s[12:13]
	v_xor_b32_e32 v22, 0x7fffffff, v4
	v_lshrrev_b32_e32 v2, s48, v22
	v_and_b32_e32 v4, s33, v2
	v_and_b32_e32 v3, 1, v4
	v_add_co_u32_e64 v10, s[12:13], -1, v3
	v_addc_co_u32_e64 v11, s[12:13], 0, -1, s[12:13]
	v_cmp_ne_u32_e64 s[12:13], 0, v3
	v_lshl_add_u32 v2, v4, 3, v4
	v_xor_b32_e32 v3, s13, v11
	v_add_lshl_u32 v25, v23, v2, 2
	v_mov_b32_e32 v2, 0
	v_and_b32_e32 v11, exec_hi, v3
	v_lshlrev_b32_e32 v3, 30, v4
	v_xor_b32_e32 v10, s12, v10
	v_cmp_gt_i64_e64 s[12:13], 0, v[2:3]
	v_not_b32_e32 v3, v3
	v_ashrrev_i32_e32 v3, 31, v3
	v_and_b32_e32 v10, exec_lo, v10
	v_xor_b32_e32 v26, s13, v3
	v_xor_b32_e32 v3, s12, v3
	v_and_b32_e32 v10, v10, v3
	v_lshlrev_b32_e32 v3, 29, v4
	v_cmp_gt_i64_e64 s[12:13], 0, v[2:3]
	v_not_b32_e32 v3, v3
	v_ashrrev_i32_e32 v3, 31, v3
	v_and_b32_e32 v11, v11, v26
	v_xor_b32_e32 v26, s13, v3
	v_xor_b32_e32 v3, s12, v3
	v_and_b32_e32 v10, v10, v3
	v_lshlrev_b32_e32 v3, 28, v4
	v_cmp_gt_i64_e64 s[12:13], 0, v[2:3]
	v_not_b32_e32 v3, v3
	v_ashrrev_i32_e32 v3, 31, v3
	v_and_b32_e32 v11, v11, v26
	;; [unrolled: 8-line block ×5, first 2 shown]
	v_xor_b32_e32 v26, s13, v3
	v_xor_b32_e32 v3, s12, v3
	v_and_b32_e32 v10, v10, v3
	v_lshlrev_b32_e32 v3, 24, v4
	v_cmp_gt_i64_e64 s[12:13], 0, v[2:3]
	v_not_b32_e32 v3, v3
	v_ashrrev_i32_e32 v3, 31, v3
	v_xor_b32_e32 v4, s13, v3
	v_xor_b32_e32 v3, s12, v3
	; wave barrier
	ds_read_b32 v24, v25 offset:32
	v_and_b32_e32 v11, v11, v26
	v_and_b32_e32 v10, v10, v3
	;; [unrolled: 1-line block ×3, first 2 shown]
	v_mbcnt_lo_u32_b32 v3, v10, 0
	v_mbcnt_hi_u32_b32 v26, v11, v3
	v_cmp_eq_u32_e64 s[12:13], 0, v26
	v_cmp_ne_u64_e64 s[14:15], 0, v[10:11]
	s_and_b64 s[14:15], s[14:15], s[12:13]
	; wave barrier
	s_and_saveexec_b64 s[12:13], s[14:15]
	s_cbranch_execz .LBB87_19
; %bb.18:
	v_bcnt_u32_b32 v3, v10, 0
	v_bcnt_u32_b32 v3, v11, v3
	s_waitcnt lgkmcnt(0)
	v_add_u32_e32 v3, v24, v3
	ds_write_b32 v25, v3 offset:32
.LBB87_19:
	s_or_b64 exec, exec, s[12:13]
	v_xor_b32_e32 v10, 0x7fffffff, v5
	v_lshrrev_b32_e32 v3, s48, v10
	v_and_b32_e32 v4, s33, v3
	v_lshl_add_u32 v3, v4, 3, v4
	v_add_lshl_u32 v27, v23, v3, 2
	v_and_b32_e32 v3, 1, v4
	v_add_co_u32_e64 v5, s[12:13], -1, v3
	v_addc_co_u32_e64 v28, s[12:13], 0, -1, s[12:13]
	v_cmp_ne_u32_e64 s[12:13], 0, v3
	v_xor_b32_e32 v3, s13, v28
	v_and_b32_e32 v28, exec_hi, v3
	v_lshlrev_b32_e32 v3, 30, v4
	v_xor_b32_e32 v5, s12, v5
	v_cmp_gt_i64_e64 s[12:13], 0, v[2:3]
	v_not_b32_e32 v3, v3
	v_ashrrev_i32_e32 v3, 31, v3
	v_and_b32_e32 v5, exec_lo, v5
	v_xor_b32_e32 v29, s13, v3
	v_xor_b32_e32 v3, s12, v3
	v_and_b32_e32 v5, v5, v3
	v_lshlrev_b32_e32 v3, 29, v4
	v_cmp_gt_i64_e64 s[12:13], 0, v[2:3]
	v_not_b32_e32 v3, v3
	v_ashrrev_i32_e32 v3, 31, v3
	v_and_b32_e32 v28, v28, v29
	v_xor_b32_e32 v29, s13, v3
	v_xor_b32_e32 v3, s12, v3
	v_and_b32_e32 v5, v5, v3
	v_lshlrev_b32_e32 v3, 28, v4
	v_cmp_gt_i64_e64 s[12:13], 0, v[2:3]
	v_not_b32_e32 v3, v3
	v_ashrrev_i32_e32 v3, 31, v3
	v_and_b32_e32 v28, v28, v29
	;; [unrolled: 8-line block ×5, first 2 shown]
	v_xor_b32_e32 v29, s13, v3
	v_xor_b32_e32 v3, s12, v3
	v_and_b32_e32 v5, v5, v3
	v_lshlrev_b32_e32 v3, 24, v4
	v_cmp_gt_i64_e64 s[12:13], 0, v[2:3]
	v_not_b32_e32 v2, v3
	v_ashrrev_i32_e32 v2, 31, v2
	v_xor_b32_e32 v3, s13, v2
	v_xor_b32_e32 v2, s12, v2
	; wave barrier
	ds_read_b32 v11, v27 offset:32
	v_and_b32_e32 v28, v28, v29
	v_and_b32_e32 v2, v5, v2
	;; [unrolled: 1-line block ×3, first 2 shown]
	v_mbcnt_lo_u32_b32 v4, v2, 0
	v_mbcnt_hi_u32_b32 v29, v3, v4
	v_cmp_eq_u32_e64 s[12:13], 0, v29
	v_cmp_ne_u64_e64 s[14:15], 0, v[2:3]
	s_and_b64 s[14:15], s[14:15], s[12:13]
	; wave barrier
	s_and_saveexec_b64 s[12:13], s[14:15]
	s_cbranch_execz .LBB87_21
; %bb.20:
	v_bcnt_u32_b32 v2, v2, 0
	v_bcnt_u32_b32 v2, v3, v2
	s_waitcnt lgkmcnt(0)
	v_add_u32_e32 v2, v11, v2
	ds_write_b32 v27, v2 offset:32
.LBB87_21:
	s_or_b64 exec, exec, s[12:13]
	v_xor_b32_e32 v6, 0x7fffffff, v6
	v_lshrrev_b32_e32 v2, s48, v6
	v_and_b32_e32 v4, s33, v2
	v_and_b32_e32 v3, 1, v4
	v_add_co_u32_e64 v5, s[12:13], -1, v3
	v_addc_co_u32_e64 v31, s[12:13], 0, -1, s[12:13]
	v_cmp_ne_u32_e64 s[12:13], 0, v3
	v_lshl_add_u32 v2, v4, 3, v4
	v_xor_b32_e32 v3, s13, v31
	v_add_lshl_u32 v28, v23, v2, 2
	v_mov_b32_e32 v2, 0
	v_and_b32_e32 v31, exec_hi, v3
	v_lshlrev_b32_e32 v3, 30, v4
	v_xor_b32_e32 v5, s12, v5
	v_cmp_gt_i64_e64 s[12:13], 0, v[2:3]
	v_not_b32_e32 v3, v3
	v_ashrrev_i32_e32 v3, 31, v3
	v_and_b32_e32 v5, exec_lo, v5
	v_xor_b32_e32 v32, s13, v3
	v_xor_b32_e32 v3, s12, v3
	v_and_b32_e32 v5, v5, v3
	v_lshlrev_b32_e32 v3, 29, v4
	v_cmp_gt_i64_e64 s[12:13], 0, v[2:3]
	v_not_b32_e32 v3, v3
	v_ashrrev_i32_e32 v3, 31, v3
	v_and_b32_e32 v31, v31, v32
	v_xor_b32_e32 v32, s13, v3
	v_xor_b32_e32 v3, s12, v3
	v_and_b32_e32 v5, v5, v3
	v_lshlrev_b32_e32 v3, 28, v4
	v_cmp_gt_i64_e64 s[12:13], 0, v[2:3]
	v_not_b32_e32 v3, v3
	v_ashrrev_i32_e32 v3, 31, v3
	v_and_b32_e32 v31, v31, v32
	;; [unrolled: 8-line block ×5, first 2 shown]
	v_xor_b32_e32 v32, s13, v3
	v_xor_b32_e32 v3, s12, v3
	v_and_b32_e32 v31, v31, v32
	v_and_b32_e32 v32, v5, v3
	v_lshlrev_b32_e32 v3, 24, v4
	v_cmp_gt_i64_e64 s[12:13], 0, v[2:3]
	v_not_b32_e32 v3, v3
	v_ashrrev_i32_e32 v3, 31, v3
	v_xor_b32_e32 v4, s13, v3
	v_xor_b32_e32 v3, s12, v3
	; wave barrier
	ds_read_b32 v30, v28 offset:32
	v_and_b32_e32 v5, v31, v4
	v_and_b32_e32 v4, v32, v3
	v_mbcnt_lo_u32_b32 v3, v4, 0
	v_mbcnt_hi_u32_b32 v31, v5, v3
	v_cmp_eq_u32_e64 s[12:13], 0, v31
	v_cmp_ne_u64_e64 s[14:15], 0, v[4:5]
	s_and_b64 s[14:15], s[14:15], s[12:13]
	; wave barrier
	s_and_saveexec_b64 s[12:13], s[14:15]
	s_cbranch_execz .LBB87_23
; %bb.22:
	v_bcnt_u32_b32 v3, v4, 0
	v_bcnt_u32_b32 v3, v5, v3
	s_waitcnt lgkmcnt(0)
	v_add_u32_e32 v3, v30, v3
	ds_write_b32 v28, v3 offset:32
.LBB87_23:
	s_or_b64 exec, exec, s[12:13]
	v_xor_b32_e32 v7, 0x7fffffff, v7
	v_lshrrev_b32_e32 v3, s48, v7
	v_and_b32_e32 v4, s33, v3
	v_lshl_add_u32 v3, v4, 3, v4
	v_add_lshl_u32 v33, v23, v3, 2
	v_and_b32_e32 v3, 1, v4
	v_add_co_u32_e64 v5, s[12:13], -1, v3
	v_addc_co_u32_e64 v23, s[12:13], 0, -1, s[12:13]
	v_cmp_ne_u32_e64 s[12:13], 0, v3
	v_xor_b32_e32 v3, s13, v23
	v_and_b32_e32 v23, exec_hi, v3
	v_lshlrev_b32_e32 v3, 30, v4
	v_xor_b32_e32 v5, s12, v5
	v_cmp_gt_i64_e64 s[12:13], 0, v[2:3]
	v_not_b32_e32 v3, v3
	v_ashrrev_i32_e32 v3, 31, v3
	v_and_b32_e32 v5, exec_lo, v5
	v_xor_b32_e32 v35, s13, v3
	v_xor_b32_e32 v3, s12, v3
	v_and_b32_e32 v5, v5, v3
	v_lshlrev_b32_e32 v3, 29, v4
	v_cmp_gt_i64_e64 s[12:13], 0, v[2:3]
	v_not_b32_e32 v3, v3
	v_ashrrev_i32_e32 v3, 31, v3
	v_and_b32_e32 v23, v23, v35
	v_xor_b32_e32 v35, s13, v3
	v_xor_b32_e32 v3, s12, v3
	v_and_b32_e32 v5, v5, v3
	v_lshlrev_b32_e32 v3, 28, v4
	v_cmp_gt_i64_e64 s[12:13], 0, v[2:3]
	v_not_b32_e32 v3, v3
	v_ashrrev_i32_e32 v3, 31, v3
	v_and_b32_e32 v23, v23, v35
	;; [unrolled: 8-line block ×5, first 2 shown]
	v_xor_b32_e32 v35, s13, v3
	v_xor_b32_e32 v3, s12, v3
	v_and_b32_e32 v5, v5, v3
	v_lshlrev_b32_e32 v3, 24, v4
	v_cmp_gt_i64_e64 s[12:13], 0, v[2:3]
	v_not_b32_e32 v2, v3
	v_ashrrev_i32_e32 v2, 31, v2
	v_xor_b32_e32 v3, s13, v2
	v_xor_b32_e32 v2, s12, v2
	; wave barrier
	ds_read_b32 v32, v33 offset:32
	v_and_b32_e32 v23, v23, v35
	v_and_b32_e32 v2, v5, v2
	;; [unrolled: 1-line block ×3, first 2 shown]
	v_mbcnt_lo_u32_b32 v4, v2, 0
	v_mbcnt_hi_u32_b32 v35, v3, v4
	v_cmp_eq_u32_e64 s[12:13], 0, v35
	v_cmp_ne_u64_e64 s[14:15], 0, v[2:3]
	v_add_u32_e32 v34, 32, v17
	s_and_b64 s[14:15], s[14:15], s[12:13]
	; wave barrier
	s_and_saveexec_b64 s[12:13], s[14:15]
	s_cbranch_execz .LBB87_25
; %bb.24:
	v_bcnt_u32_b32 v2, v2, 0
	v_bcnt_u32_b32 v2, v3, v2
	s_waitcnt lgkmcnt(0)
	v_add_u32_e32 v2, v32, v2
	ds_write_b32 v33, v2 offset:32
.LBB87_25:
	s_or_b64 exec, exec, s[12:13]
	; wave barrier
	s_waitcnt lgkmcnt(0)
	s_barrier
	ds_read2_b32 v[4:5], v17 offset0:8 offset1:9
	ds_read2_b32 v[2:3], v34 offset0:2 offset1:3
	ds_read_b32 v23, v34 offset:16
	v_min_u32_e32 v15, 0x1c0, v15
	v_or_b32_e32 v15, 63, v15
	s_waitcnt lgkmcnt(1)
	v_add3_u32 v36, v5, v4, v2
	s_waitcnt lgkmcnt(0)
	v_add3_u32 v23, v36, v3, v23
	v_and_b32_e32 v36, 15, v14
	v_cmp_ne_u32_e64 s[12:13], 0, v36
	v_mov_b32_dpp v37, v23 row_shr:1 row_mask:0xf bank_mask:0xf
	v_cndmask_b32_e64 v37, 0, v37, s[12:13]
	v_add_u32_e32 v23, v37, v23
	v_cmp_lt_u32_e64 s[12:13], 1, v36
	s_nop 0
	v_mov_b32_dpp v37, v23 row_shr:2 row_mask:0xf bank_mask:0xf
	v_cndmask_b32_e64 v37, 0, v37, s[12:13]
	v_add_u32_e32 v23, v23, v37
	v_cmp_lt_u32_e64 s[12:13], 3, v36
	s_nop 0
	v_mov_b32_dpp v37, v23 row_shr:4 row_mask:0xf bank_mask:0xf
	v_cndmask_b32_e64 v37, 0, v37, s[12:13]
	v_add_u32_e32 v23, v23, v37
	v_cmp_lt_u32_e64 s[12:13], 7, v36
	s_nop 0
	v_mov_b32_dpp v37, v23 row_shr:8 row_mask:0xf bank_mask:0xf
	v_cndmask_b32_e64 v36, 0, v37, s[12:13]
	v_add_u32_e32 v23, v23, v36
	v_bfe_i32 v37, v14, 4, 1
	v_cmp_lt_u32_e64 s[12:13], 31, v14
	v_mov_b32_dpp v36, v23 row_bcast:15 row_mask:0xf bank_mask:0xf
	v_and_b32_e32 v36, v37, v36
	v_add_u32_e32 v23, v23, v36
	v_lshrrev_b32_e32 v37, 6, v8
	s_nop 0
	v_mov_b32_dpp v36, v23 row_bcast:31 row_mask:0xf bank_mask:0xf
	v_cndmask_b32_e64 v36, 0, v36, s[12:13]
	v_add_u32_e32 v36, v23, v36
	v_cmp_eq_u32_e64 s[12:13], v15, v8
	s_and_saveexec_b64 s[14:15], s[12:13]
	s_cbranch_execz .LBB87_27
; %bb.26:
	v_lshlrev_b32_e32 v15, 2, v37
	ds_write_b32 v15, v36
.LBB87_27:
	s_or_b64 exec, exec, s[14:15]
	v_cmp_gt_u32_e64 s[12:13], 8, v8
	v_lshlrev_b32_e32 v23, 2, v8
	s_waitcnt lgkmcnt(0)
	s_barrier
	s_and_saveexec_b64 s[14:15], s[12:13]
	s_cbranch_execz .LBB87_29
; %bb.28:
	ds_read_b32 v15, v23
	v_and_b32_e32 v38, 7, v14
	v_cmp_ne_u32_e64 s[12:13], 0, v38
	s_waitcnt lgkmcnt(0)
	v_mov_b32_dpp v39, v15 row_shr:1 row_mask:0xf bank_mask:0xf
	v_cndmask_b32_e64 v39, 0, v39, s[12:13]
	v_add_u32_e32 v15, v39, v15
	v_cmp_lt_u32_e64 s[12:13], 1, v38
	s_nop 0
	v_mov_b32_dpp v39, v15 row_shr:2 row_mask:0xf bank_mask:0xf
	v_cndmask_b32_e64 v39, 0, v39, s[12:13]
	v_add_u32_e32 v15, v15, v39
	v_cmp_lt_u32_e64 s[12:13], 3, v38
	s_nop 0
	v_mov_b32_dpp v39, v15 row_shr:4 row_mask:0xf bank_mask:0xf
	v_cndmask_b32_e64 v38, 0, v39, s[12:13]
	v_add_u32_e32 v15, v15, v38
	ds_write_b32 v23, v15
.LBB87_29:
	s_or_b64 exec, exec, s[14:15]
	v_cmp_lt_u32_e64 s[12:13], 63, v8
	v_mov_b32_e32 v15, 0
	s_waitcnt lgkmcnt(0)
	s_barrier
	s_and_saveexec_b64 s[14:15], s[12:13]
	s_cbranch_execz .LBB87_31
; %bb.30:
	v_lshl_add_u32 v15, v37, 2, -4
	ds_read_b32 v15, v15
.LBB87_31:
	s_or_b64 exec, exec, s[14:15]
	v_add_u32_e32 v37, -1, v14
	v_and_b32_e32 v38, 64, v14
	v_cmp_lt_i32_e64 s[12:13], v37, v38
	v_cndmask_b32_e64 v37, v37, v14, s[12:13]
	s_waitcnt lgkmcnt(0)
	v_add_u32_e32 v36, v15, v36
	v_lshlrev_b32_e32 v37, 2, v37
	ds_bpermute_b32 v36, v37, v36
	v_cmp_eq_u32_e64 s[12:13], 0, v14
	s_waitcnt lgkmcnt(0)
	v_cndmask_b32_e64 v15, v36, v15, s[12:13]
	v_cmp_ne_u32_e64 s[12:13], 0, v8
	v_cndmask_b32_e64 v15, 0, v15, s[12:13]
	v_add_u32_e32 v4, v15, v4
	v_add_u32_e32 v5, v4, v5
	;; [unrolled: 1-line block ×4, first 2 shown]
	ds_write2_b32 v17, v15, v4 offset0:8 offset1:9
	ds_write2_b32 v34, v5, v2 offset0:2 offset1:3
	ds_write_b32 v34, v3 offset:16
	s_waitcnt lgkmcnt(0)
	s_barrier
	ds_read_b32 v4, v19 offset:32
	ds_read_b32 v5, v20 offset:32
	;; [unrolled: 1-line block ×6, first 2 shown]
	s_movk_i32 s12, 0x100
	v_cmp_gt_u32_e64 s[12:13], s12, v8
	v_pk_mov_b32 v[2:3], 0, 0
                                        ; implicit-def: $vgpr20
	s_and_saveexec_b64 s[16:17], s[12:13]
	s_cbranch_execz .LBB87_35
; %bb.32:
	v_mul_u32_u24_e32 v2, 9, v8
	v_lshlrev_b32_e32 v20, 2, v2
	ds_read_b32 v2, v20 offset:32
	s_movk_i32 s14, 0xff
	v_cmp_ne_u32_e64 s[14:15], s14, v8
	v_mov_b32_e32 v3, 0xc00
	s_and_saveexec_b64 s[18:19], s[14:15]
	s_cbranch_execz .LBB87_34
; %bb.33:
	ds_read_b32 v3, v20 offset:68
.LBB87_34:
	s_or_b64 exec, exec, s[18:19]
	s_waitcnt lgkmcnt(0)
	v_sub_u32_e32 v20, v3, v2
	v_mov_b32_e32 v3, 0
.LBB87_35:
	s_or_b64 exec, exec, s[16:17]
	s_waitcnt lgkmcnt(5)
	v_add_u32_e32 v28, v4, v18
	s_waitcnt lgkmcnt(4)
	v_add3_u32 v27, v21, v13, v5
	v_lshlrev_b32_e32 v4, 2, v28
	s_waitcnt lgkmcnt(3)
	v_add3_u32 v26, v26, v24, v15
	s_waitcnt lgkmcnt(0)
	s_barrier
	ds_write_b32 v4, v16 offset:2048
	v_lshlrev_b32_e32 v4, 2, v27
	v_add3_u32 v25, v29, v11, v17
	ds_write_b32 v4, v12 offset:2048
	v_lshlrev_b32_e32 v4, 2, v26
	v_add3_u32 v24, v31, v30, v19
	;; [unrolled: 3-line block ×3, first 2 shown]
	ds_write_b32 v4, v10 offset:2048
	v_lshlrev_b32_e32 v4, 2, v24
	ds_write_b32 v4, v6 offset:2048
	v_lshlrev_b32_e32 v4, 2, v21
	ds_write_b32 v4, v7 offset:2048
	s_waitcnt lgkmcnt(0)
	s_barrier
	s_and_saveexec_b64 s[16:17], s[12:13]
	s_cbranch_execz .LBB87_45
; %bb.36:
	v_lshl_or_b32 v4, s6, 8, v8
	v_mov_b32_e32 v5, 0
	v_lshlrev_b64 v[6:7], 2, v[4:5]
	v_mov_b32_e32 v12, s35
	v_add_co_u32_e64 v6, s[14:15], s34, v6
	v_addc_co_u32_e64 v7, s[14:15], v12, v7, s[14:15]
	v_or_b32_e32 v4, 2.0, v20
	s_mov_b64 s[18:19], 0
	s_brev_b32 s24, 1
	s_mov_b32 s25, s6
	v_mov_b32_e32 v13, 0
	global_store_dword v[6:7], v4, off
                                        ; implicit-def: $sgpr14_sgpr15
	s_branch .LBB87_38
.LBB87_37:                              ;   in Loop: Header=BB87_38 Depth=1
	s_or_b64 exec, exec, s[20:21]
	v_and_b32_e32 v10, 0x3fffffff, v15
	v_add_u32_e32 v13, v10, v13
	v_cmp_eq_u32_e64 s[14:15], s24, v4
	s_and_b64 s[20:21], exec, s[14:15]
	s_or_b64 s[18:19], s[20:21], s[18:19]
	s_andn2_b64 exec, exec, s[18:19]
	s_cbranch_execz .LBB87_44
.LBB87_38:                              ; =>This Loop Header: Depth=1
                                        ;     Child Loop BB87_41 Depth 2
	s_or_b64 s[14:15], s[14:15], exec
	s_cmp_eq_u32 s25, 0
	s_cbranch_scc1 .LBB87_43
; %bb.39:                               ;   in Loop: Header=BB87_38 Depth=1
	s_add_i32 s25, s25, -1
	v_lshl_or_b32 v4, s25, 8, v8
	v_lshlrev_b64 v[10:11], 2, v[4:5]
	v_add_co_u32_e64 v10, s[14:15], s34, v10
	v_addc_co_u32_e64 v11, s[14:15], v12, v11, s[14:15]
	global_load_dword v15, v[10:11], off glc
	s_waitcnt vmcnt(0)
	v_and_b32_e32 v4, -2.0, v15
	v_cmp_eq_u32_e64 s[14:15], 0, v4
	s_and_saveexec_b64 s[20:21], s[14:15]
	s_cbranch_execz .LBB87_37
; %bb.40:                               ;   in Loop: Header=BB87_38 Depth=1
	s_mov_b64 s[22:23], 0
.LBB87_41:                              ;   Parent Loop BB87_38 Depth=1
                                        ; =>  This Inner Loop Header: Depth=2
	global_load_dword v15, v[10:11], off glc
	s_waitcnt vmcnt(0)
	v_and_b32_e32 v4, -2.0, v15
	v_cmp_ne_u32_e64 s[14:15], 0, v4
	s_or_b64 s[22:23], s[14:15], s[22:23]
	s_andn2_b64 exec, exec, s[22:23]
	s_cbranch_execnz .LBB87_41
; %bb.42:                               ;   in Loop: Header=BB87_38 Depth=1
	s_or_b64 exec, exec, s[22:23]
	s_branch .LBB87_37
.LBB87_43:                              ;   in Loop: Header=BB87_38 Depth=1
                                        ; implicit-def: $sgpr25
	s_and_b64 s[20:21], exec, s[14:15]
	s_or_b64 s[18:19], s[20:21], s[18:19]
	s_andn2_b64 exec, exec, s[18:19]
	s_cbranch_execnz .LBB87_38
.LBB87_44:
	s_or_b64 exec, exec, s[18:19]
	v_add_u32_e32 v4, v13, v20
	v_or_b32_e32 v4, 0x80000000, v4
	global_store_dword v[6:7], v4, off
	v_lshlrev_b32_e32 v6, 3, v8
	global_load_dwordx2 v[4:5], v6, s[44:45]
	v_sub_co_u32_e64 v7, s[14:15], v13, v2
	v_subb_co_u32_e64 v10, s[14:15], 0, v3, s[14:15]
	s_waitcnt vmcnt(0)
	v_add_co_u32_e64 v4, s[14:15], v7, v4
	v_addc_co_u32_e64 v5, s[14:15], v10, v5, s[14:15]
	ds_write_b64 v6, v[4:5]
.LBB87_45:
	s_or_b64 exec, exec, s[16:17]
	v_cmp_gt_u32_e64 s[14:15], s50, v8
	s_waitcnt lgkmcnt(0)
	s_barrier
	s_and_saveexec_b64 s[18:19], s[14:15]
	s_cbranch_execz .LBB87_47
; %bb.46:
	ds_read_b32 v6, v23 offset:2048
	v_mov_b32_e32 v7, s39
	s_waitcnt lgkmcnt(0)
	v_lshrrev_b32_e32 v4, s48, v6
	v_and_b32_e32 v4, s33, v4
	v_lshlrev_b32_e32 v4, 3, v4
	ds_read_b64 v[4:5], v4
	v_xor_b32_e32 v6, 0x7fffffff, v6
	s_waitcnt lgkmcnt(0)
	v_lshlrev_b64 v[4:5], 2, v[4:5]
	v_add_co_u32_e64 v4, s[16:17], s38, v4
	v_addc_co_u32_e64 v5, s[16:17], v7, v5, s[16:17]
	v_add_co_u32_e64 v4, s[16:17], v4, v23
	v_addc_co_u32_e64 v5, s[16:17], 0, v5, s[16:17]
	global_store_dword v[4:5], v6, off
.LBB87_47:
	s_or_b64 exec, exec, s[18:19]
	v_add_u32_e32 v22, 0x200, v8
	v_cmp_gt_u32_e64 s[16:17], s50, v22
	s_and_saveexec_b64 s[20:21], s[16:17]
	s_cbranch_execz .LBB87_49
; %bb.48:
	ds_read_b32 v6, v23 offset:4096
	v_mov_b32_e32 v7, s39
	s_waitcnt lgkmcnt(0)
	v_lshrrev_b32_e32 v4, s48, v6
	v_and_b32_e32 v4, s33, v4
	v_lshlrev_b32_e32 v4, 3, v4
	ds_read_b64 v[4:5], v4
	v_xor_b32_e32 v6, 0x7fffffff, v6
	s_waitcnt lgkmcnt(0)
	v_lshlrev_b64 v[4:5], 2, v[4:5]
	v_add_co_u32_e64 v4, s[18:19], s38, v4
	v_addc_co_u32_e64 v5, s[18:19], v7, v5, s[18:19]
	v_add_co_u32_e64 v4, s[18:19], v4, v23
	v_addc_co_u32_e64 v5, s[18:19], 0, v5, s[18:19]
	global_store_dword v[4:5], v6, off offset:2048
.LBB87_49:
	s_or_b64 exec, exec, s[20:21]
	v_or_b32_e32 v29, 0x400, v8
	v_cmp_gt_u32_e64 s[18:19], s50, v29
	s_and_saveexec_b64 s[22:23], s[18:19]
	s_cbranch_execz .LBB87_51
; %bb.50:
	ds_read_b32 v6, v23 offset:6144
	v_mov_b32_e32 v7, s39
	v_lshlrev_b32_e32 v10, 2, v29
	s_waitcnt lgkmcnt(0)
	v_lshrrev_b32_e32 v4, s48, v6
	v_and_b32_e32 v4, s33, v4
	v_lshlrev_b32_e32 v4, 3, v4
	ds_read_b64 v[4:5], v4
	v_xor_b32_e32 v6, 0x7fffffff, v6
	s_waitcnt lgkmcnt(0)
	v_lshlrev_b64 v[4:5], 2, v[4:5]
	v_add_co_u32_e64 v4, s[20:21], s38, v4
	v_addc_co_u32_e64 v5, s[20:21], v7, v5, s[20:21]
	v_add_co_u32_e64 v4, s[20:21], v4, v10
	v_addc_co_u32_e64 v5, s[20:21], 0, v5, s[20:21]
	global_store_dword v[4:5], v6, off
.LBB87_51:
	s_or_b64 exec, exec, s[22:23]
	v_add_u32_e32 v30, 0x600, v8
	v_cmp_gt_u32_e64 s[20:21], s50, v30
	s_and_saveexec_b64 s[24:25], s[20:21]
	s_cbranch_execz .LBB87_53
; %bb.52:
	ds_read_b32 v6, v23 offset:8192
	v_mov_b32_e32 v7, s39
	v_lshlrev_b32_e32 v10, 2, v30
	s_waitcnt lgkmcnt(0)
	v_lshrrev_b32_e32 v4, s48, v6
	v_and_b32_e32 v4, s33, v4
	v_lshlrev_b32_e32 v4, 3, v4
	ds_read_b64 v[4:5], v4
	v_xor_b32_e32 v6, 0x7fffffff, v6
	s_waitcnt lgkmcnt(0)
	v_lshlrev_b64 v[4:5], 2, v[4:5]
	v_add_co_u32_e64 v4, s[22:23], s38, v4
	v_addc_co_u32_e64 v5, s[22:23], v7, v5, s[22:23]
	v_add_co_u32_e64 v4, s[22:23], v4, v10
	v_addc_co_u32_e64 v5, s[22:23], 0, v5, s[22:23]
	global_store_dword v[4:5], v6, off
.LBB87_53:
	s_or_b64 exec, exec, s[24:25]
	v_or_b32_e32 v31, 0x800, v8
	v_cmp_gt_u32_e64 s[22:23], s50, v31
	s_and_saveexec_b64 s[28:29], s[22:23]
	s_cbranch_execz .LBB87_55
; %bb.54:
	ds_read_b32 v6, v23 offset:10240
	v_mov_b32_e32 v7, s39
	v_lshlrev_b32_e32 v10, 2, v31
	s_waitcnt lgkmcnt(0)
	v_lshrrev_b32_e32 v4, s48, v6
	v_and_b32_e32 v4, s33, v4
	v_lshlrev_b32_e32 v4, 3, v4
	ds_read_b64 v[4:5], v4
	v_xor_b32_e32 v6, 0x7fffffff, v6
	s_waitcnt lgkmcnt(0)
	v_lshlrev_b64 v[4:5], 2, v[4:5]
	v_add_co_u32_e64 v4, s[24:25], s38, v4
	v_addc_co_u32_e64 v5, s[24:25], v7, v5, s[24:25]
	v_add_co_u32_e64 v4, s[24:25], v4, v10
	v_addc_co_u32_e64 v5, s[24:25], 0, v5, s[24:25]
	global_store_dword v[4:5], v6, off
.LBB87_55:
	s_or_b64 exec, exec, s[28:29]
	v_add_u32_e32 v32, 0xa00, v8
	v_cmp_gt_u32_e64 s[24:25], s50, v32
	s_and_saveexec_b64 s[50:51], s[24:25]
	s_cbranch_execz .LBB87_57
; %bb.56:
	ds_read_b32 v6, v23 offset:12288
	v_mov_b32_e32 v7, s39
	v_lshlrev_b32_e32 v10, 2, v32
	s_waitcnt lgkmcnt(0)
	v_lshrrev_b32_e32 v4, s48, v6
	v_and_b32_e32 v4, s33, v4
	v_lshlrev_b32_e32 v4, 3, v4
	ds_read_b64 v[4:5], v4
	v_xor_b32_e32 v6, 0x7fffffff, v6
	s_waitcnt lgkmcnt(0)
	v_lshlrev_b64 v[4:5], 2, v[4:5]
	v_add_co_u32_e64 v4, s[28:29], s38, v4
	v_addc_co_u32_e64 v5, s[28:29], v7, v5, s[28:29]
	v_add_co_u32_e64 v4, s[28:29], v4, v10
	v_addc_co_u32_e64 v5, s[28:29], 0, v5, s[28:29]
	global_store_dword v[4:5], v6, off
.LBB87_57:
	s_or_b64 exec, exec, s[50:51]
	s_lshl_b64 s[28:29], s[30:31], 3
	s_add_u32 s28, s40, s28
	s_addc_u32 s29, s41, s29
	v_lshlrev_b32_e32 v4, 3, v14
	v_mov_b32_e32 v5, s29
	v_add_co_u32_e64 v4, s[28:29], s28, v4
	v_addc_co_u32_e64 v5, s[28:29], 0, v5, s[28:29]
	v_lshlrev_b32_e32 v6, 3, v9
	v_add_co_u32_e64 v18, s[28:29], v4, v6
	v_addc_co_u32_e64 v19, s[28:29], 0, v5, s[28:29]
                                        ; implicit-def: $vgpr4_vgpr5
	s_and_saveexec_b64 s[28:29], vcc
	s_xor_b64 s[28:29], exec, s[28:29]
	s_cbranch_execnz .LBB87_127
; %bb.58:
	s_or_b64 exec, exec, s[28:29]
                                        ; implicit-def: $vgpr6_vgpr7
	s_and_saveexec_b64 s[28:29], s[0:1]
	s_cbranch_execnz .LBB87_128
.LBB87_59:
	s_or_b64 exec, exec, s[28:29]
                                        ; implicit-def: $vgpr10_vgpr11
	s_and_saveexec_b64 s[0:1], s[2:3]
	s_cbranch_execnz .LBB87_129
.LBB87_60:
	s_or_b64 exec, exec, s[0:1]
                                        ; implicit-def: $vgpr12_vgpr13
	s_and_saveexec_b64 s[0:1], s[26:27]
	s_cbranch_execnz .LBB87_130
.LBB87_61:
	s_or_b64 exec, exec, s[0:1]
                                        ; implicit-def: $vgpr14_vgpr15
	s_and_saveexec_b64 s[0:1], s[8:9]
	s_cbranch_execnz .LBB87_131
.LBB87_62:
	s_or_b64 exec, exec, s[0:1]
                                        ; implicit-def: $vgpr16_vgpr17
	s_and_saveexec_b64 s[0:1], s[10:11]
	s_cbranch_execz .LBB87_64
.LBB87_63:
	global_load_dwordx2 v[16:17], v[18:19], off offset:2560
.LBB87_64:
	s_or_b64 exec, exec, s[0:1]
	v_mov_b32_e32 v33, 0
	v_mov_b32_e32 v35, 0
	s_and_saveexec_b64 s[0:1], s[14:15]
	s_cbranch_execz .LBB87_66
; %bb.65:
	ds_read_b32 v9, v23 offset:2048
	s_waitcnt lgkmcnt(0)
	v_lshrrev_b32_e32 v9, s48, v9
	v_and_b32_e32 v35, s33, v9
.LBB87_66:
	s_or_b64 exec, exec, s[0:1]
	s_and_saveexec_b64 s[0:1], s[16:17]
	s_cbranch_execz .LBB87_68
; %bb.67:
	ds_read_b32 v9, v23 offset:4096
	s_waitcnt lgkmcnt(0)
	v_lshrrev_b32_e32 v9, s48, v9
	v_and_b32_e32 v33, s33, v9
.LBB87_68:
	s_or_b64 exec, exec, s[0:1]
	v_mov_b32_e32 v18, 0
	v_mov_b32_e32 v34, 0
	s_and_saveexec_b64 s[0:1], s[18:19]
	s_cbranch_execz .LBB87_70
; %bb.69:
	ds_read_b32 v9, v23 offset:6144
	s_waitcnt lgkmcnt(0)
	v_lshrrev_b32_e32 v9, s48, v9
	v_and_b32_e32 v34, s33, v9
.LBB87_70:
	s_or_b64 exec, exec, s[0:1]
	s_and_saveexec_b64 s[0:1], s[20:21]
	s_cbranch_execz .LBB87_72
; %bb.71:
	ds_read_b32 v9, v23 offset:8192
	s_waitcnt lgkmcnt(0)
	v_lshrrev_b32_e32 v9, s48, v9
	v_and_b32_e32 v18, s33, v9
.LBB87_72:
	;; [unrolled: 20-line block ×3, first 2 shown]
	s_or_b64 exec, exec, s[0:1]
	v_lshlrev_b32_e32 v23, 3, v28
	s_barrier
	s_waitcnt vmcnt(0)
	ds_write_b64 v23, v[4:5] offset:2048
	v_lshlrev_b32_e32 v4, 3, v27
	ds_write_b64 v4, v[6:7] offset:2048
	v_lshlrev_b32_e32 v4, 3, v26
	;; [unrolled: 2-line block ×6, first 2 shown]
	s_waitcnt lgkmcnt(0)
	s_barrier
	s_and_saveexec_b64 s[0:1], s[14:15]
	s_cbranch_execnz .LBB87_132
; %bb.77:
	s_or_b64 exec, exec, s[0:1]
	s_and_saveexec_b64 s[0:1], s[16:17]
	s_cbranch_execnz .LBB87_133
.LBB87_78:
	s_or_b64 exec, exec, s[0:1]
	s_and_saveexec_b64 s[0:1], s[18:19]
	s_cbranch_execnz .LBB87_134
.LBB87_79:
	s_or_b64 exec, exec, s[0:1]
	s_and_saveexec_b64 s[0:1], s[20:21]
	s_cbranch_execnz .LBB87_135
.LBB87_80:
	s_or_b64 exec, exec, s[0:1]
	s_and_saveexec_b64 s[0:1], s[22:23]
	s_cbranch_execnz .LBB87_136
.LBB87_81:
	s_or_b64 exec, exec, s[0:1]
	s_and_saveexec_b64 s[0:1], s[24:25]
	s_cbranch_execz .LBB87_83
.LBB87_82:
	v_lshlrev_b32_e32 v5, 3, v9
	ds_read_b64 v[6:7], v5
	ds_read_b64 v[4:5], v4 offset:22528
	v_mov_b32_e32 v9, s43
	s_waitcnt lgkmcnt(1)
	v_lshlrev_b64 v[6:7], 3, v[6:7]
	v_add_co_u32_e32 v6, vcc, s42, v6
	v_addc_co_u32_e32 v7, vcc, v9, v7, vcc
	v_lshlrev_b32_e32 v9, 3, v32
	v_add_co_u32_e32 v6, vcc, v6, v9
	v_addc_co_u32_e32 v7, vcc, 0, v7, vcc
	s_waitcnt lgkmcnt(0)
	global_store_dwordx2 v[6:7], v[4:5], off
.LBB87_83:
	s_or_b64 exec, exec, s[0:1]
	s_add_i32 s7, s7, -1
	s_cmp_eq_u32 s6, s7
	s_cselect_b64 s[0:1], -1, 0
	s_and_b64 s[2:3], s[12:13], s[0:1]
	s_mov_b64 s[0:1], 0
	s_mov_b64 s[8:9], 0
                                        ; implicit-def: $vgpr4_vgpr5
	s_and_saveexec_b64 s[10:11], s[2:3]
	s_xor_b64 s[2:3], exec, s[10:11]
; %bb.84:
	v_add_co_u32_e32 v4, vcc, v2, v20
	s_mov_b64 s[8:9], exec
	v_mov_b32_e32 v9, 0
	v_addc_co_u32_e32 v5, vcc, 0, v3, vcc
; %bb.85:
	s_or_b64 exec, exec, s[2:3]
	s_and_b64 vcc, exec, s[0:1]
	s_cbranch_vccnz .LBB87_87
	s_branch .LBB87_124
.LBB87_86:
	s_mov_b64 s[8:9], 0
                                        ; implicit-def: $vgpr4_vgpr5
                                        ; implicit-def: $vgpr8_vgpr9
	s_cbranch_execz .LBB87_124
.LBB87_87:
	s_mov_b32 s31, 0
	s_lshl_b64 s[0:1], s[30:31], 2
	v_mbcnt_hi_u32_b32 v11, -1, v1
	s_add_u32 s0, s36, s0
	v_lshlrev_b32_e32 v1, 2, v11
	v_add_co_u32_e32 v1, vcc, s0, v1
	s_load_dword s7, s[4:5], 0x50
	s_load_dword s0, s[4:5], 0x5c
	v_and_b32_e32 v8, 0x3ff, v0
	s_addc_u32 s1, s37, s1
	v_and_b32_e32 v6, 0x1c0, v8
	v_mul_u32_u24_e32 v10, 6, v6
	v_mov_b32_e32 v3, s1
	v_addc_co_u32_e32 v3, vcc, 0, v3, vcc
	v_lshlrev_b32_e32 v4, 2, v10
	s_add_u32 s1, s4, 0x50
	v_add_co_u32_e32 v14, vcc, v1, v4
	s_addc_u32 s2, s5, 0
	s_waitcnt lgkmcnt(0)
	s_lshr_b32 s3, s0, 16
	v_addc_co_u32_e32 v15, vcc, 0, v3, vcc
	s_cmp_lt_u32 s6, s7
	global_load_dword v1, v[14:15], off
	s_cselect_b32 s0, 12, 18
	s_add_u32 s0, s1, s0
	v_mov_b32_e32 v2, 0
	s_addc_u32 s1, s2, 0
	global_load_ushort v3, v2, s[0:1]
	v_mul_u32_u24_e32 v5, 5, v8
	v_lshlrev_b32_e32 v5, 2, v5
	ds_write2_b32 v5, v2, v2 offset0:8 offset1:9
	ds_write2_b32 v5, v2, v2 offset0:10 offset1:11
	ds_write_b32 v5, v2 offset:48
	global_load_dword v12, v[14:15], off offset:256
	global_load_dword v16, v[14:15], off offset:512
	;; [unrolled: 1-line block ×5, first 2 shown]
	v_bfe_u32 v4, v0, 10, 10
	v_bfe_u32 v0, v0, 20, 10
	v_mad_u32_u24 v0, v0, s3, v4
	s_lshl_b32 s0, -1, s49
	s_not_b32 s14, s0
	s_waitcnt lgkmcnt(0)
	s_barrier
	s_waitcnt lgkmcnt(0)
	; wave barrier
	s_waitcnt vmcnt(6)
	v_xor_b32_e32 v4, 0x7fffffff, v1
	v_lshrrev_b32_e32 v1, s48, v4
	v_and_b32_e32 v9, s14, v1
	v_and_b32_e32 v7, 1, v9
	s_waitcnt vmcnt(5)
	v_mad_u64_u32 v[0:1], s[0:1], v0, v3, v[8:9]
	v_lshrrev_b32_e32 v19, 6, v0
	v_add_co_u32_e32 v0, vcc, -1, v7
	v_lshlrev_b32_e32 v3, 30, v9
	v_addc_co_u32_e64 v13, s[0:1], 0, -1, vcc
	v_lshl_add_u32 v1, v9, 3, v9
	v_cmp_ne_u32_e32 vcc, 0, v7
	v_cmp_gt_i64_e64 s[0:1], 0, v[2:3]
	v_not_b32_e32 v14, v3
	v_lshlrev_b32_e32 v3, 29, v9
	v_add_lshl_u32 v7, v19, v1, 2
	v_xor_b32_e32 v1, vcc_hi, v13
	v_xor_b32_e32 v0, vcc_lo, v0
	v_ashrrev_i32_e32 v13, 31, v14
	v_cmp_gt_i64_e32 vcc, 0, v[2:3]
	v_not_b32_e32 v14, v3
	v_lshlrev_b32_e32 v3, 28, v9
	v_and_b32_e32 v1, exec_hi, v1
	v_and_b32_e32 v0, exec_lo, v0
	v_xor_b32_e32 v15, s1, v13
	v_xor_b32_e32 v13, s0, v13
	v_ashrrev_i32_e32 v14, 31, v14
	v_cmp_gt_i64_e64 s[0:1], 0, v[2:3]
	v_not_b32_e32 v17, v3
	v_lshlrev_b32_e32 v3, 27, v9
	v_and_b32_e32 v1, v1, v15
	v_and_b32_e32 v0, v0, v13
	v_xor_b32_e32 v13, vcc_hi, v14
	v_xor_b32_e32 v14, vcc_lo, v14
	v_ashrrev_i32_e32 v15, 31, v17
	v_cmp_gt_i64_e32 vcc, 0, v[2:3]
	v_not_b32_e32 v3, v3
	v_and_b32_e32 v1, v1, v13
	v_and_b32_e32 v0, v0, v14
	v_xor_b32_e32 v13, s1, v15
	v_xor_b32_e32 v14, s0, v15
	v_ashrrev_i32_e32 v3, 31, v3
	v_and_b32_e32 v1, v1, v13
	v_and_b32_e32 v0, v0, v14
	v_xor_b32_e32 v13, vcc_hi, v3
	v_xor_b32_e32 v3, vcc_lo, v3
	v_and_b32_e32 v0, v0, v3
	v_lshlrev_b32_e32 v3, 26, v9
	v_cmp_gt_i64_e32 vcc, 0, v[2:3]
	v_not_b32_e32 v3, v3
	v_ashrrev_i32_e32 v3, 31, v3
	v_and_b32_e32 v1, v1, v13
	v_xor_b32_e32 v13, vcc_hi, v3
	v_xor_b32_e32 v3, vcc_lo, v3
	v_and_b32_e32 v0, v0, v3
	v_lshlrev_b32_e32 v3, 25, v9
	v_cmp_gt_i64_e32 vcc, 0, v[2:3]
	v_not_b32_e32 v3, v3
	v_ashrrev_i32_e32 v3, 31, v3
	v_and_b32_e32 v1, v1, v13
	v_xor_b32_e32 v13, vcc_hi, v3
	v_xor_b32_e32 v3, vcc_lo, v3
	v_and_b32_e32 v0, v0, v3
	v_lshlrev_b32_e32 v3, 24, v9
	v_cmp_gt_i64_e32 vcc, 0, v[2:3]
	v_not_b32_e32 v3, v3
	v_ashrrev_i32_e32 v3, 31, v3
	v_xor_b32_e32 v9, vcc_hi, v3
	v_xor_b32_e32 v3, vcc_lo, v3
	v_and_b32_e32 v1, v1, v13
	v_and_b32_e32 v0, v0, v3
	;; [unrolled: 1-line block ×3, first 2 shown]
	v_mbcnt_lo_u32_b32 v3, v0, 0
	v_mbcnt_hi_u32_b32 v9, v1, v3
	v_cmp_eq_u32_e32 vcc, 0, v9
	v_cmp_ne_u64_e64 s[0:1], 0, v[0:1]
	s_and_b64 s[2:3], s[0:1], vcc
	s_and_saveexec_b64 s[0:1], s[2:3]
	s_cbranch_execz .LBB87_89
; %bb.88:
	v_bcnt_u32_b32 v0, v0, 0
	v_bcnt_u32_b32 v0, v1, v0
	ds_write_b32 v7, v0 offset:32
.LBB87_89:
	s_or_b64 exec, exec, s[0:1]
	s_waitcnt vmcnt(4)
	v_xor_b32_e32 v12, 0x7fffffff, v12
	v_lshrrev_b32_e32 v0, s48, v12
	v_and_b32_e32 v0, s14, v0
	v_lshl_add_u32 v1, v0, 3, v0
	v_add_lshl_u32 v14, v19, v1, 2
	v_and_b32_e32 v1, 1, v0
	v_add_co_u32_e32 v3, vcc, -1, v1
	v_addc_co_u32_e64 v15, s[0:1], 0, -1, vcc
	v_cmp_ne_u32_e32 vcc, 0, v1
	v_xor_b32_e32 v3, vcc_lo, v3
	v_xor_b32_e32 v1, vcc_hi, v15
	v_and_b32_e32 v15, exec_lo, v3
	v_lshlrev_b32_e32 v3, 30, v0
	v_cmp_gt_i64_e32 vcc, 0, v[2:3]
	v_not_b32_e32 v3, v3
	v_ashrrev_i32_e32 v3, 31, v3
	v_xor_b32_e32 v17, vcc_hi, v3
	v_xor_b32_e32 v3, vcc_lo, v3
	v_and_b32_e32 v15, v15, v3
	v_lshlrev_b32_e32 v3, 29, v0
	v_cmp_gt_i64_e32 vcc, 0, v[2:3]
	v_not_b32_e32 v3, v3
	v_and_b32_e32 v1, exec_hi, v1
	v_ashrrev_i32_e32 v3, 31, v3
	v_and_b32_e32 v1, v1, v17
	v_xor_b32_e32 v17, vcc_hi, v3
	v_xor_b32_e32 v3, vcc_lo, v3
	v_and_b32_e32 v15, v15, v3
	v_lshlrev_b32_e32 v3, 28, v0
	v_cmp_gt_i64_e32 vcc, 0, v[2:3]
	v_not_b32_e32 v3, v3
	v_ashrrev_i32_e32 v3, 31, v3
	v_and_b32_e32 v1, v1, v17
	v_xor_b32_e32 v17, vcc_hi, v3
	v_xor_b32_e32 v3, vcc_lo, v3
	v_and_b32_e32 v15, v15, v3
	v_lshlrev_b32_e32 v3, 27, v0
	v_cmp_gt_i64_e32 vcc, 0, v[2:3]
	v_not_b32_e32 v3, v3
	v_ashrrev_i32_e32 v3, 31, v3
	v_and_b32_e32 v1, v1, v17
	v_xor_b32_e32 v17, vcc_hi, v3
	v_xor_b32_e32 v3, vcc_lo, v3
	v_and_b32_e32 v15, v15, v3
	v_lshlrev_b32_e32 v3, 26, v0
	v_cmp_gt_i64_e32 vcc, 0, v[2:3]
	v_not_b32_e32 v3, v3
	v_ashrrev_i32_e32 v3, 31, v3
	v_and_b32_e32 v1, v1, v17
	v_xor_b32_e32 v17, vcc_hi, v3
	v_xor_b32_e32 v3, vcc_lo, v3
	v_and_b32_e32 v15, v15, v3
	v_lshlrev_b32_e32 v3, 25, v0
	v_cmp_gt_i64_e32 vcc, 0, v[2:3]
	v_not_b32_e32 v3, v3
	v_ashrrev_i32_e32 v3, 31, v3
	v_and_b32_e32 v1, v1, v17
	v_xor_b32_e32 v17, vcc_hi, v3
	v_xor_b32_e32 v3, vcc_lo, v3
	v_and_b32_e32 v15, v15, v3
	v_lshlrev_b32_e32 v3, 24, v0
	v_not_b32_e32 v0, v3
	v_cmp_gt_i64_e32 vcc, 0, v[2:3]
	v_ashrrev_i32_e32 v0, 31, v0
	v_xor_b32_e32 v2, vcc_hi, v0
	v_xor_b32_e32 v0, vcc_lo, v0
	; wave barrier
	ds_read_b32 v13, v14 offset:32
	v_and_b32_e32 v1, v1, v17
	v_and_b32_e32 v0, v15, v0
	;; [unrolled: 1-line block ×3, first 2 shown]
	v_mbcnt_lo_u32_b32 v2, v0, 0
	v_mbcnt_hi_u32_b32 v15, v1, v2
	v_cmp_eq_u32_e32 vcc, 0, v15
	v_cmp_ne_u64_e64 s[0:1], 0, v[0:1]
	s_and_b64 s[2:3], s[0:1], vcc
	; wave barrier
	s_and_saveexec_b64 s[0:1], s[2:3]
	s_cbranch_execz .LBB87_91
; %bb.90:
	v_bcnt_u32_b32 v0, v0, 0
	v_bcnt_u32_b32 v0, v1, v0
	s_waitcnt lgkmcnt(0)
	v_add_u32_e32 v0, v13, v0
	ds_write_b32 v14, v0 offset:32
.LBB87_91:
	s_or_b64 exec, exec, s[0:1]
	s_waitcnt vmcnt(3)
	v_xor_b32_e32 v16, 0x7fffffff, v16
	v_lshrrev_b32_e32 v0, s48, v16
	v_and_b32_e32 v2, s14, v0
	v_and_b32_e32 v1, 1, v2
	v_add_co_u32_e32 v3, vcc, -1, v1
	v_addc_co_u32_e64 v21, s[0:1], 0, -1, vcc
	v_cmp_ne_u32_e32 vcc, 0, v1
	v_lshl_add_u32 v0, v2, 3, v2
	v_xor_b32_e32 v1, vcc_hi, v21
	v_add_lshl_u32 v20, v19, v0, 2
	v_mov_b32_e32 v0, 0
	v_and_b32_e32 v21, exec_hi, v1
	v_lshlrev_b32_e32 v1, 30, v2
	v_xor_b32_e32 v3, vcc_lo, v3
	v_cmp_gt_i64_e32 vcc, 0, v[0:1]
	v_not_b32_e32 v1, v1
	v_ashrrev_i32_e32 v1, 31, v1
	v_and_b32_e32 v3, exec_lo, v3
	v_xor_b32_e32 v23, vcc_hi, v1
	v_xor_b32_e32 v1, vcc_lo, v1
	v_and_b32_e32 v3, v3, v1
	v_lshlrev_b32_e32 v1, 29, v2
	v_cmp_gt_i64_e32 vcc, 0, v[0:1]
	v_not_b32_e32 v1, v1
	v_ashrrev_i32_e32 v1, 31, v1
	v_and_b32_e32 v21, v21, v23
	v_xor_b32_e32 v23, vcc_hi, v1
	v_xor_b32_e32 v1, vcc_lo, v1
	v_and_b32_e32 v3, v3, v1
	v_lshlrev_b32_e32 v1, 28, v2
	v_cmp_gt_i64_e32 vcc, 0, v[0:1]
	v_not_b32_e32 v1, v1
	v_ashrrev_i32_e32 v1, 31, v1
	v_and_b32_e32 v21, v21, v23
	;; [unrolled: 8-line block ×5, first 2 shown]
	v_xor_b32_e32 v23, vcc_hi, v1
	v_xor_b32_e32 v1, vcc_lo, v1
	v_and_b32_e32 v21, v21, v23
	v_and_b32_e32 v23, v3, v1
	v_lshlrev_b32_e32 v1, 24, v2
	v_cmp_gt_i64_e32 vcc, 0, v[0:1]
	v_not_b32_e32 v1, v1
	v_ashrrev_i32_e32 v1, 31, v1
	v_xor_b32_e32 v2, vcc_hi, v1
	v_xor_b32_e32 v1, vcc_lo, v1
	; wave barrier
	ds_read_b32 v17, v20 offset:32
	v_and_b32_e32 v3, v21, v2
	v_and_b32_e32 v2, v23, v1
	v_mbcnt_lo_u32_b32 v1, v2, 0
	v_mbcnt_hi_u32_b32 v21, v3, v1
	v_cmp_eq_u32_e32 vcc, 0, v21
	v_cmp_ne_u64_e64 s[0:1], 0, v[2:3]
	s_and_b64 s[2:3], s[0:1], vcc
	; wave barrier
	s_and_saveexec_b64 s[0:1], s[2:3]
	s_cbranch_execz .LBB87_93
; %bb.92:
	v_bcnt_u32_b32 v1, v2, 0
	v_bcnt_u32_b32 v1, v3, v1
	s_waitcnt lgkmcnt(0)
	v_add_u32_e32 v1, v17, v1
	ds_write_b32 v20, v1 offset:32
.LBB87_93:
	s_or_b64 exec, exec, s[0:1]
	s_waitcnt vmcnt(2)
	v_xor_b32_e32 v22, 0x7fffffff, v22
	v_lshrrev_b32_e32 v1, s48, v22
	v_and_b32_e32 v2, s14, v1
	v_lshl_add_u32 v1, v2, 3, v2
	v_add_lshl_u32 v25, v19, v1, 2
	v_and_b32_e32 v1, 1, v2
	v_add_co_u32_e32 v3, vcc, -1, v1
	v_addc_co_u32_e64 v26, s[0:1], 0, -1, vcc
	v_cmp_ne_u32_e32 vcc, 0, v1
	v_xor_b32_e32 v1, vcc_hi, v26
	v_and_b32_e32 v26, exec_hi, v1
	v_lshlrev_b32_e32 v1, 30, v2
	v_xor_b32_e32 v3, vcc_lo, v3
	v_cmp_gt_i64_e32 vcc, 0, v[0:1]
	v_not_b32_e32 v1, v1
	v_ashrrev_i32_e32 v1, 31, v1
	v_and_b32_e32 v3, exec_lo, v3
	v_xor_b32_e32 v27, vcc_hi, v1
	v_xor_b32_e32 v1, vcc_lo, v1
	v_and_b32_e32 v3, v3, v1
	v_lshlrev_b32_e32 v1, 29, v2
	v_cmp_gt_i64_e32 vcc, 0, v[0:1]
	v_not_b32_e32 v1, v1
	v_ashrrev_i32_e32 v1, 31, v1
	v_and_b32_e32 v26, v26, v27
	v_xor_b32_e32 v27, vcc_hi, v1
	v_xor_b32_e32 v1, vcc_lo, v1
	v_and_b32_e32 v3, v3, v1
	v_lshlrev_b32_e32 v1, 28, v2
	v_cmp_gt_i64_e32 vcc, 0, v[0:1]
	v_not_b32_e32 v1, v1
	v_ashrrev_i32_e32 v1, 31, v1
	v_and_b32_e32 v26, v26, v27
	;; [unrolled: 8-line block ×5, first 2 shown]
	v_xor_b32_e32 v27, vcc_hi, v1
	v_xor_b32_e32 v1, vcc_lo, v1
	v_and_b32_e32 v3, v3, v1
	v_lshlrev_b32_e32 v1, 24, v2
	v_cmp_gt_i64_e32 vcc, 0, v[0:1]
	v_not_b32_e32 v0, v1
	v_ashrrev_i32_e32 v0, 31, v0
	v_xor_b32_e32 v1, vcc_hi, v0
	v_xor_b32_e32 v0, vcc_lo, v0
	; wave barrier
	ds_read_b32 v23, v25 offset:32
	v_and_b32_e32 v26, v26, v27
	v_and_b32_e32 v0, v3, v0
	;; [unrolled: 1-line block ×3, first 2 shown]
	v_mbcnt_lo_u32_b32 v2, v0, 0
	v_mbcnt_hi_u32_b32 v26, v1, v2
	v_cmp_eq_u32_e32 vcc, 0, v26
	v_cmp_ne_u64_e64 s[0:1], 0, v[0:1]
	s_and_b64 s[2:3], s[0:1], vcc
	; wave barrier
	s_and_saveexec_b64 s[0:1], s[2:3]
	s_cbranch_execz .LBB87_95
; %bb.94:
	v_bcnt_u32_b32 v0, v0, 0
	v_bcnt_u32_b32 v0, v1, v0
	s_waitcnt lgkmcnt(0)
	v_add_u32_e32 v0, v23, v0
	ds_write_b32 v25, v0 offset:32
.LBB87_95:
	s_or_b64 exec, exec, s[0:1]
	s_waitcnt vmcnt(1)
	v_xor_b32_e32 v24, 0x7fffffff, v24
	v_lshrrev_b32_e32 v0, s48, v24
	v_and_b32_e32 v2, s14, v0
	v_and_b32_e32 v1, 1, v2
	v_add_co_u32_e32 v3, vcc, -1, v1
	v_addc_co_u32_e64 v29, s[0:1], 0, -1, vcc
	v_cmp_ne_u32_e32 vcc, 0, v1
	v_lshl_add_u32 v0, v2, 3, v2
	v_xor_b32_e32 v1, vcc_hi, v29
	v_add_lshl_u32 v28, v19, v0, 2
	v_mov_b32_e32 v0, 0
	v_and_b32_e32 v29, exec_hi, v1
	v_lshlrev_b32_e32 v1, 30, v2
	v_xor_b32_e32 v3, vcc_lo, v3
	v_cmp_gt_i64_e32 vcc, 0, v[0:1]
	v_not_b32_e32 v1, v1
	v_ashrrev_i32_e32 v1, 31, v1
	v_and_b32_e32 v3, exec_lo, v3
	v_xor_b32_e32 v30, vcc_hi, v1
	v_xor_b32_e32 v1, vcc_lo, v1
	v_and_b32_e32 v3, v3, v1
	v_lshlrev_b32_e32 v1, 29, v2
	v_cmp_gt_i64_e32 vcc, 0, v[0:1]
	v_not_b32_e32 v1, v1
	v_ashrrev_i32_e32 v1, 31, v1
	v_and_b32_e32 v29, v29, v30
	v_xor_b32_e32 v30, vcc_hi, v1
	v_xor_b32_e32 v1, vcc_lo, v1
	v_and_b32_e32 v3, v3, v1
	v_lshlrev_b32_e32 v1, 28, v2
	v_cmp_gt_i64_e32 vcc, 0, v[0:1]
	v_not_b32_e32 v1, v1
	v_ashrrev_i32_e32 v1, 31, v1
	v_and_b32_e32 v29, v29, v30
	;; [unrolled: 8-line block ×5, first 2 shown]
	v_xor_b32_e32 v30, vcc_hi, v1
	v_xor_b32_e32 v1, vcc_lo, v1
	v_and_b32_e32 v29, v29, v30
	v_and_b32_e32 v30, v3, v1
	v_lshlrev_b32_e32 v1, 24, v2
	v_cmp_gt_i64_e32 vcc, 0, v[0:1]
	v_not_b32_e32 v1, v1
	v_ashrrev_i32_e32 v1, 31, v1
	v_xor_b32_e32 v2, vcc_hi, v1
	v_xor_b32_e32 v1, vcc_lo, v1
	; wave barrier
	ds_read_b32 v27, v28 offset:32
	v_and_b32_e32 v3, v29, v2
	v_and_b32_e32 v2, v30, v1
	v_mbcnt_lo_u32_b32 v1, v2, 0
	v_mbcnt_hi_u32_b32 v29, v3, v1
	v_cmp_eq_u32_e32 vcc, 0, v29
	v_cmp_ne_u64_e64 s[0:1], 0, v[2:3]
	s_and_b64 s[2:3], s[0:1], vcc
	; wave barrier
	s_and_saveexec_b64 s[0:1], s[2:3]
	s_cbranch_execz .LBB87_97
; %bb.96:
	v_bcnt_u32_b32 v1, v2, 0
	v_bcnt_u32_b32 v1, v3, v1
	s_waitcnt lgkmcnt(0)
	v_add_u32_e32 v1, v27, v1
	ds_write_b32 v28, v1 offset:32
.LBB87_97:
	s_or_b64 exec, exec, s[0:1]
	s_waitcnt vmcnt(0)
	v_xor_b32_e32 v30, 0x7fffffff, v18
	v_lshrrev_b32_e32 v1, s48, v30
	v_and_b32_e32 v2, s14, v1
	v_lshl_add_u32 v1, v2, 3, v2
	v_add_lshl_u32 v19, v19, v1, 2
	v_and_b32_e32 v1, 1, v2
	v_add_co_u32_e32 v3, vcc, -1, v1
	v_addc_co_u32_e64 v18, s[0:1], 0, -1, vcc
	v_cmp_ne_u32_e32 vcc, 0, v1
	v_xor_b32_e32 v1, vcc_hi, v18
	v_and_b32_e32 v18, exec_hi, v1
	v_lshlrev_b32_e32 v1, 30, v2
	v_xor_b32_e32 v3, vcc_lo, v3
	v_cmp_gt_i64_e32 vcc, 0, v[0:1]
	v_not_b32_e32 v1, v1
	v_ashrrev_i32_e32 v1, 31, v1
	v_and_b32_e32 v3, exec_lo, v3
	v_xor_b32_e32 v33, vcc_hi, v1
	v_xor_b32_e32 v1, vcc_lo, v1
	v_and_b32_e32 v3, v3, v1
	v_lshlrev_b32_e32 v1, 29, v2
	v_cmp_gt_i64_e32 vcc, 0, v[0:1]
	v_not_b32_e32 v1, v1
	v_ashrrev_i32_e32 v1, 31, v1
	v_and_b32_e32 v18, v18, v33
	v_xor_b32_e32 v33, vcc_hi, v1
	v_xor_b32_e32 v1, vcc_lo, v1
	v_and_b32_e32 v3, v3, v1
	v_lshlrev_b32_e32 v1, 28, v2
	v_cmp_gt_i64_e32 vcc, 0, v[0:1]
	v_not_b32_e32 v1, v1
	v_ashrrev_i32_e32 v1, 31, v1
	v_and_b32_e32 v18, v18, v33
	;; [unrolled: 8-line block ×5, first 2 shown]
	v_xor_b32_e32 v33, vcc_hi, v1
	v_xor_b32_e32 v1, vcc_lo, v1
	v_and_b32_e32 v3, v3, v1
	v_lshlrev_b32_e32 v1, 24, v2
	v_cmp_gt_i64_e32 vcc, 0, v[0:1]
	v_not_b32_e32 v0, v1
	v_ashrrev_i32_e32 v0, 31, v0
	v_xor_b32_e32 v1, vcc_hi, v0
	v_xor_b32_e32 v0, vcc_lo, v0
	; wave barrier
	ds_read_b32 v31, v19 offset:32
	v_and_b32_e32 v18, v18, v33
	v_and_b32_e32 v0, v3, v0
	;; [unrolled: 1-line block ×3, first 2 shown]
	v_mbcnt_lo_u32_b32 v2, v0, 0
	v_mbcnt_hi_u32_b32 v33, v1, v2
	v_cmp_eq_u32_e32 vcc, 0, v33
	v_cmp_ne_u64_e64 s[0:1], 0, v[0:1]
	v_add_u32_e32 v32, 32, v5
	s_and_b64 s[2:3], s[0:1], vcc
	; wave barrier
	s_and_saveexec_b64 s[0:1], s[2:3]
	s_cbranch_execz .LBB87_99
; %bb.98:
	v_bcnt_u32_b32 v0, v0, 0
	v_bcnt_u32_b32 v0, v1, v0
	s_waitcnt lgkmcnt(0)
	v_add_u32_e32 v0, v31, v0
	ds_write_b32 v19, v0 offset:32
.LBB87_99:
	s_or_b64 exec, exec, s[0:1]
	; wave barrier
	s_waitcnt lgkmcnt(0)
	s_barrier
	ds_read2_b32 v[2:3], v5 offset0:8 offset1:9
	ds_read2_b32 v[0:1], v32 offset0:2 offset1:3
	ds_read_b32 v18, v32 offset:16
	v_min_u32_e32 v6, 0x1c0, v6
	v_or_b32_e32 v6, 63, v6
	s_waitcnt lgkmcnt(1)
	v_add3_u32 v34, v3, v2, v0
	s_waitcnt lgkmcnt(0)
	v_add3_u32 v18, v34, v1, v18
	v_and_b32_e32 v34, 15, v11
	v_cmp_ne_u32_e32 vcc, 0, v34
	v_mov_b32_dpp v35, v18 row_shr:1 row_mask:0xf bank_mask:0xf
	v_cndmask_b32_e32 v35, 0, v35, vcc
	v_add_u32_e32 v18, v35, v18
	v_cmp_lt_u32_e32 vcc, 1, v34
	s_nop 0
	v_mov_b32_dpp v35, v18 row_shr:2 row_mask:0xf bank_mask:0xf
	v_cndmask_b32_e32 v35, 0, v35, vcc
	v_add_u32_e32 v18, v18, v35
	v_cmp_lt_u32_e32 vcc, 3, v34
	s_nop 0
	;; [unrolled: 5-line block ×3, first 2 shown]
	v_mov_b32_dpp v35, v18 row_shr:8 row_mask:0xf bank_mask:0xf
	v_cndmask_b32_e32 v34, 0, v35, vcc
	v_add_u32_e32 v18, v18, v34
	v_bfe_i32 v35, v11, 4, 1
	v_cmp_lt_u32_e32 vcc, 31, v11
	v_mov_b32_dpp v34, v18 row_bcast:15 row_mask:0xf bank_mask:0xf
	v_and_b32_e32 v34, v35, v34
	v_add_u32_e32 v18, v18, v34
	v_lshrrev_b32_e32 v35, 6, v8
	s_nop 0
	v_mov_b32_dpp v34, v18 row_bcast:31 row_mask:0xf bank_mask:0xf
	v_cndmask_b32_e32 v34, 0, v34, vcc
	v_add_u32_e32 v34, v18, v34
	v_cmp_eq_u32_e32 vcc, v6, v8
	s_and_saveexec_b64 s[0:1], vcc
	s_cbranch_execz .LBB87_101
; %bb.100:
	v_lshlrev_b32_e32 v6, 2, v35
	ds_write_b32 v6, v34
.LBB87_101:
	s_or_b64 exec, exec, s[0:1]
	v_cmp_gt_u32_e32 vcc, 8, v8
	v_lshlrev_b32_e32 v18, 2, v8
	s_waitcnt lgkmcnt(0)
	s_barrier
	s_and_saveexec_b64 s[0:1], vcc
	s_cbranch_execz .LBB87_103
; %bb.102:
	ds_read_b32 v6, v18
	v_and_b32_e32 v36, 7, v11
	v_cmp_ne_u32_e32 vcc, 0, v36
	s_waitcnt lgkmcnt(0)
	v_mov_b32_dpp v37, v6 row_shr:1 row_mask:0xf bank_mask:0xf
	v_cndmask_b32_e32 v37, 0, v37, vcc
	v_add_u32_e32 v6, v37, v6
	v_cmp_lt_u32_e32 vcc, 1, v36
	s_nop 0
	v_mov_b32_dpp v37, v6 row_shr:2 row_mask:0xf bank_mask:0xf
	v_cndmask_b32_e32 v37, 0, v37, vcc
	v_add_u32_e32 v6, v6, v37
	v_cmp_lt_u32_e32 vcc, 3, v36
	s_nop 0
	v_mov_b32_dpp v37, v6 row_shr:4 row_mask:0xf bank_mask:0xf
	v_cndmask_b32_e32 v36, 0, v37, vcc
	v_add_u32_e32 v6, v6, v36
	ds_write_b32 v18, v6
.LBB87_103:
	s_or_b64 exec, exec, s[0:1]
	v_cmp_lt_u32_e32 vcc, 63, v8
	v_mov_b32_e32 v6, 0
	s_waitcnt lgkmcnt(0)
	s_barrier
	s_and_saveexec_b64 s[0:1], vcc
	s_cbranch_execz .LBB87_105
; %bb.104:
	v_lshl_add_u32 v6, v35, 2, -4
	ds_read_b32 v6, v6
.LBB87_105:
	s_or_b64 exec, exec, s[0:1]
	v_add_u32_e32 v35, -1, v11
	v_and_b32_e32 v36, 64, v11
	v_cmp_lt_i32_e32 vcc, v35, v36
	v_cndmask_b32_e32 v35, v35, v11, vcc
	s_waitcnt lgkmcnt(0)
	v_add_u32_e32 v34, v6, v34
	v_lshlrev_b32_e32 v35, 2, v35
	ds_bpermute_b32 v34, v35, v34
	v_cmp_eq_u32_e32 vcc, 0, v11
	s_movk_i32 s2, 0xff
	s_movk_i32 s3, 0x100
	v_cmp_lt_u32_e64 s[0:1], s2, v8
	s_waitcnt lgkmcnt(0)
	v_cndmask_b32_e32 v6, v34, v6, vcc
	v_cmp_ne_u32_e32 vcc, 0, v8
	v_cndmask_b32_e32 v6, 0, v6, vcc
	v_add_u32_e32 v2, v6, v2
	v_add_u32_e32 v3, v2, v3
	v_add_u32_e32 v0, v3, v0
	v_add_u32_e32 v1, v0, v1
	ds_write2_b32 v5, v6, v2 offset0:8 offset1:9
	ds_write2_b32 v32, v3, v0 offset0:2 offset1:3
	ds_write_b32 v32, v1 offset:16
	s_waitcnt lgkmcnt(0)
	s_barrier
	ds_read_b32 v2, v7 offset:32
	ds_read_b32 v3, v14 offset:32
	;; [unrolled: 1-line block ×6, first 2 shown]
	v_cmp_gt_u32_e32 vcc, s3, v8
	v_pk_mov_b32 v[0:1], 0, 0
                                        ; implicit-def: $vgpr14
	s_and_saveexec_b64 s[4:5], vcc
	s_cbranch_execz .LBB87_109
; %bb.106:
	v_mul_u32_u24_e32 v0, 9, v8
	v_lshlrev_b32_e32 v14, 2, v0
	ds_read_b32 v0, v14 offset:32
	v_cmp_ne_u32_e64 s[2:3], s2, v8
	v_mov_b32_e32 v1, 0xc00
	s_and_saveexec_b64 s[10:11], s[2:3]
	s_cbranch_execz .LBB87_108
; %bb.107:
	ds_read_b32 v1, v14 offset:68
.LBB87_108:
	s_or_b64 exec, exec, s[10:11]
	s_waitcnt lgkmcnt(0)
	v_sub_u32_e32 v14, v1, v0
	v_mov_b32_e32 v1, 0
.LBB87_109:
	s_or_b64 exec, exec, s[4:5]
	s_waitcnt lgkmcnt(5)
	v_add_u32_e32 v25, v2, v9
	s_waitcnt lgkmcnt(4)
	v_add3_u32 v20, v15, v13, v3
	v_lshlrev_b32_e32 v2, 2, v25
	s_waitcnt lgkmcnt(3)
	v_add3_u32 v19, v21, v17, v5
	s_waitcnt lgkmcnt(0)
	s_barrier
	ds_write_b32 v2, v4 offset:2048
	v_lshlrev_b32_e32 v2, 2, v20
	v_add3_u32 v17, v26, v23, v6
	ds_write_b32 v2, v12 offset:2048
	v_lshlrev_b32_e32 v2, 2, v19
	v_add3_u32 v15, v29, v27, v7
	;; [unrolled: 3-line block ×3, first 2 shown]
	ds_write_b32 v2, v22 offset:2048
	v_lshlrev_b32_e32 v2, 2, v15
	ds_write_b32 v2, v24 offset:2048
	v_lshlrev_b32_e32 v2, 2, v13
	ds_write_b32 v2, v30 offset:2048
	s_waitcnt lgkmcnt(0)
	s_barrier
	s_and_saveexec_b64 s[2:3], s[0:1]
	s_xor_b64 s[0:1], exec, s[2:3]
; %bb.110:
	v_mov_b32_e32 v9, 0
; %bb.111:
	s_andn2_saveexec_b64 s[2:3], s[0:1]
	s_cbranch_execz .LBB87_121
; %bb.112:
	v_lshl_or_b32 v2, s6, 8, v8
	v_mov_b32_e32 v3, 0
	v_lshlrev_b64 v[4:5], 2, v[2:3]
	v_mov_b32_e32 v9, s35
	v_add_co_u32_e64 v4, s[0:1], s34, v4
	v_addc_co_u32_e64 v5, s[0:1], v9, v5, s[0:1]
	v_or_b32_e32 v2, 2.0, v14
	s_mov_b64 s[4:5], 0
	s_brev_b32 s15, 1
	s_mov_b32 s16, s6
	v_mov_b32_e32 v12, 0
	global_store_dword v[4:5], v2, off
                                        ; implicit-def: $sgpr0_sgpr1
	s_branch .LBB87_115
.LBB87_113:                             ;   in Loop: Header=BB87_115 Depth=1
	s_or_b64 exec, exec, s[12:13]
.LBB87_114:                             ;   in Loop: Header=BB87_115 Depth=1
	s_or_b64 exec, exec, s[10:11]
	v_and_b32_e32 v6, 0x3fffffff, v16
	v_add_u32_e32 v12, v6, v12
	v_cmp_eq_u32_e64 s[0:1], s15, v2
	s_and_b64 s[10:11], exec, s[0:1]
	s_or_b64 s[4:5], s[10:11], s[4:5]
	s_andn2_b64 exec, exec, s[4:5]
	s_cbranch_execz .LBB87_120
.LBB87_115:                             ; =>This Loop Header: Depth=1
                                        ;     Child Loop BB87_118 Depth 2
	s_or_b64 s[0:1], s[0:1], exec
	s_cmp_eq_u32 s16, 0
	s_cbranch_scc1 .LBB87_119
; %bb.116:                              ;   in Loop: Header=BB87_115 Depth=1
	s_add_i32 s16, s16, -1
	v_lshl_or_b32 v2, s16, 8, v8
	v_lshlrev_b64 v[6:7], 2, v[2:3]
	v_add_co_u32_e64 v6, s[0:1], s34, v6
	v_addc_co_u32_e64 v7, s[0:1], v9, v7, s[0:1]
	global_load_dword v16, v[6:7], off glc
	s_waitcnt vmcnt(0)
	v_and_b32_e32 v2, -2.0, v16
	v_cmp_eq_u32_e64 s[0:1], 0, v2
	s_and_saveexec_b64 s[10:11], s[0:1]
	s_cbranch_execz .LBB87_114
; %bb.117:                              ;   in Loop: Header=BB87_115 Depth=1
	s_mov_b64 s[12:13], 0
.LBB87_118:                             ;   Parent Loop BB87_115 Depth=1
                                        ; =>  This Inner Loop Header: Depth=2
	global_load_dword v16, v[6:7], off glc
	s_waitcnt vmcnt(0)
	v_and_b32_e32 v2, -2.0, v16
	v_cmp_ne_u32_e64 s[0:1], 0, v2
	s_or_b64 s[12:13], s[0:1], s[12:13]
	s_andn2_b64 exec, exec, s[12:13]
	s_cbranch_execnz .LBB87_118
	s_branch .LBB87_113
.LBB87_119:                             ;   in Loop: Header=BB87_115 Depth=1
                                        ; implicit-def: $sgpr16
	s_and_b64 s[10:11], exec, s[0:1]
	s_or_b64 s[4:5], s[10:11], s[4:5]
	s_andn2_b64 exec, exec, s[4:5]
	s_cbranch_execnz .LBB87_115
.LBB87_120:
	s_or_b64 exec, exec, s[4:5]
	v_add_u32_e32 v2, v12, v14
	v_or_b32_e32 v2, 0x80000000, v2
	global_store_dword v[4:5], v2, off
	v_lshlrev_b32_e32 v4, 3, v8
	global_load_dwordx2 v[2:3], v4, s[44:45]
	v_sub_co_u32_e64 v5, s[0:1], v12, v0
	v_subb_co_u32_e64 v6, s[0:1], 0, v1, s[0:1]
	v_mov_b32_e32 v9, 0
	s_waitcnt vmcnt(0)
	v_add_co_u32_e64 v2, s[0:1], v5, v2
	v_addc_co_u32_e64 v3, s[0:1], v6, v3, s[0:1]
	ds_write_b64 v4, v[2:3]
.LBB87_121:
	s_or_b64 exec, exec, s[2:3]
	s_waitcnt lgkmcnt(0)
	s_barrier
	ds_read2st64_b32 v[2:3], v18 offset0:16 offset1:24
	v_lshlrev_b32_e32 v6, 2, v8
	ds_read2st64_b32 v[4:5], v18 offset0:32 offset1:40
	ds_read_b32 v12, v18 offset:12288
	ds_read_b32 v24, v6 offset:2048
	s_waitcnt lgkmcnt(3)
	v_lshrrev_b32_e32 v7, s48, v2
	v_and_b32_e32 v7, s14, v7
	v_lshlrev_b32_e32 v16, 3, v7
	s_waitcnt lgkmcnt(2)
	v_lshrrev_b32_e32 v7, s48, v4
	s_waitcnt lgkmcnt(0)
	v_lshrrev_b32_e32 v28, s48, v24
	v_and_b32_e32 v7, s14, v7
	v_and_b32_e32 v28, s14, v28
	v_lshlrev_b32_e32 v21, 3, v7
	v_lshrrev_b32_e32 v7, s48, v12
	v_lshlrev_b32_e32 v47, 3, v28
	v_lshrrev_b32_e32 v28, s48, v3
	v_and_b32_e32 v7, s14, v7
	v_and_b32_e32 v28, s14, v28
	v_lshlrev_b32_e32 v46, 3, v7
	ds_read_b64 v[6:7], v16
	ds_read_b64 v[22:23], v21
	;; [unrolled: 1-line block ×3, first 2 shown]
	v_lshlrev_b32_e32 v48, 3, v28
	ds_read_b64 v[28:29], v47
	v_mov_b32_e32 v34, s39
	v_lshlrev_b32_e32 v11, 3, v11
	v_lshlrev_b32_e32 v10, 3, v10
	v_lshrrev_b32_e32 v30, s48, v5
	s_waitcnt lgkmcnt(0)
	v_lshlrev_b64 v[28:29], 2, v[28:29]
	v_add_co_u32_e64 v35, s[0:1], s38, v28
	v_addc_co_u32_e64 v36, s[0:1], v34, v29, s[0:1]
	v_lshlrev_b64 v[28:29], 2, v[8:9]
	v_add_co_u32_e64 v34, s[0:1], v35, v28
	v_addc_co_u32_e64 v35, s[0:1], v36, v29, s[0:1]
	s_lshl_b64 s[0:1], s[30:31], 3
	s_add_u32 s0, s40, s0
	s_addc_u32 s1, s41, s1
	v_mov_b32_e32 v36, s1
	v_add_co_u32_e64 v11, s[0:1], s0, v11
	v_addc_co_u32_e64 v36, s[0:1], 0, v36, s[0:1]
	v_add_co_u32_e64 v10, s[0:1], v11, v10
	v_and_b32_e32 v30, s14, v30
	v_addc_co_u32_e64 v11, s[0:1], 0, v36, s[0:1]
	v_xor_b32_e32 v24, 0x7fffffff, v24
	v_lshlrev_b32_e32 v49, 3, v30
	ds_read_b64 v[30:31], v48
	ds_read_b64 v[32:33], v49
	global_load_dwordx2 v[36:37], v[10:11], off
	global_load_dwordx2 v[38:39], v[10:11], off offset:1024
	global_load_dwordx2 v[40:41], v[10:11], off offset:1536
	v_lshlrev_b64 v[6:7], 2, v[6:7]
	global_store_dword v[34:35], v24, off
	global_load_dwordx2 v[34:35], v[10:11], off offset:512
	s_nop 0
	global_load_dwordx2 v[42:43], v[10:11], off offset:2048
	global_load_dwordx2 v[44:45], v[10:11], off offset:2560
	v_mov_b32_e32 v24, s39
	v_add_co_u32_e64 v6, s[0:1], s38, v6
	v_addc_co_u32_e64 v7, s[0:1], v24, v7, s[0:1]
	v_add_co_u32_e64 v6, s[0:1], v6, v28
	v_xor_b32_e32 v2, 0x7fffffff, v2
	v_addc_co_u32_e64 v7, s[0:1], v7, v29, s[0:1]
	global_store_dword v[6:7], v2, off offset:2048
	v_xor_b32_e32 v6, 0x7fffffff, v3
	s_waitcnt lgkmcnt(1)
	v_lshlrev_b64 v[2:3], 2, v[30:31]
	v_or_b32_e32 v24, 0x400, v8
	v_mov_b32_e32 v7, s39
	v_add_co_u32_e64 v2, s[0:1], s38, v2
	v_addc_co_u32_e64 v3, s[0:1], v7, v3, s[0:1]
	v_lshlrev_b32_e32 v7, 2, v24
	v_add_co_u32_e64 v2, s[0:1], v2, v7
	v_addc_co_u32_e64 v3, s[0:1], 0, v3, s[0:1]
	global_store_dword v[2:3], v6, off
	v_lshlrev_b64 v[2:3], 2, v[22:23]
	v_add_u32_e32 v28, 0x600, v8
	v_mov_b32_e32 v6, s39
	v_add_co_u32_e64 v2, s[0:1], s38, v2
	v_addc_co_u32_e64 v3, s[0:1], v6, v3, s[0:1]
	v_lshlrev_b32_e32 v6, 2, v28
	v_add_co_u32_e64 v2, s[0:1], v2, v6
	v_xor_b32_e32 v4, 0x7fffffff, v4
	v_addc_co_u32_e64 v3, s[0:1], 0, v3, s[0:1]
	global_store_dword v[2:3], v4, off
	s_waitcnt lgkmcnt(0)
	v_lshlrev_b64 v[2:3], 2, v[32:33]
	v_or_b32_e32 v22, 0x800, v8
	v_xor_b32_e32 v4, 0x7fffffff, v5
	v_mov_b32_e32 v5, s39
	v_add_co_u32_e64 v2, s[0:1], s38, v2
	v_addc_co_u32_e64 v3, s[0:1], v5, v3, s[0:1]
	v_lshlrev_b32_e32 v5, 2, v22
	v_add_co_u32_e64 v2, s[0:1], v2, v5
	v_addc_co_u32_e64 v3, s[0:1], 0, v3, s[0:1]
	global_store_dword v[2:3], v4, off
	v_lshlrev_b64 v[2:3], 2, v[26:27]
	v_add_u32_e32 v23, 0xa00, v8
	v_mov_b32_e32 v5, s39
	v_add_co_u32_e64 v2, s[0:1], s38, v2
	v_addc_co_u32_e64 v3, s[0:1], v5, v3, s[0:1]
	v_lshlrev_b32_e32 v5, 2, v23
	v_add_co_u32_e64 v2, s[0:1], v2, v5
	v_xor_b32_e32 v4, 0x7fffffff, v12
	v_addc_co_u32_e64 v3, s[0:1], 0, v3, s[0:1]
	global_store_dword v[2:3], v4, off
	v_lshlrev_b32_e32 v2, 3, v25
	s_barrier
	v_mov_b32_e32 v5, s43
	v_lshlrev_b32_e32 v4, 3, v8
	s_waitcnt vmcnt(11)
	ds_write_b64 v2, v[36:37] offset:2048
	v_lshlrev_b32_e32 v2, 3, v20
	s_movk_i32 s2, 0x800
	v_mov_b32_e32 v25, s43
	s_add_i32 s7, s7, -1
	s_waitcnt vmcnt(7)
	ds_write_b64 v2, v[34:35] offset:2048
	v_lshlrev_b32_e32 v2, 3, v19
	ds_write_b64 v2, v[38:39] offset:2048
	v_lshlrev_b32_e32 v2, 3, v17
	;; [unrolled: 2-line block ×3, first 2 shown]
	s_waitcnt vmcnt(6)
	ds_write_b64 v2, v[42:43] offset:2048
	v_lshlrev_b32_e32 v2, 3, v13
	s_waitcnt vmcnt(5)
	ds_write_b64 v2, v[44:45] offset:2048
	s_waitcnt lgkmcnt(0)
	s_barrier
	ds_read_b64 v[2:3], v47
	ds_read_b64 v[6:7], v16
	;; [unrolled: 1-line block ×4, first 2 shown]
	s_cmp_eq_u32 s6, s7
	s_waitcnt lgkmcnt(2)
	v_lshlrev_b64 v[6:7], 3, v[6:7]
	v_lshlrev_b64 v[2:3], 3, v[2:3]
	v_add_co_u32_e64 v15, s[0:1], s42, v2
	v_addc_co_u32_e64 v5, s[0:1], v5, v3, s[0:1]
	v_lshlrev_b64 v[2:3], 3, v[8:9]
	v_add_co_u32_e64 v2, s[0:1], v15, v2
	v_addc_co_u32_e64 v3, s[0:1], v5, v3, s[0:1]
	ds_read_b64 v[4:5], v4 offset:2048
	v_add3_u32 v15, v18, s2, v18
	ds_read_b64 v[16:17], v49
	ds_read_b64 v[18:19], v15 offset:20480
	ds_read_b64 v[20:21], v46
	v_add_co_u32_e64 v6, s[0:1], s42, v6
	s_waitcnt lgkmcnt(3)
	global_store_dwordx2 v[2:3], v[4:5], off
	ds_read2st64_b64 v[2:5], v15 offset0:8 offset1:16
	v_addc_co_u32_e64 v7, s[0:1], v25, v7, s[0:1]
	v_mov_b32_e32 v25, 0x1000
	v_lshl_add_u32 v25, v8, 3, v25
	v_add_co_u32_e64 v6, s[0:1], v6, v25
	v_addc_co_u32_e64 v7, s[0:1], 0, v7, s[0:1]
	s_waitcnt lgkmcnt(0)
	global_store_dwordx2 v[6:7], v[2:3], off
	v_lshlrev_b64 v[2:3], 3, v[10:11]
	v_mov_b32_e32 v6, s43
	v_add_co_u32_e64 v2, s[0:1], s42, v2
	v_addc_co_u32_e64 v3, s[0:1], v6, v3, s[0:1]
	v_lshlrev_b32_e32 v6, 3, v24
	v_add_co_u32_e64 v2, s[0:1], v2, v6
	v_addc_co_u32_e64 v3, s[0:1], 0, v3, s[0:1]
	global_store_dwordx2 v[2:3], v[4:5], off
	ds_read2st64_b64 v[2:5], v15 offset0:24 offset1:32
	v_lshlrev_b64 v[6:7], 3, v[12:13]
	v_mov_b32_e32 v10, s43
	v_add_co_u32_e64 v6, s[0:1], s42, v6
	v_addc_co_u32_e64 v7, s[0:1], v10, v7, s[0:1]
	v_lshlrev_b32_e32 v10, 3, v28
	v_add_co_u32_e64 v6, s[0:1], v6, v10
	v_addc_co_u32_e64 v7, s[0:1], 0, v7, s[0:1]
	s_waitcnt lgkmcnt(0)
	global_store_dwordx2 v[6:7], v[2:3], off
	v_lshlrev_b64 v[2:3], 3, v[16:17]
	v_mov_b32_e32 v6, s43
	v_add_co_u32_e64 v2, s[0:1], s42, v2
	v_addc_co_u32_e64 v3, s[0:1], v6, v3, s[0:1]
	v_lshlrev_b32_e32 v6, 3, v22
	v_add_co_u32_e64 v2, s[0:1], v2, v6
	v_addc_co_u32_e64 v3, s[0:1], 0, v3, s[0:1]
	global_store_dwordx2 v[2:3], v[4:5], off
	v_lshlrev_b64 v[2:3], 3, v[20:21]
	v_mov_b32_e32 v4, s43
	v_add_co_u32_e64 v2, s[0:1], s42, v2
	v_addc_co_u32_e64 v3, s[0:1], v4, v3, s[0:1]
	v_lshlrev_b32_e32 v4, 3, v23
	v_add_co_u32_e64 v2, s[0:1], v2, v4
	v_addc_co_u32_e64 v3, s[0:1], 0, v3, s[0:1]
	s_cselect_b64 s[0:1], -1, 0
	s_and_b64 s[2:3], vcc, s[0:1]
	global_store_dwordx2 v[2:3], v[18:19], off
                                        ; implicit-def: $vgpr4_vgpr5
	s_and_saveexec_b64 s[0:1], s[2:3]
; %bb.122:
	v_add_co_u32_e32 v4, vcc, v0, v14
	v_addc_co_u32_e32 v5, vcc, 0, v1, vcc
	s_or_b64 s[8:9], s[8:9], exec
; %bb.123:
	s_or_b64 exec, exec, s[0:1]
.LBB87_124:
	s_and_saveexec_b64 s[0:1], s[8:9]
	s_cbranch_execnz .LBB87_126
; %bb.125:
	s_endpgm
.LBB87_126:
	v_lshlrev_b32_e32 v2, 3, v8
	ds_read_b64 v[2:3], v2
	v_lshlrev_b64 v[0:1], 3, v[8:9]
	v_mov_b32_e32 v6, s47
	v_add_co_u32_e32 v0, vcc, s46, v0
	v_addc_co_u32_e32 v1, vcc, v6, v1, vcc
	s_waitcnt lgkmcnt(0)
	v_add_co_u32_e32 v2, vcc, v2, v4
	v_addc_co_u32_e32 v3, vcc, v3, v5, vcc
	global_store_dwordx2 v[0:1], v[2:3], off
	s_endpgm
.LBB87_127:
	global_load_dwordx2 v[4:5], v[18:19], off
	s_or_b64 exec, exec, s[28:29]
                                        ; implicit-def: $vgpr6_vgpr7
	s_and_saveexec_b64 s[28:29], s[0:1]
	s_cbranch_execz .LBB87_59
.LBB87_128:
	global_load_dwordx2 v[6:7], v[18:19], off offset:512
	s_or_b64 exec, exec, s[28:29]
                                        ; implicit-def: $vgpr10_vgpr11
	s_and_saveexec_b64 s[0:1], s[2:3]
	s_cbranch_execz .LBB87_60
.LBB87_129:
	global_load_dwordx2 v[10:11], v[18:19], off offset:1024
	s_or_b64 exec, exec, s[0:1]
                                        ; implicit-def: $vgpr12_vgpr13
	s_and_saveexec_b64 s[0:1], s[26:27]
	s_cbranch_execz .LBB87_61
.LBB87_130:
	global_load_dwordx2 v[12:13], v[18:19], off offset:1536
	s_or_b64 exec, exec, s[0:1]
                                        ; implicit-def: $vgpr14_vgpr15
	s_and_saveexec_b64 s[0:1], s[8:9]
	s_cbranch_execz .LBB87_62
.LBB87_131:
	global_load_dwordx2 v[14:15], v[18:19], off offset:2048
	s_or_b64 exec, exec, s[0:1]
                                        ; implicit-def: $vgpr16_vgpr17
	s_and_saveexec_b64 s[0:1], s[10:11]
	s_cbranch_execnz .LBB87_63
	s_branch .LBB87_64
.LBB87_132:
	v_lshlrev_b32_e32 v5, 3, v35
	ds_read_b64 v[6:7], v5
	ds_read_b64 v[10:11], v4 offset:2048
	v_mov_b32_e32 v5, s43
	s_waitcnt lgkmcnt(1)
	v_lshlrev_b64 v[6:7], 3, v[6:7]
	v_add_co_u32_e32 v6, vcc, s42, v6
	v_addc_co_u32_e32 v5, vcc, v5, v7, vcc
	v_add_co_u32_e32 v6, vcc, v6, v4
	v_addc_co_u32_e32 v7, vcc, 0, v5, vcc
	s_waitcnt lgkmcnt(0)
	global_store_dwordx2 v[6:7], v[10:11], off
	s_or_b64 exec, exec, s[0:1]
	s_and_saveexec_b64 s[0:1], s[16:17]
	s_cbranch_execz .LBB87_78
.LBB87_133:
	v_lshlrev_b32_e32 v5, 3, v33
	ds_read_b64 v[6:7], v5
	ds_read_b64 v[10:11], v4 offset:6144
	v_mov_b32_e32 v5, s43
	s_waitcnt lgkmcnt(1)
	v_lshlrev_b64 v[6:7], 3, v[6:7]
	v_add_co_u32_e32 v6, vcc, s42, v6
	v_addc_co_u32_e32 v5, vcc, v5, v7, vcc
	v_lshlrev_b32_e32 v7, 3, v22
	v_add_co_u32_e32 v6, vcc, v6, v7
	v_addc_co_u32_e32 v7, vcc, 0, v5, vcc
	s_waitcnt lgkmcnt(0)
	global_store_dwordx2 v[6:7], v[10:11], off
	s_or_b64 exec, exec, s[0:1]
	s_and_saveexec_b64 s[0:1], s[18:19]
	s_cbranch_execz .LBB87_79
.LBB87_134:
	v_lshlrev_b32_e32 v5, 3, v34
	ds_read_b64 v[6:7], v5
	ds_read_b64 v[10:11], v4 offset:10240
	v_mov_b32_e32 v5, s43
	s_waitcnt lgkmcnt(1)
	v_lshlrev_b64 v[6:7], 3, v[6:7]
	v_add_co_u32_e32 v6, vcc, s42, v6
	v_addc_co_u32_e32 v5, vcc, v5, v7, vcc
	v_lshlrev_b32_e32 v7, 3, v29
	v_add_co_u32_e32 v6, vcc, v6, v7
	v_addc_co_u32_e32 v7, vcc, 0, v5, vcc
	s_waitcnt lgkmcnt(0)
	global_store_dwordx2 v[6:7], v[10:11], off
	s_or_b64 exec, exec, s[0:1]
	s_and_saveexec_b64 s[0:1], s[20:21]
	s_cbranch_execz .LBB87_80
.LBB87_135:
	v_lshlrev_b32_e32 v5, 3, v18
	ds_read_b64 v[6:7], v5
	ds_read_b64 v[10:11], v4 offset:14336
	v_mov_b32_e32 v5, s43
	s_waitcnt lgkmcnt(1)
	v_lshlrev_b64 v[6:7], 3, v[6:7]
	v_add_co_u32_e32 v6, vcc, s42, v6
	v_addc_co_u32_e32 v5, vcc, v5, v7, vcc
	v_lshlrev_b32_e32 v7, 3, v30
	v_add_co_u32_e32 v6, vcc, v6, v7
	v_addc_co_u32_e32 v7, vcc, 0, v5, vcc
	s_waitcnt lgkmcnt(0)
	global_store_dwordx2 v[6:7], v[10:11], off
	s_or_b64 exec, exec, s[0:1]
	s_and_saveexec_b64 s[0:1], s[22:23]
	s_cbranch_execz .LBB87_81
.LBB87_136:
	v_lshlrev_b32_e32 v5, 3, v19
	ds_read_b64 v[6:7], v5
	ds_read_b64 v[10:11], v4 offset:18432
	v_mov_b32_e32 v5, s43
	s_waitcnt lgkmcnt(1)
	v_lshlrev_b64 v[6:7], 3, v[6:7]
	v_add_co_u32_e32 v6, vcc, s42, v6
	v_addc_co_u32_e32 v5, vcc, v5, v7, vcc
	v_lshlrev_b32_e32 v7, 3, v31
	v_add_co_u32_e32 v6, vcc, v6, v7
	v_addc_co_u32_e32 v7, vcc, 0, v5, vcc
	s_waitcnt lgkmcnt(0)
	global_store_dwordx2 v[6:7], v[10:11], off
	s_or_b64 exec, exec, s[0:1]
	s_and_saveexec_b64 s[0:1], s[24:25]
	s_cbranch_execnz .LBB87_82
	s_branch .LBB87_83
	.section	.rodata,"a",@progbits
	.p2align	6, 0x0
	.amdhsa_kernel _ZN7rocprim17ROCPRIM_304000_NS6detail25onesweep_iteration_kernelINS1_34wrapped_radix_sort_onesweep_configINS0_14default_configEiN2at4cuda3cub6detail10OpaqueTypeILi8EEEEELb1EPiSC_PSA_SD_mNS0_19identity_decomposerEEEvT1_T2_T3_T4_jPT5_SK_PNS1_23onesweep_lookback_stateET6_jjj
		.amdhsa_group_segment_fixed_size 26624
		.amdhsa_private_segment_fixed_size 0
		.amdhsa_kernarg_size 336
		.amdhsa_user_sgpr_count 6
		.amdhsa_user_sgpr_private_segment_buffer 1
		.amdhsa_user_sgpr_dispatch_ptr 0
		.amdhsa_user_sgpr_queue_ptr 0
		.amdhsa_user_sgpr_kernarg_segment_ptr 1
		.amdhsa_user_sgpr_dispatch_id 0
		.amdhsa_user_sgpr_flat_scratch_init 0
		.amdhsa_user_sgpr_kernarg_preload_length 0
		.amdhsa_user_sgpr_kernarg_preload_offset 0
		.amdhsa_user_sgpr_private_segment_size 0
		.amdhsa_uses_dynamic_stack 0
		.amdhsa_system_sgpr_private_segment_wavefront_offset 0
		.amdhsa_system_sgpr_workgroup_id_x 1
		.amdhsa_system_sgpr_workgroup_id_y 0
		.amdhsa_system_sgpr_workgroup_id_z 0
		.amdhsa_system_sgpr_workgroup_info 0
		.amdhsa_system_vgpr_workitem_id 2
		.amdhsa_next_free_vgpr 50
		.amdhsa_next_free_sgpr 52
		.amdhsa_accum_offset 52
		.amdhsa_reserve_vcc 1
		.amdhsa_reserve_flat_scratch 0
		.amdhsa_float_round_mode_32 0
		.amdhsa_float_round_mode_16_64 0
		.amdhsa_float_denorm_mode_32 3
		.amdhsa_float_denorm_mode_16_64 3
		.amdhsa_dx10_clamp 1
		.amdhsa_ieee_mode 1
		.amdhsa_fp16_overflow 0
		.amdhsa_tg_split 0
		.amdhsa_exception_fp_ieee_invalid_op 0
		.amdhsa_exception_fp_denorm_src 0
		.amdhsa_exception_fp_ieee_div_zero 0
		.amdhsa_exception_fp_ieee_overflow 0
		.amdhsa_exception_fp_ieee_underflow 0
		.amdhsa_exception_fp_ieee_inexact 0
		.amdhsa_exception_int_div_zero 0
	.end_amdhsa_kernel
	.section	.text._ZN7rocprim17ROCPRIM_304000_NS6detail25onesweep_iteration_kernelINS1_34wrapped_radix_sort_onesweep_configINS0_14default_configEiN2at4cuda3cub6detail10OpaqueTypeILi8EEEEELb1EPiSC_PSA_SD_mNS0_19identity_decomposerEEEvT1_T2_T3_T4_jPT5_SK_PNS1_23onesweep_lookback_stateET6_jjj,"axG",@progbits,_ZN7rocprim17ROCPRIM_304000_NS6detail25onesweep_iteration_kernelINS1_34wrapped_radix_sort_onesweep_configINS0_14default_configEiN2at4cuda3cub6detail10OpaqueTypeILi8EEEEELb1EPiSC_PSA_SD_mNS0_19identity_decomposerEEEvT1_T2_T3_T4_jPT5_SK_PNS1_23onesweep_lookback_stateET6_jjj,comdat
.Lfunc_end87:
	.size	_ZN7rocprim17ROCPRIM_304000_NS6detail25onesweep_iteration_kernelINS1_34wrapped_radix_sort_onesweep_configINS0_14default_configEiN2at4cuda3cub6detail10OpaqueTypeILi8EEEEELb1EPiSC_PSA_SD_mNS0_19identity_decomposerEEEvT1_T2_T3_T4_jPT5_SK_PNS1_23onesweep_lookback_stateET6_jjj, .Lfunc_end87-_ZN7rocprim17ROCPRIM_304000_NS6detail25onesweep_iteration_kernelINS1_34wrapped_radix_sort_onesweep_configINS0_14default_configEiN2at4cuda3cub6detail10OpaqueTypeILi8EEEEELb1EPiSC_PSA_SD_mNS0_19identity_decomposerEEEvT1_T2_T3_T4_jPT5_SK_PNS1_23onesweep_lookback_stateET6_jjj
                                        ; -- End function
	.section	.AMDGPU.csdata,"",@progbits
; Kernel info:
; codeLenInByte = 11364
; NumSgprs: 56
; NumVgprs: 50
; NumAgprs: 0
; TotalNumVgprs: 50
; ScratchSize: 0
; MemoryBound: 0
; FloatMode: 240
; IeeeMode: 1
; LDSByteSize: 26624 bytes/workgroup (compile time only)
; SGPRBlocks: 6
; VGPRBlocks: 6
; NumSGPRsForWavesPerEU: 56
; NumVGPRsForWavesPerEU: 50
; AccumOffset: 52
; Occupancy: 4
; WaveLimiterHint : 1
; COMPUTE_PGM_RSRC2:SCRATCH_EN: 0
; COMPUTE_PGM_RSRC2:USER_SGPR: 6
; COMPUTE_PGM_RSRC2:TRAP_HANDLER: 0
; COMPUTE_PGM_RSRC2:TGID_X_EN: 1
; COMPUTE_PGM_RSRC2:TGID_Y_EN: 0
; COMPUTE_PGM_RSRC2:TGID_Z_EN: 0
; COMPUTE_PGM_RSRC2:TIDIG_COMP_CNT: 2
; COMPUTE_PGM_RSRC3_GFX90A:ACCUM_OFFSET: 12
; COMPUTE_PGM_RSRC3_GFX90A:TG_SPLIT: 0
	.section	.text._ZN7rocprim17ROCPRIM_304000_NS6detail28radix_sort_block_sort_kernelINS1_36wrapped_radix_sort_block_sort_configINS0_13kernel_configILj256ELj4ELj4294967295EEEiN2at4cuda3cub6detail10OpaqueTypeILi8EEEEELb0EPKiPiPKSB_PSB_NS0_19identity_decomposerEEEvT1_T2_T3_T4_jT5_jj,"axG",@progbits,_ZN7rocprim17ROCPRIM_304000_NS6detail28radix_sort_block_sort_kernelINS1_36wrapped_radix_sort_block_sort_configINS0_13kernel_configILj256ELj4ELj4294967295EEEiN2at4cuda3cub6detail10OpaqueTypeILi8EEEEELb0EPKiPiPKSB_PSB_NS0_19identity_decomposerEEEvT1_T2_T3_T4_jT5_jj,comdat
	.protected	_ZN7rocprim17ROCPRIM_304000_NS6detail28radix_sort_block_sort_kernelINS1_36wrapped_radix_sort_block_sort_configINS0_13kernel_configILj256ELj4ELj4294967295EEEiN2at4cuda3cub6detail10OpaqueTypeILi8EEEEELb0EPKiPiPKSB_PSB_NS0_19identity_decomposerEEEvT1_T2_T3_T4_jT5_jj ; -- Begin function _ZN7rocprim17ROCPRIM_304000_NS6detail28radix_sort_block_sort_kernelINS1_36wrapped_radix_sort_block_sort_configINS0_13kernel_configILj256ELj4ELj4294967295EEEiN2at4cuda3cub6detail10OpaqueTypeILi8EEEEELb0EPKiPiPKSB_PSB_NS0_19identity_decomposerEEEvT1_T2_T3_T4_jT5_jj
	.globl	_ZN7rocprim17ROCPRIM_304000_NS6detail28radix_sort_block_sort_kernelINS1_36wrapped_radix_sort_block_sort_configINS0_13kernel_configILj256ELj4ELj4294967295EEEiN2at4cuda3cub6detail10OpaqueTypeILi8EEEEELb0EPKiPiPKSB_PSB_NS0_19identity_decomposerEEEvT1_T2_T3_T4_jT5_jj
	.p2align	8
	.type	_ZN7rocprim17ROCPRIM_304000_NS6detail28radix_sort_block_sort_kernelINS1_36wrapped_radix_sort_block_sort_configINS0_13kernel_configILj256ELj4ELj4294967295EEEiN2at4cuda3cub6detail10OpaqueTypeILi8EEEEELb0EPKiPiPKSB_PSB_NS0_19identity_decomposerEEEvT1_T2_T3_T4_jT5_jj,@function
_ZN7rocprim17ROCPRIM_304000_NS6detail28radix_sort_block_sort_kernelINS1_36wrapped_radix_sort_block_sort_configINS0_13kernel_configILj256ELj4ELj4294967295EEEiN2at4cuda3cub6detail10OpaqueTypeILi8EEEEELb0EPKiPiPKSB_PSB_NS0_19identity_decomposerEEEvT1_T2_T3_T4_jT5_jj: ; @_ZN7rocprim17ROCPRIM_304000_NS6detail28radix_sort_block_sort_kernelINS1_36wrapped_radix_sort_block_sort_configINS0_13kernel_configILj256ELj4ELj4294967295EEEiN2at4cuda3cub6detail10OpaqueTypeILi8EEEEELb0EPKiPiPKSB_PSB_NS0_19identity_decomposerEEEvT1_T2_T3_T4_jT5_jj
; %bb.0:
	s_load_dword s2, s[4:5], 0x20
	s_load_dwordx8 s[36:43], s[4:5], 0x0
	s_lshl_b32 s28, s6, 10
	s_mov_b32 s29, 0
	v_mbcnt_lo_u32_b32 v1, -1, 0
	s_waitcnt lgkmcnt(0)
	s_lshr_b32 s0, s2, 10
	s_cmp_lg_u32 s6, s0
	s_cselect_b64 s[30:31], -1, 0
	s_lshl_b64 s[34:35], s[28:29], 2
	v_and_b32_e32 v8, 0x3ff, v0
	s_add_u32 s1, s36, s34
	v_mbcnt_hi_u32_b32 v1, -1, v1
	s_addc_u32 s3, s37, s35
	v_lshlrev_b32_e32 v9, 2, v8
	v_lshlrev_b32_e32 v2, 2, v1
	v_and_b32_e32 v10, 0x300, v9
	v_mov_b32_e32 v3, s3
	v_add_co_u32_e32 v2, vcc, s1, v2
	v_addc_co_u32_e32 v3, vcc, 0, v3, vcc
	v_lshlrev_b32_e32 v4, 2, v10
	v_add_co_u32_e32 v6, vcc, v2, v4
	s_cmp_eq_u32 s6, s0
	v_addc_co_u32_e32 v7, vcc, 0, v3, vcc
	v_lshlrev_b32_e32 v15, 3, v1
	v_lshlrev_b32_e32 v14, 3, v10
	v_add_u32_e32 v11, v1, v10
	s_cbranch_scc1 .LBB88_2
; %bb.1:
	s_lshl_b64 s[0:1], s[28:29], 3
	s_add_u32 s0, s40, s0
	s_addc_u32 s1, s41, s1
	v_mov_b32_e32 v12, s1
	v_add_co_u32_e32 v13, vcc, s0, v15
	v_addc_co_u32_e32 v16, vcc, 0, v12, vcc
	v_add_co_u32_e32 v12, vcc, v13, v14
	v_addc_co_u32_e32 v13, vcc, 0, v16, vcc
	global_load_dword v2, v[6:7], off
	global_load_dword v3, v[6:7], off offset:256
	global_load_dword v4, v[6:7], off offset:512
	;; [unrolled: 1-line block ×3, first 2 shown]
	global_load_dwordx2 v[20:21], v[12:13], off
	global_load_dwordx2 v[22:23], v[12:13], off offset:512
	global_load_dwordx2 v[24:25], v[12:13], off offset:1024
	;; [unrolled: 1-line block ×3, first 2 shown]
	v_add_u32_e32 v16, v1, v10
	v_add_u32_e32 v10, 64, v16
	;; [unrolled: 1-line block ×4, first 2 shown]
	s_sub_i32 s33, s2, s28
	s_cbranch_execz .LBB88_3
	s_branch .LBB88_17
.LBB88_2:
                                        ; implicit-def: $vgpr2_vgpr3_vgpr4_vgpr5
                                        ; implicit-def: $vgpr20_vgpr21
                                        ; implicit-def: $vgpr22_vgpr23
                                        ; implicit-def: $vgpr24_vgpr25
                                        ; implicit-def: $vgpr26_vgpr27
                                        ; implicit-def: $vgpr16
                                        ; implicit-def: $vgpr10
                                        ; implicit-def: $vgpr12
                                        ; implicit-def: $vgpr13
	s_sub_i32 s33, s2, s28
.LBB88_3:
	s_brev_b32 s0, -2
	s_mov_b32 s2, s0
	s_mov_b32 s3, s0
	;; [unrolled: 1-line block ×3, first 2 shown]
	s_waitcnt vmcnt(4)
	v_pk_mov_b32 v[4:5], s[2:3], s[2:3] op_sel:[0,1]
	v_cmp_gt_u32_e32 vcc, s33, v11
	v_pk_mov_b32 v[2:3], s[0:1], s[0:1] op_sel:[0,1]
	s_and_saveexec_b64 s[0:1], vcc
	s_cbranch_execz .LBB88_5
; %bb.4:
	global_load_dword v2, v[6:7], off
	v_bfrev_b32_e32 v3, -2
	v_mov_b32_e32 v4, v3
	v_mov_b32_e32 v5, v3
.LBB88_5:
	s_or_b64 exec, exec, s[0:1]
	v_add_u32_e32 v10, 64, v11
	v_cmp_gt_u32_e64 s[0:1], s33, v10
	s_and_saveexec_b64 s[2:3], s[0:1]
	s_cbranch_execz .LBB88_7
; %bb.6:
	global_load_dword v3, v[6:7], off offset:256
.LBB88_7:
	s_or_b64 exec, exec, s[2:3]
	v_add_u32_e32 v12, 0x80, v11
	v_cmp_gt_u32_e64 s[2:3], s33, v12
	s_and_saveexec_b64 s[6:7], s[2:3]
	s_cbranch_execz .LBB88_9
; %bb.8:
	global_load_dword v4, v[6:7], off offset:512
.LBB88_9:
	s_or_b64 exec, exec, s[6:7]
	v_add_u32_e32 v13, 0xc0, v11
	v_cmp_gt_u32_e64 s[6:7], s33, v13
	s_and_saveexec_b64 s[8:9], s[6:7]
	s_cbranch_execz .LBB88_11
; %bb.10:
	global_load_dword v5, v[6:7], off offset:768
.LBB88_11:
	s_or_b64 exec, exec, s[8:9]
	s_lshl_b64 s[8:9], s[28:29], 3
	s_add_u32 s8, s40, s8
	s_addc_u32 s9, s41, s9
	v_mov_b32_e32 v6, s9
	v_add_co_u32_e64 v7, s[8:9], s8, v15
	v_addc_co_u32_e64 v15, s[8:9], 0, v6, s[8:9]
	v_add_co_u32_e64 v6, s[8:9], v7, v14
	v_addc_co_u32_e64 v7, s[8:9], 0, v15, s[8:9]
                                        ; implicit-def: $vgpr20_vgpr21
	s_and_saveexec_b64 s[8:9], vcc
	s_cbranch_execnz .LBB88_54
; %bb.12:
	s_or_b64 exec, exec, s[8:9]
                                        ; implicit-def: $vgpr22_vgpr23
	s_and_saveexec_b64 s[8:9], s[0:1]
	s_cbranch_execnz .LBB88_55
.LBB88_13:
	s_or_b64 exec, exec, s[8:9]
                                        ; implicit-def: $vgpr24_vgpr25
	s_and_saveexec_b64 s[0:1], s[2:3]
	s_cbranch_execnz .LBB88_56
.LBB88_14:
	s_or_b64 exec, exec, s[0:1]
                                        ; implicit-def: $vgpr26_vgpr27
	s_and_saveexec_b64 s[0:1], s[6:7]
	s_cbranch_execz .LBB88_16
.LBB88_15:
	global_load_dwordx2 v[26:27], v[6:7], off offset:1536
.LBB88_16:
	s_or_b64 exec, exec, s[0:1]
	v_mov_b32_e32 v16, v11
.LBB88_17:
	s_load_dwordx2 s[36:37], s[4:5], 0x28
	s_load_dword s0, s[4:5], 0x3c
	s_waitcnt vmcnt(0)
	v_xor_b32_e32 v19, 0x80000000, v4
	v_bfe_u32 v4, v0, 10, 10
	v_bfe_u32 v0, v0, 20, 10
	v_xor_b32_e32 v46, 0x80000000, v5
	s_waitcnt lgkmcnt(0)
	s_lshr_b32 s1, s0, 16
	s_and_b32 s0, s0, 0xffff
	v_mad_u32_u24 v0, v0, s1, v4
	v_mad_u64_u32 v[4:5], s[0:1], v0, s0, v[8:9]
	v_and_b32_e32 v0, 15, v1
	v_cmp_eq_u32_e64 s[0:1], 0, v0
	v_cmp_lt_u32_e64 s[2:3], 1, v0
	v_cmp_lt_u32_e64 s[4:5], 3, v0
	;; [unrolled: 1-line block ×3, first 2 shown]
	v_and_b32_e32 v0, 16, v1
	v_cmp_eq_u32_e64 s[8:9], 0, v0
	v_and_b32_e32 v0, 0x3c0, v8
	v_min_u32_e32 v0, 0xc0, v0
	v_or_b32_e32 v0, 63, v0
	v_lshrrev_b32_e32 v29, 6, v4
	v_cmp_eq_u32_e64 s[12:13], v0, v8
	v_add_u32_e32 v0, -1, v1
	v_and_b32_e32 v4, 64, v1
	v_cmp_lt_i32_e32 vcc, v0, v4
	v_cndmask_b32_e32 v0, v0, v1, vcc
	s_mov_b32 s26, 0
	v_lshlrev_b32_e32 v31, 2, v0
	v_lshrrev_b32_e32 v0, 4, v8
	v_and_b32_e32 v32, 60, v0
	v_and_b32_e32 v0, 3, v1
	v_lshlrev_b32_e32 v34, 2, v16
	v_lshlrev_b32_e32 v35, 2, v10
	;; [unrolled: 1-line block ×4, first 2 shown]
	s_mov_b32 s27, s26
	s_mov_b32 s44, s26
	;; [unrolled: 1-line block ×3, first 2 shown]
	v_xor_b32_e32 v2, 0x80000000, v2
	v_xor_b32_e32 v3, 0x80000000, v3
	s_add_i32 s40, s37, s36
	v_lshlrev_b32_e32 v28, 2, v9
	v_cmp_lt_u32_e64 s[10:11], 31, v1
	v_cmp_gt_u32_e64 s[14:15], 4, v8
	v_cmp_lt_u32_e64 s[16:17], 63, v8
	v_cmp_eq_u32_e64 s[18:19], 0, v1
	v_cmp_eq_u32_e64 s[20:21], 0, v8
	v_mul_i32_i24_e32 v30, -12, v8
	v_cmp_eq_u32_e64 s[22:23], 0, v0
	v_cmp_lt_u32_e64 s[24:25], 1, v0
	v_add_u32_e32 v33, -4, v32
	v_pk_mov_b32 v[4:5], s[26:27], s[26:27] op_sel:[0,1]
	v_pk_mov_b32 v[10:11], s[44:45], s[44:45] op_sel:[0,1]
	v_add_u32_e32 v38, v34, v34
	v_add_u32_e32 v39, v35, v35
	;; [unrolled: 1-line block ×4, first 2 shown]
	v_mov_b32_e32 v18, 0
	s_branch .LBB88_19
.LBB88_18:                              ;   in Loop: Header=BB88_19 Depth=1
	v_lshl_add_u32 v20, v48, 2, v52
	s_barrier
	ds_write_b32 v52, v45
	ds_write_b32 v51, v44
	;; [unrolled: 1-line block ×4, first 2 shown]
	s_waitcnt lgkmcnt(0)
	s_barrier
	ds_read_b32 v2, v34
	ds_read_b32 v3, v35
	;; [unrolled: 1-line block ×4, first 2 shown]
	s_waitcnt lgkmcnt(0)
	s_barrier
	ds_write_b64 v20, v[16:17]
	v_lshl_add_u32 v20, v47, 2, v51
	ds_write_b64 v20, v[14:15]
	v_lshl_add_u32 v20, v1, 2, v50
	;; [unrolled: 2-line block ×3, first 2 shown]
	ds_write_b64 v20, v[6:7]
	s_waitcnt lgkmcnt(0)
	s_barrier
	ds_read_b64 v[20:21], v38
	ds_read_b64 v[22:23], v39
	;; [unrolled: 1-line block ×4, first 2 shown]
	s_add_i32 s37, s37, -8
	s_waitcnt lgkmcnt(0)
	s_barrier
	s_cbranch_execz .LBB88_35
.LBB88_19:                              ; =>This Inner Loop Header: Depth=1
	s_min_u32 s26, s37, 8
	v_mov_b32_e32 v45, v2
	s_lshl_b32 s26, -1, s26
	s_not_b32 s41, s26
	v_lshrrev_b32_e32 v0, s36, v45
	v_and_b32_e32 v0, s41, v0
	v_lshl_add_u32 v1, v0, 2, v29
	v_pk_mov_b32 v[16:17], v[20:21], v[20:21] op_sel:[0,1]
	v_lshl_add_u32 v20, v1, 2, 16
	v_and_b32_e32 v1, 1, v0
	v_add_co_u32_e32 v2, vcc, -1, v1
	v_mov_b32_e32 v43, v19
	v_mov_b32_e32 v44, v3
	v_addc_co_u32_e64 v3, s[26:27], 0, -1, vcc
	v_cmp_ne_u32_e32 vcc, 0, v1
	v_lshlrev_b32_e32 v19, 30, v0
	v_xor_b32_e32 v1, vcc_hi, v3
	v_not_b32_e32 v3, v19
	v_xor_b32_e32 v2, vcc_lo, v2
	v_cmp_gt_i64_e32 vcc, 0, v[18:19]
	v_ashrrev_i32_e32 v3, 31, v3
	v_and_b32_e32 v1, exec_hi, v1
	v_xor_b32_e32 v19, vcc_hi, v3
	v_and_b32_e32 v2, exec_lo, v2
	v_xor_b32_e32 v3, vcc_lo, v3
	v_and_b32_e32 v1, v1, v19
	v_lshlrev_b32_e32 v19, 29, v0
	v_and_b32_e32 v2, v2, v3
	v_not_b32_e32 v3, v19
	v_cmp_gt_i64_e32 vcc, 0, v[18:19]
	v_ashrrev_i32_e32 v3, 31, v3
	v_xor_b32_e32 v19, vcc_hi, v3
	v_xor_b32_e32 v3, vcc_lo, v3
	v_and_b32_e32 v1, v1, v19
	v_lshlrev_b32_e32 v19, 28, v0
	v_and_b32_e32 v2, v2, v3
	v_not_b32_e32 v3, v19
	v_cmp_gt_i64_e32 vcc, 0, v[18:19]
	v_ashrrev_i32_e32 v3, 31, v3
	v_xor_b32_e32 v19, vcc_hi, v3
	;; [unrolled: 8-line block ×5, first 2 shown]
	v_and_b32_e32 v1, v1, v19
	v_lshlrev_b32_e32 v19, 24, v0
	v_not_b32_e32 v0, v19
	v_xor_b32_e32 v3, vcc_lo, v3
	v_cmp_gt_i64_e32 vcc, 0, v[18:19]
	v_ashrrev_i32_e32 v0, 31, v0
	v_and_b32_e32 v2, v2, v3
	v_xor_b32_e32 v3, vcc_hi, v0
	v_xor_b32_e32 v0, vcc_lo, v0
	v_and_b32_e32 v0, v2, v0
	v_and_b32_e32 v1, v1, v3
	v_mbcnt_lo_u32_b32 v2, v0, 0
	v_mbcnt_hi_u32_b32 v21, v1, v2
	v_cmp_eq_u32_e32 vcc, 0, v21
	v_cmp_ne_u64_e64 s[26:27], 0, v[0:1]
	v_mov_b32_e32 v42, v46
	v_pk_mov_b32 v[14:15], v[22:23], v[22:23] op_sel:[0,1]
	v_pk_mov_b32 v[12:13], v[24:25], v[24:25] op_sel:[0,1]
	;; [unrolled: 1-line block ×3, first 2 shown]
	s_and_b64 s[44:45], s[26:27], vcc
	ds_write2_b64 v28, v[4:5], v[10:11] offset0:2 offset1:3
	s_waitcnt lgkmcnt(0)
	s_barrier
	s_waitcnt lgkmcnt(0)
	; wave barrier
	s_and_saveexec_b64 s[26:27], s[44:45]
	s_cbranch_execz .LBB88_21
; %bb.20:                               ;   in Loop: Header=BB88_19 Depth=1
	v_bcnt_u32_b32 v0, v0, 0
	v_bcnt_u32_b32 v0, v1, v0
	ds_write_b32 v20, v0
.LBB88_21:                              ;   in Loop: Header=BB88_19 Depth=1
	s_or_b64 exec, exec, s[26:27]
	v_lshrrev_b32_e32 v0, s36, v44
	v_and_b32_e32 v0, s41, v0
	v_lshlrev_b32_e32 v1, 2, v0
	v_add_lshl_u32 v1, v1, v29, 2
	; wave barrier
	v_add_u32_e32 v23, 16, v1
	ds_read_b32 v22, v1 offset:16
	v_and_b32_e32 v1, 1, v0
	v_add_co_u32_e32 v2, vcc, -1, v1
	v_addc_co_u32_e64 v3, s[26:27], 0, -1, vcc
	v_cmp_ne_u32_e32 vcc, 0, v1
	v_lshlrev_b32_e32 v19, 30, v0
	v_xor_b32_e32 v1, vcc_hi, v3
	v_not_b32_e32 v3, v19
	v_xor_b32_e32 v2, vcc_lo, v2
	v_cmp_gt_i64_e32 vcc, 0, v[18:19]
	v_ashrrev_i32_e32 v3, 31, v3
	v_and_b32_e32 v1, exec_hi, v1
	v_xor_b32_e32 v19, vcc_hi, v3
	v_and_b32_e32 v2, exec_lo, v2
	v_xor_b32_e32 v3, vcc_lo, v3
	v_and_b32_e32 v1, v1, v19
	v_lshlrev_b32_e32 v19, 29, v0
	v_and_b32_e32 v2, v2, v3
	v_not_b32_e32 v3, v19
	v_cmp_gt_i64_e32 vcc, 0, v[18:19]
	v_ashrrev_i32_e32 v3, 31, v3
	v_xor_b32_e32 v19, vcc_hi, v3
	v_xor_b32_e32 v3, vcc_lo, v3
	v_and_b32_e32 v1, v1, v19
	v_lshlrev_b32_e32 v19, 28, v0
	v_and_b32_e32 v2, v2, v3
	v_not_b32_e32 v3, v19
	v_cmp_gt_i64_e32 vcc, 0, v[18:19]
	v_ashrrev_i32_e32 v3, 31, v3
	v_xor_b32_e32 v19, vcc_hi, v3
	;; [unrolled: 8-line block ×5, first 2 shown]
	v_and_b32_e32 v1, v1, v19
	v_lshlrev_b32_e32 v19, 24, v0
	v_not_b32_e32 v0, v19
	v_xor_b32_e32 v3, vcc_lo, v3
	v_cmp_gt_i64_e32 vcc, 0, v[18:19]
	v_ashrrev_i32_e32 v0, 31, v0
	v_and_b32_e32 v2, v2, v3
	v_xor_b32_e32 v3, vcc_hi, v0
	v_xor_b32_e32 v0, vcc_lo, v0
	v_and_b32_e32 v0, v2, v0
	v_and_b32_e32 v1, v1, v3
	v_mbcnt_lo_u32_b32 v2, v0, 0
	v_mbcnt_hi_u32_b32 v24, v1, v2
	v_cmp_eq_u32_e32 vcc, 0, v24
	v_cmp_ne_u64_e64 s[26:27], 0, v[0:1]
	s_and_b64 s[44:45], s[26:27], vcc
	; wave barrier
	s_and_saveexec_b64 s[26:27], s[44:45]
	s_cbranch_execz .LBB88_23
; %bb.22:                               ;   in Loop: Header=BB88_19 Depth=1
	v_bcnt_u32_b32 v0, v0, 0
	v_bcnt_u32_b32 v0, v1, v0
	s_waitcnt lgkmcnt(0)
	v_add_u32_e32 v0, v22, v0
	ds_write_b32 v23, v0
.LBB88_23:                              ;   in Loop: Header=BB88_19 Depth=1
	s_or_b64 exec, exec, s[26:27]
	v_lshrrev_b32_e32 v0, s36, v43
	v_and_b32_e32 v0, s41, v0
	v_lshlrev_b32_e32 v1, 2, v0
	v_add_lshl_u32 v1, v1, v29, 2
	; wave barrier
	v_add_u32_e32 v26, 16, v1
	ds_read_b32 v25, v1 offset:16
	v_and_b32_e32 v1, 1, v0
	v_add_co_u32_e32 v2, vcc, -1, v1
	v_addc_co_u32_e64 v3, s[26:27], 0, -1, vcc
	v_cmp_ne_u32_e32 vcc, 0, v1
	v_lshlrev_b32_e32 v19, 30, v0
	v_xor_b32_e32 v1, vcc_hi, v3
	v_not_b32_e32 v3, v19
	v_xor_b32_e32 v2, vcc_lo, v2
	v_cmp_gt_i64_e32 vcc, 0, v[18:19]
	v_ashrrev_i32_e32 v3, 31, v3
	v_and_b32_e32 v1, exec_hi, v1
	v_xor_b32_e32 v19, vcc_hi, v3
	v_and_b32_e32 v2, exec_lo, v2
	v_xor_b32_e32 v3, vcc_lo, v3
	v_and_b32_e32 v1, v1, v19
	v_lshlrev_b32_e32 v19, 29, v0
	v_and_b32_e32 v2, v2, v3
	v_not_b32_e32 v3, v19
	v_cmp_gt_i64_e32 vcc, 0, v[18:19]
	v_ashrrev_i32_e32 v3, 31, v3
	v_xor_b32_e32 v19, vcc_hi, v3
	v_xor_b32_e32 v3, vcc_lo, v3
	v_and_b32_e32 v1, v1, v19
	v_lshlrev_b32_e32 v19, 28, v0
	v_and_b32_e32 v2, v2, v3
	v_not_b32_e32 v3, v19
	v_cmp_gt_i64_e32 vcc, 0, v[18:19]
	v_ashrrev_i32_e32 v3, 31, v3
	v_xor_b32_e32 v19, vcc_hi, v3
	;; [unrolled: 8-line block ×5, first 2 shown]
	v_and_b32_e32 v1, v1, v19
	v_lshlrev_b32_e32 v19, 24, v0
	v_not_b32_e32 v0, v19
	v_xor_b32_e32 v3, vcc_lo, v3
	v_cmp_gt_i64_e32 vcc, 0, v[18:19]
	v_ashrrev_i32_e32 v0, 31, v0
	v_and_b32_e32 v2, v2, v3
	v_xor_b32_e32 v3, vcc_hi, v0
	v_xor_b32_e32 v0, vcc_lo, v0
	v_and_b32_e32 v0, v2, v0
	v_and_b32_e32 v1, v1, v3
	v_mbcnt_lo_u32_b32 v2, v0, 0
	v_mbcnt_hi_u32_b32 v27, v1, v2
	v_cmp_eq_u32_e32 vcc, 0, v27
	v_cmp_ne_u64_e64 s[26:27], 0, v[0:1]
	s_and_b64 s[44:45], s[26:27], vcc
	; wave barrier
	s_and_saveexec_b64 s[26:27], s[44:45]
	s_cbranch_execz .LBB88_25
; %bb.24:                               ;   in Loop: Header=BB88_19 Depth=1
	v_bcnt_u32_b32 v0, v0, 0
	v_bcnt_u32_b32 v0, v1, v0
	s_waitcnt lgkmcnt(0)
	v_add_u32_e32 v0, v25, v0
	ds_write_b32 v26, v0
.LBB88_25:                              ;   in Loop: Header=BB88_19 Depth=1
	s_or_b64 exec, exec, s[26:27]
	v_lshrrev_b32_e32 v0, s36, v42
	v_and_b32_e32 v0, s41, v0
	v_lshlrev_b32_e32 v1, 2, v0
	v_add_lshl_u32 v1, v1, v29, 2
	; wave barrier
	v_add_u32_e32 v47, 16, v1
	ds_read_b32 v46, v1 offset:16
	v_and_b32_e32 v1, 1, v0
	v_add_co_u32_e32 v2, vcc, -1, v1
	v_addc_co_u32_e64 v3, s[26:27], 0, -1, vcc
	v_cmp_ne_u32_e32 vcc, 0, v1
	v_lshlrev_b32_e32 v19, 30, v0
	v_xor_b32_e32 v1, vcc_hi, v3
	v_not_b32_e32 v3, v19
	v_xor_b32_e32 v2, vcc_lo, v2
	v_cmp_gt_i64_e32 vcc, 0, v[18:19]
	v_ashrrev_i32_e32 v3, 31, v3
	v_and_b32_e32 v1, exec_hi, v1
	v_xor_b32_e32 v19, vcc_hi, v3
	v_and_b32_e32 v2, exec_lo, v2
	v_xor_b32_e32 v3, vcc_lo, v3
	v_and_b32_e32 v1, v1, v19
	v_lshlrev_b32_e32 v19, 29, v0
	v_and_b32_e32 v2, v2, v3
	v_not_b32_e32 v3, v19
	v_cmp_gt_i64_e32 vcc, 0, v[18:19]
	v_ashrrev_i32_e32 v3, 31, v3
	v_xor_b32_e32 v19, vcc_hi, v3
	v_xor_b32_e32 v3, vcc_lo, v3
	v_and_b32_e32 v1, v1, v19
	v_lshlrev_b32_e32 v19, 28, v0
	v_and_b32_e32 v2, v2, v3
	v_not_b32_e32 v3, v19
	v_cmp_gt_i64_e32 vcc, 0, v[18:19]
	v_ashrrev_i32_e32 v3, 31, v3
	v_xor_b32_e32 v19, vcc_hi, v3
	;; [unrolled: 8-line block ×5, first 2 shown]
	v_and_b32_e32 v1, v1, v19
	v_lshlrev_b32_e32 v19, 24, v0
	v_not_b32_e32 v0, v19
	v_xor_b32_e32 v3, vcc_lo, v3
	v_cmp_gt_i64_e32 vcc, 0, v[18:19]
	v_ashrrev_i32_e32 v0, 31, v0
	v_and_b32_e32 v2, v2, v3
	v_xor_b32_e32 v3, vcc_hi, v0
	v_xor_b32_e32 v0, vcc_lo, v0
	v_and_b32_e32 v0, v2, v0
	v_and_b32_e32 v1, v1, v3
	v_mbcnt_lo_u32_b32 v2, v0, 0
	v_mbcnt_hi_u32_b32 v19, v1, v2
	v_cmp_eq_u32_e32 vcc, 0, v19
	v_cmp_ne_u64_e64 s[26:27], 0, v[0:1]
	s_and_b64 s[44:45], s[26:27], vcc
	; wave barrier
	s_and_saveexec_b64 s[26:27], s[44:45]
	s_cbranch_execz .LBB88_27
; %bb.26:                               ;   in Loop: Header=BB88_19 Depth=1
	v_bcnt_u32_b32 v0, v0, 0
	v_bcnt_u32_b32 v0, v1, v0
	s_waitcnt lgkmcnt(0)
	v_add_u32_e32 v0, v46, v0
	ds_write_b32 v47, v0
.LBB88_27:                              ;   in Loop: Header=BB88_19 Depth=1
	s_or_b64 exec, exec, s[26:27]
	; wave barrier
	s_waitcnt lgkmcnt(0)
	s_barrier
	ds_read2_b64 v[0:3], v28 offset0:2 offset1:3
	s_waitcnt lgkmcnt(0)
	v_add_u32_e32 v48, v1, v0
	v_add3_u32 v3, v48, v2, v3
	s_nop 1
	v_mov_b32_dpp v48, v3 row_shr:1 row_mask:0xf bank_mask:0xf
	v_cndmask_b32_e64 v48, v48, 0, s[0:1]
	v_add_u32_e32 v3, v48, v3
	s_nop 1
	v_mov_b32_dpp v48, v3 row_shr:2 row_mask:0xf bank_mask:0xf
	v_cndmask_b32_e64 v48, 0, v48, s[2:3]
	v_add_u32_e32 v3, v3, v48
	;; [unrolled: 4-line block ×4, first 2 shown]
	s_nop 1
	v_mov_b32_dpp v48, v3 row_bcast:15 row_mask:0xf bank_mask:0xf
	v_cndmask_b32_e64 v48, v48, 0, s[8:9]
	v_add_u32_e32 v3, v3, v48
	s_nop 1
	v_mov_b32_dpp v48, v3 row_bcast:31 row_mask:0xf bank_mask:0xf
	v_cndmask_b32_e64 v48, 0, v48, s[10:11]
	v_add_u32_e32 v3, v3, v48
	s_and_saveexec_b64 s[26:27], s[12:13]
	s_cbranch_execz .LBB88_29
; %bb.28:                               ;   in Loop: Header=BB88_19 Depth=1
	ds_write_b32 v32, v3
.LBB88_29:                              ;   in Loop: Header=BB88_19 Depth=1
	s_or_b64 exec, exec, s[26:27]
	s_waitcnt lgkmcnt(0)
	s_barrier
	s_and_saveexec_b64 s[26:27], s[14:15]
	s_cbranch_execz .LBB88_31
; %bb.30:                               ;   in Loop: Header=BB88_19 Depth=1
	v_add_u32_e32 v48, v28, v30
	ds_read_b32 v49, v48
	s_waitcnt lgkmcnt(0)
	s_nop 0
	v_mov_b32_dpp v50, v49 row_shr:1 row_mask:0xf bank_mask:0xf
	v_cndmask_b32_e64 v50, v50, 0, s[22:23]
	v_add_u32_e32 v49, v50, v49
	s_nop 1
	v_mov_b32_dpp v50, v49 row_shr:2 row_mask:0xf bank_mask:0xf
	v_cndmask_b32_e64 v50, 0, v50, s[24:25]
	v_add_u32_e32 v49, v49, v50
	ds_write_b32 v48, v49
.LBB88_31:                              ;   in Loop: Header=BB88_19 Depth=1
	s_or_b64 exec, exec, s[26:27]
	v_mov_b32_e32 v48, 0
	s_waitcnt lgkmcnt(0)
	s_barrier
	s_and_saveexec_b64 s[26:27], s[16:17]
	s_cbranch_execz .LBB88_33
; %bb.32:                               ;   in Loop: Header=BB88_19 Depth=1
	ds_read_b32 v48, v33
.LBB88_33:                              ;   in Loop: Header=BB88_19 Depth=1
	s_or_b64 exec, exec, s[26:27]
	s_waitcnt lgkmcnt(0)
	v_add_u32_e32 v3, v48, v3
	ds_bpermute_b32 v3, v31, v3
	s_add_i32 s36, s36, 8
	s_cmp_ge_u32 s36, s40
	s_waitcnt lgkmcnt(0)
	v_cndmask_b32_e64 v3, v3, v48, s[18:19]
	v_cndmask_b32_e64 v48, v3, 0, s[20:21]
	v_add_u32_e32 v49, v48, v0
	v_add_u32_e32 v0, v49, v1
	;; [unrolled: 1-line block ×3, first 2 shown]
	ds_write2_b64 v28, v[48:49], v[0:1] offset0:2 offset1:3
	s_waitcnt lgkmcnt(0)
	s_barrier
	ds_read_b32 v0, v20
	ds_read_b32 v1, v23
	;; [unrolled: 1-line block ×4, first 2 shown]
	s_waitcnt lgkmcnt(0)
	v_add_u32_e32 v48, v0, v21
	v_add3_u32 v47, v24, v22, v1
	v_add3_u32 v1, v27, v25, v2
	;; [unrolled: 1-line block ×3, first 2 shown]
	v_lshlrev_b32_e32 v52, 2, v48
	v_lshlrev_b32_e32 v51, 2, v47
	;; [unrolled: 1-line block ×4, first 2 shown]
	s_cbranch_scc0 .LBB88_18
; %bb.34:
                                        ; implicit-def: $vgpr46
                                        ; implicit-def: $vgpr19
                                        ; implicit-def: $vgpr3
                                        ; implicit-def: $vgpr2
                                        ; implicit-def: $sgpr36
                                        ; implicit-def: $vgpr20_vgpr21
                                        ; implicit-def: $vgpr22_vgpr23
                                        ; implicit-def: $vgpr24_vgpr25
                                        ; implicit-def: $vgpr26_vgpr27
.LBB88_35:
	v_add_u32_e32 v2, v28, v30
	s_barrier
	ds_write_b32 v52, v45
	ds_write_b32 v51, v44
	;; [unrolled: 1-line block ×4, first 2 shown]
	s_waitcnt lgkmcnt(0)
	s_barrier
	ds_read2st64_b32 v[10:11], v9 offset0:4 offset1:8
	ds_read_b32 v18, v2
	ds_read_b32 v19, v9 offset:3072
	v_lshl_add_u32 v2, v48, 2, v52
	s_waitcnt lgkmcnt(0)
	s_barrier
	ds_write_b64 v2, v[16:17]
	v_lshl_add_u32 v2, v47, 2, v51
	v_lshl_add_u32 v1, v1, 2, v50
	;; [unrolled: 1-line block ×3, first 2 shown]
	ds_write_b64 v2, v[14:15]
	ds_write_b64 v1, v[12:13]
	;; [unrolled: 1-line block ×3, first 2 shown]
	v_add_u32_e32 v0, v9, v9
	s_waitcnt lgkmcnt(0)
	s_barrier
	ds_read2st64_b64 v[4:7], v0 offset1:4
	ds_read2st64_b64 v[0:3], v0 offset0:8 offset1:12
	s_add_u32 s0, s38, s34
	s_addc_u32 s1, s39, s35
	v_xor_b32_e32 v15, 0x80000000, v10
	v_xor_b32_e32 v14, 0x80000000, v11
	v_mov_b32_e32 v11, s1
	v_add_co_u32_e32 v10, vcc, s0, v9
	v_addc_co_u32_e32 v11, vcc, 0, v11, vcc
	v_xor_b32_e32 v16, 0x80000000, v18
	v_xor_b32_e32 v13, 0x80000000, v19
	s_andn2_b64 vcc, exec, s[30:31]
	v_lshlrev_b32_e32 v12, 3, v8
	s_cbranch_vccnz .LBB88_37
; %bb.36:
	s_lshl_b64 s[0:1], s[28:29], 3
	s_add_u32 s0, s42, s0
	s_addc_u32 s1, s43, s1
	v_mov_b32_e32 v9, s1
	v_add_co_u32_e32 v17, vcc, s0, v12
	v_addc_co_u32_e32 v9, vcc, 0, v9, vcc
	v_add_co_u32_e32 v18, vcc, 0x1000, v17
	global_store_dword v[10:11], v16, off
	global_store_dword v[10:11], v15, off offset:1024
	global_store_dword v[10:11], v14, off offset:2048
	;; [unrolled: 1-line block ×3, first 2 shown]
	s_waitcnt lgkmcnt(1)
	global_store_dwordx2 v12, v[4:5], s[0:1]
	global_store_dwordx2 v12, v[6:7], s[0:1] offset:2048
	v_addc_co_u32_e32 v19, vcc, 0, v9, vcc
	s_mov_b64 s[6:7], -1
	s_waitcnt lgkmcnt(0)
	global_store_dwordx2 v[18:19], v[0:1], off
	s_cbranch_execz .LBB88_38
	s_branch .LBB88_51
.LBB88_37:
	s_mov_b64 s[6:7], 0
.LBB88_38:
	v_cmp_gt_u32_e32 vcc, s33, v8
	s_and_saveexec_b64 s[0:1], vcc
	s_cbranch_execz .LBB88_40
; %bb.39:
	global_store_dword v[10:11], v16, off
.LBB88_40:
	s_or_b64 exec, exec, s[0:1]
	v_add_u32_e32 v9, 0x100, v8
	v_cmp_gt_u32_e64 s[0:1], s33, v9
	s_and_saveexec_b64 s[2:3], s[0:1]
	s_cbranch_execz .LBB88_42
; %bb.41:
	global_store_dword v[10:11], v15, off offset:1024
.LBB88_42:
	s_or_b64 exec, exec, s[2:3]
	v_add_u32_e32 v9, 0x200, v8
	v_cmp_gt_u32_e64 s[2:3], s33, v9
	s_and_saveexec_b64 s[4:5], s[2:3]
	s_cbranch_execz .LBB88_44
; %bb.43:
	global_store_dword v[10:11], v14, off offset:2048
.LBB88_44:
	s_or_b64 exec, exec, s[4:5]
	v_add_u32_e32 v8, 0x300, v8
	v_cmp_gt_u32_e64 s[6:7], s33, v8
	s_and_saveexec_b64 s[4:5], s[6:7]
	s_cbranch_execz .LBB88_46
; %bb.45:
	global_store_dword v[10:11], v13, off offset:3072
.LBB88_46:
	s_or_b64 exec, exec, s[4:5]
	s_lshl_b64 s[4:5], s[28:29], 3
	s_add_u32 s4, s42, s4
	s_addc_u32 s5, s43, s5
	v_mov_b32_e32 v9, s5
	v_add_co_u32_e64 v8, s[4:5], s4, v12
	v_addc_co_u32_e64 v9, s[4:5], 0, v9, s[4:5]
	s_and_saveexec_b64 s[4:5], vcc
	s_cbranch_execnz .LBB88_57
; %bb.47:
	s_or_b64 exec, exec, s[4:5]
	s_and_saveexec_b64 s[4:5], s[0:1]
	s_cbranch_execnz .LBB88_58
.LBB88_48:
	s_or_b64 exec, exec, s[4:5]
	s_and_saveexec_b64 s[0:1], s[2:3]
	s_cbranch_execz .LBB88_50
.LBB88_49:
	s_waitcnt lgkmcnt(1)
	v_add_co_u32_e32 v4, vcc, 0x1000, v8
	v_addc_co_u32_e32 v5, vcc, 0, v9, vcc
	s_waitcnt lgkmcnt(0)
	global_store_dwordx2 v[4:5], v[0:1], off
.LBB88_50:
	s_or_b64 exec, exec, s[0:1]
.LBB88_51:
	s_and_saveexec_b64 s[0:1], s[6:7]
	s_cbranch_execnz .LBB88_53
; %bb.52:
	s_endpgm
.LBB88_53:
	s_lshl_b64 s[0:1], s[28:29], 3
	s_add_u32 s0, s42, s0
	s_addc_u32 s1, s43, s1
	s_waitcnt lgkmcnt(0)
	v_mov_b32_e32 v0, s1
	v_add_co_u32_e32 v1, vcc, s0, v12
	v_addc_co_u32_e32 v4, vcc, 0, v0, vcc
	v_add_co_u32_e32 v0, vcc, 0x1000, v1
	v_addc_co_u32_e32 v1, vcc, 0, v4, vcc
	global_store_dwordx2 v[0:1], v[2:3], off offset:2048
	s_endpgm
.LBB88_54:
	global_load_dwordx2 v[20:21], v[6:7], off
	s_or_b64 exec, exec, s[8:9]
                                        ; implicit-def: $vgpr22_vgpr23
	s_and_saveexec_b64 s[8:9], s[0:1]
	s_cbranch_execz .LBB88_13
.LBB88_55:
	global_load_dwordx2 v[22:23], v[6:7], off offset:512
	s_or_b64 exec, exec, s[8:9]
                                        ; implicit-def: $vgpr24_vgpr25
	s_and_saveexec_b64 s[0:1], s[2:3]
	s_cbranch_execz .LBB88_14
.LBB88_56:
	global_load_dwordx2 v[24:25], v[6:7], off offset:1024
	s_or_b64 exec, exec, s[0:1]
                                        ; implicit-def: $vgpr26_vgpr27
	s_and_saveexec_b64 s[0:1], s[6:7]
	s_cbranch_execnz .LBB88_15
	s_branch .LBB88_16
.LBB88_57:
	s_waitcnt lgkmcnt(1)
	global_store_dwordx2 v[8:9], v[4:5], off
	s_or_b64 exec, exec, s[4:5]
	s_and_saveexec_b64 s[4:5], s[0:1]
	s_cbranch_execz .LBB88_48
.LBB88_58:
	s_waitcnt lgkmcnt(1)
	global_store_dwordx2 v[8:9], v[6:7], off offset:2048
	s_or_b64 exec, exec, s[4:5]
	s_and_saveexec_b64 s[0:1], s[2:3]
	s_cbranch_execnz .LBB88_49
	s_branch .LBB88_50
	.section	.rodata,"a",@progbits
	.p2align	6, 0x0
	.amdhsa_kernel _ZN7rocprim17ROCPRIM_304000_NS6detail28radix_sort_block_sort_kernelINS1_36wrapped_radix_sort_block_sort_configINS0_13kernel_configILj256ELj4ELj4294967295EEEiN2at4cuda3cub6detail10OpaqueTypeILi8EEEEELb0EPKiPiPKSB_PSB_NS0_19identity_decomposerEEEvT1_T2_T3_T4_jT5_jj
		.amdhsa_group_segment_fixed_size 8192
		.amdhsa_private_segment_fixed_size 0
		.amdhsa_kernarg_size 304
		.amdhsa_user_sgpr_count 6
		.amdhsa_user_sgpr_private_segment_buffer 1
		.amdhsa_user_sgpr_dispatch_ptr 0
		.amdhsa_user_sgpr_queue_ptr 0
		.amdhsa_user_sgpr_kernarg_segment_ptr 1
		.amdhsa_user_sgpr_dispatch_id 0
		.amdhsa_user_sgpr_flat_scratch_init 0
		.amdhsa_user_sgpr_kernarg_preload_length 0
		.amdhsa_user_sgpr_kernarg_preload_offset 0
		.amdhsa_user_sgpr_private_segment_size 0
		.amdhsa_uses_dynamic_stack 0
		.amdhsa_system_sgpr_private_segment_wavefront_offset 0
		.amdhsa_system_sgpr_workgroup_id_x 1
		.amdhsa_system_sgpr_workgroup_id_y 0
		.amdhsa_system_sgpr_workgroup_id_z 0
		.amdhsa_system_sgpr_workgroup_info 0
		.amdhsa_system_vgpr_workitem_id 2
		.amdhsa_next_free_vgpr 53
		.amdhsa_next_free_sgpr 46
		.amdhsa_accum_offset 56
		.amdhsa_reserve_vcc 1
		.amdhsa_reserve_flat_scratch 0
		.amdhsa_float_round_mode_32 0
		.amdhsa_float_round_mode_16_64 0
		.amdhsa_float_denorm_mode_32 3
		.amdhsa_float_denorm_mode_16_64 3
		.amdhsa_dx10_clamp 1
		.amdhsa_ieee_mode 1
		.amdhsa_fp16_overflow 0
		.amdhsa_tg_split 0
		.amdhsa_exception_fp_ieee_invalid_op 0
		.amdhsa_exception_fp_denorm_src 0
		.amdhsa_exception_fp_ieee_div_zero 0
		.amdhsa_exception_fp_ieee_overflow 0
		.amdhsa_exception_fp_ieee_underflow 0
		.amdhsa_exception_fp_ieee_inexact 0
		.amdhsa_exception_int_div_zero 0
	.end_amdhsa_kernel
	.section	.text._ZN7rocprim17ROCPRIM_304000_NS6detail28radix_sort_block_sort_kernelINS1_36wrapped_radix_sort_block_sort_configINS0_13kernel_configILj256ELj4ELj4294967295EEEiN2at4cuda3cub6detail10OpaqueTypeILi8EEEEELb0EPKiPiPKSB_PSB_NS0_19identity_decomposerEEEvT1_T2_T3_T4_jT5_jj,"axG",@progbits,_ZN7rocprim17ROCPRIM_304000_NS6detail28radix_sort_block_sort_kernelINS1_36wrapped_radix_sort_block_sort_configINS0_13kernel_configILj256ELj4ELj4294967295EEEiN2at4cuda3cub6detail10OpaqueTypeILi8EEEEELb0EPKiPiPKSB_PSB_NS0_19identity_decomposerEEEvT1_T2_T3_T4_jT5_jj,comdat
.Lfunc_end88:
	.size	_ZN7rocprim17ROCPRIM_304000_NS6detail28radix_sort_block_sort_kernelINS1_36wrapped_radix_sort_block_sort_configINS0_13kernel_configILj256ELj4ELj4294967295EEEiN2at4cuda3cub6detail10OpaqueTypeILi8EEEEELb0EPKiPiPKSB_PSB_NS0_19identity_decomposerEEEvT1_T2_T3_T4_jT5_jj, .Lfunc_end88-_ZN7rocprim17ROCPRIM_304000_NS6detail28radix_sort_block_sort_kernelINS1_36wrapped_radix_sort_block_sort_configINS0_13kernel_configILj256ELj4ELj4294967295EEEiN2at4cuda3cub6detail10OpaqueTypeILi8EEEEELb0EPKiPiPKSB_PSB_NS0_19identity_decomposerEEEvT1_T2_T3_T4_jT5_jj
                                        ; -- End function
	.section	.AMDGPU.csdata,"",@progbits
; Kernel info:
; codeLenInByte = 3888
; NumSgprs: 50
; NumVgprs: 53
; NumAgprs: 0
; TotalNumVgprs: 53
; ScratchSize: 0
; MemoryBound: 0
; FloatMode: 240
; IeeeMode: 1
; LDSByteSize: 8192 bytes/workgroup (compile time only)
; SGPRBlocks: 6
; VGPRBlocks: 6
; NumSGPRsForWavesPerEU: 50
; NumVGPRsForWavesPerEU: 53
; AccumOffset: 56
; Occupancy: 8
; WaveLimiterHint : 1
; COMPUTE_PGM_RSRC2:SCRATCH_EN: 0
; COMPUTE_PGM_RSRC2:USER_SGPR: 6
; COMPUTE_PGM_RSRC2:TRAP_HANDLER: 0
; COMPUTE_PGM_RSRC2:TGID_X_EN: 1
; COMPUTE_PGM_RSRC2:TGID_Y_EN: 0
; COMPUTE_PGM_RSRC2:TGID_Z_EN: 0
; COMPUTE_PGM_RSRC2:TIDIG_COMP_CNT: 2
; COMPUTE_PGM_RSRC3_GFX90A:ACCUM_OFFSET: 13
; COMPUTE_PGM_RSRC3_GFX90A:TG_SPLIT: 0
	.section	.text._ZN7rocprim17ROCPRIM_304000_NS6detail45device_block_merge_mergepath_partition_kernelINS1_37wrapped_merge_sort_block_merge_configINS0_14default_configEiN2at4cuda3cub6detail10OpaqueTypeILi8EEEEEPijNS1_19radix_merge_compareILb0ELb0EiNS0_19identity_decomposerEEEEEvT0_T1_jPSH_T2_SH_,"axG",@progbits,_ZN7rocprim17ROCPRIM_304000_NS6detail45device_block_merge_mergepath_partition_kernelINS1_37wrapped_merge_sort_block_merge_configINS0_14default_configEiN2at4cuda3cub6detail10OpaqueTypeILi8EEEEEPijNS1_19radix_merge_compareILb0ELb0EiNS0_19identity_decomposerEEEEEvT0_T1_jPSH_T2_SH_,comdat
	.protected	_ZN7rocprim17ROCPRIM_304000_NS6detail45device_block_merge_mergepath_partition_kernelINS1_37wrapped_merge_sort_block_merge_configINS0_14default_configEiN2at4cuda3cub6detail10OpaqueTypeILi8EEEEEPijNS1_19radix_merge_compareILb0ELb0EiNS0_19identity_decomposerEEEEEvT0_T1_jPSH_T2_SH_ ; -- Begin function _ZN7rocprim17ROCPRIM_304000_NS6detail45device_block_merge_mergepath_partition_kernelINS1_37wrapped_merge_sort_block_merge_configINS0_14default_configEiN2at4cuda3cub6detail10OpaqueTypeILi8EEEEEPijNS1_19radix_merge_compareILb0ELb0EiNS0_19identity_decomposerEEEEEvT0_T1_jPSH_T2_SH_
	.globl	_ZN7rocprim17ROCPRIM_304000_NS6detail45device_block_merge_mergepath_partition_kernelINS1_37wrapped_merge_sort_block_merge_configINS0_14default_configEiN2at4cuda3cub6detail10OpaqueTypeILi8EEEEEPijNS1_19radix_merge_compareILb0ELb0EiNS0_19identity_decomposerEEEEEvT0_T1_jPSH_T2_SH_
	.p2align	8
	.type	_ZN7rocprim17ROCPRIM_304000_NS6detail45device_block_merge_mergepath_partition_kernelINS1_37wrapped_merge_sort_block_merge_configINS0_14default_configEiN2at4cuda3cub6detail10OpaqueTypeILi8EEEEEPijNS1_19radix_merge_compareILb0ELb0EiNS0_19identity_decomposerEEEEEvT0_T1_jPSH_T2_SH_,@function
_ZN7rocprim17ROCPRIM_304000_NS6detail45device_block_merge_mergepath_partition_kernelINS1_37wrapped_merge_sort_block_merge_configINS0_14default_configEiN2at4cuda3cub6detail10OpaqueTypeILi8EEEEEPijNS1_19radix_merge_compareILb0ELb0EiNS0_19identity_decomposerEEEEEvT0_T1_jPSH_T2_SH_: ; @_ZN7rocprim17ROCPRIM_304000_NS6detail45device_block_merge_mergepath_partition_kernelINS1_37wrapped_merge_sort_block_merge_configINS0_14default_configEiN2at4cuda3cub6detail10OpaqueTypeILi8EEEEEPijNS1_19radix_merge_compareILb0ELb0EiNS0_19identity_decomposerEEEEEvT0_T1_jPSH_T2_SH_
; %bb.0:
	s_load_dwordx2 s[0:1], s[4:5], 0x8
	v_lshl_or_b32 v0, s6, 7, v0
	s_waitcnt lgkmcnt(0)
	v_cmp_gt_u32_e32 vcc, s1, v0
	s_and_saveexec_b64 s[2:3], vcc
	s_cbranch_execz .LBB89_6
; %bb.1:
	s_load_dword s1, s[4:5], 0x1c
	s_waitcnt lgkmcnt(0)
	s_lshr_b32 s2, s1, 9
	s_and_b32 s2, s2, 0x7ffffe
	s_add_i32 s3, s2, -1
	s_sub_i32 s2, 0, s2
	v_and_b32_e32 v1, s2, v0
	v_and_b32_e32 v2, s3, v0
	v_lshlrev_b32_e32 v1, 10, v1
	v_lshlrev_b32_e32 v3, 10, v2
	v_min_u32_e32 v2, s0, v1
	v_add_u32_e32 v1, s1, v1
	v_min_u32_e32 v4, s0, v1
	v_add_u32_e32 v1, s1, v4
	v_min_u32_e32 v1, s0, v1
	v_sub_u32_e32 v5, v1, v2
	v_min_u32_e32 v6, v5, v3
	v_sub_u32_e32 v3, v4, v2
	v_sub_u32_e32 v1, v1, v4
	v_sub_u32_e64 v1, v6, v1 clamp
	v_min_u32_e32 v7, v6, v3
	v_cmp_lt_u32_e32 vcc, v1, v7
	s_and_saveexec_b64 s[0:1], vcc
	s_cbranch_execz .LBB89_5
; %bb.2:
	s_load_dwordx2 s[2:3], s[4:5], 0x0
	v_mov_b32_e32 v5, 0
	v_mov_b32_e32 v3, v5
	v_lshlrev_b64 v[8:9], 2, v[2:3]
	v_lshlrev_b64 v[10:11], 2, v[4:5]
	s_waitcnt lgkmcnt(0)
	v_mov_b32_e32 v12, s3
	v_add_co_u32_e32 v3, vcc, s2, v8
	v_addc_co_u32_e32 v8, vcc, v12, v9, vcc
	v_add_co_u32_e32 v9, vcc, s2, v10
	v_addc_co_u32_e32 v10, vcc, v12, v11, vcc
	s_mov_b64 s[2:3], 0
.LBB89_3:                               ; =>This Inner Loop Header: Depth=1
	v_add_u32_e32 v4, v7, v1
	v_lshrrev_b32_e32 v4, 1, v4
	v_lshlrev_b64 v[14:15], 2, v[4:5]
	v_mov_b32_e32 v13, v5
	v_xad_u32 v12, v4, -1, v6
	v_add_co_u32_e32 v14, vcc, v3, v14
	v_addc_co_u32_e32 v15, vcc, v8, v15, vcc
	v_lshlrev_b64 v[12:13], 2, v[12:13]
	v_add_co_u32_e32 v12, vcc, v9, v12
	v_addc_co_u32_e32 v13, vcc, v10, v13, vcc
	global_load_dword v11, v[14:15], off
	global_load_dword v16, v[12:13], off
	v_add_u32_e32 v12, 1, v4
	s_waitcnt vmcnt(0)
	v_cmp_gt_i32_e32 vcc, v11, v16
	v_cndmask_b32_e32 v7, v7, v4, vcc
	v_cndmask_b32_e32 v1, v12, v1, vcc
	v_cmp_ge_u32_e32 vcc, v1, v7
	s_or_b64 s[2:3], vcc, s[2:3]
	s_andn2_b64 exec, exec, s[2:3]
	s_cbranch_execnz .LBB89_3
; %bb.4:
	s_or_b64 exec, exec, s[2:3]
.LBB89_5:
	s_or_b64 exec, exec, s[0:1]
	s_load_dwordx2 s[0:1], s[4:5], 0x10
	v_add_u32_e32 v2, v1, v2
	v_mov_b32_e32 v1, 0
	v_lshlrev_b64 v[0:1], 2, v[0:1]
	s_waitcnt lgkmcnt(0)
	v_mov_b32_e32 v3, s1
	v_add_co_u32_e32 v0, vcc, s0, v0
	v_addc_co_u32_e32 v1, vcc, v3, v1, vcc
	global_store_dword v[0:1], v2, off
.LBB89_6:
	s_endpgm
	.section	.rodata,"a",@progbits
	.p2align	6, 0x0
	.amdhsa_kernel _ZN7rocprim17ROCPRIM_304000_NS6detail45device_block_merge_mergepath_partition_kernelINS1_37wrapped_merge_sort_block_merge_configINS0_14default_configEiN2at4cuda3cub6detail10OpaqueTypeILi8EEEEEPijNS1_19radix_merge_compareILb0ELb0EiNS0_19identity_decomposerEEEEEvT0_T1_jPSH_T2_SH_
		.amdhsa_group_segment_fixed_size 0
		.amdhsa_private_segment_fixed_size 0
		.amdhsa_kernarg_size 32
		.amdhsa_user_sgpr_count 6
		.amdhsa_user_sgpr_private_segment_buffer 1
		.amdhsa_user_sgpr_dispatch_ptr 0
		.amdhsa_user_sgpr_queue_ptr 0
		.amdhsa_user_sgpr_kernarg_segment_ptr 1
		.amdhsa_user_sgpr_dispatch_id 0
		.amdhsa_user_sgpr_flat_scratch_init 0
		.amdhsa_user_sgpr_kernarg_preload_length 0
		.amdhsa_user_sgpr_kernarg_preload_offset 0
		.amdhsa_user_sgpr_private_segment_size 0
		.amdhsa_uses_dynamic_stack 0
		.amdhsa_system_sgpr_private_segment_wavefront_offset 0
		.amdhsa_system_sgpr_workgroup_id_x 1
		.amdhsa_system_sgpr_workgroup_id_y 0
		.amdhsa_system_sgpr_workgroup_id_z 0
		.amdhsa_system_sgpr_workgroup_info 0
		.amdhsa_system_vgpr_workitem_id 0
		.amdhsa_next_free_vgpr 17
		.amdhsa_next_free_sgpr 7
		.amdhsa_accum_offset 20
		.amdhsa_reserve_vcc 1
		.amdhsa_reserve_flat_scratch 0
		.amdhsa_float_round_mode_32 0
		.amdhsa_float_round_mode_16_64 0
		.amdhsa_float_denorm_mode_32 3
		.amdhsa_float_denorm_mode_16_64 3
		.amdhsa_dx10_clamp 1
		.amdhsa_ieee_mode 1
		.amdhsa_fp16_overflow 0
		.amdhsa_tg_split 0
		.amdhsa_exception_fp_ieee_invalid_op 0
		.amdhsa_exception_fp_denorm_src 0
		.amdhsa_exception_fp_ieee_div_zero 0
		.amdhsa_exception_fp_ieee_overflow 0
		.amdhsa_exception_fp_ieee_underflow 0
		.amdhsa_exception_fp_ieee_inexact 0
		.amdhsa_exception_int_div_zero 0
	.end_amdhsa_kernel
	.section	.text._ZN7rocprim17ROCPRIM_304000_NS6detail45device_block_merge_mergepath_partition_kernelINS1_37wrapped_merge_sort_block_merge_configINS0_14default_configEiN2at4cuda3cub6detail10OpaqueTypeILi8EEEEEPijNS1_19radix_merge_compareILb0ELb0EiNS0_19identity_decomposerEEEEEvT0_T1_jPSH_T2_SH_,"axG",@progbits,_ZN7rocprim17ROCPRIM_304000_NS6detail45device_block_merge_mergepath_partition_kernelINS1_37wrapped_merge_sort_block_merge_configINS0_14default_configEiN2at4cuda3cub6detail10OpaqueTypeILi8EEEEEPijNS1_19radix_merge_compareILb0ELb0EiNS0_19identity_decomposerEEEEEvT0_T1_jPSH_T2_SH_,comdat
.Lfunc_end89:
	.size	_ZN7rocprim17ROCPRIM_304000_NS6detail45device_block_merge_mergepath_partition_kernelINS1_37wrapped_merge_sort_block_merge_configINS0_14default_configEiN2at4cuda3cub6detail10OpaqueTypeILi8EEEEEPijNS1_19radix_merge_compareILb0ELb0EiNS0_19identity_decomposerEEEEEvT0_T1_jPSH_T2_SH_, .Lfunc_end89-_ZN7rocprim17ROCPRIM_304000_NS6detail45device_block_merge_mergepath_partition_kernelINS1_37wrapped_merge_sort_block_merge_configINS0_14default_configEiN2at4cuda3cub6detail10OpaqueTypeILi8EEEEEPijNS1_19radix_merge_compareILb0ELb0EiNS0_19identity_decomposerEEEEEvT0_T1_jPSH_T2_SH_
                                        ; -- End function
	.section	.AMDGPU.csdata,"",@progbits
; Kernel info:
; codeLenInByte = 364
; NumSgprs: 11
; NumVgprs: 17
; NumAgprs: 0
; TotalNumVgprs: 17
; ScratchSize: 0
; MemoryBound: 0
; FloatMode: 240
; IeeeMode: 1
; LDSByteSize: 0 bytes/workgroup (compile time only)
; SGPRBlocks: 1
; VGPRBlocks: 2
; NumSGPRsForWavesPerEU: 11
; NumVGPRsForWavesPerEU: 17
; AccumOffset: 20
; Occupancy: 8
; WaveLimiterHint : 0
; COMPUTE_PGM_RSRC2:SCRATCH_EN: 0
; COMPUTE_PGM_RSRC2:USER_SGPR: 6
; COMPUTE_PGM_RSRC2:TRAP_HANDLER: 0
; COMPUTE_PGM_RSRC2:TGID_X_EN: 1
; COMPUTE_PGM_RSRC2:TGID_Y_EN: 0
; COMPUTE_PGM_RSRC2:TGID_Z_EN: 0
; COMPUTE_PGM_RSRC2:TIDIG_COMP_CNT: 0
; COMPUTE_PGM_RSRC3_GFX90A:ACCUM_OFFSET: 4
; COMPUTE_PGM_RSRC3_GFX90A:TG_SPLIT: 0
	.section	.text._ZN7rocprim17ROCPRIM_304000_NS6detail35device_block_merge_mergepath_kernelINS1_37wrapped_merge_sort_block_merge_configINS0_14default_configEiN2at4cuda3cub6detail10OpaqueTypeILi8EEEEEPiSC_PSA_SD_jNS1_19radix_merge_compareILb0ELb0EiNS0_19identity_decomposerEEEEEvT0_T1_T2_T3_T4_SL_jT5_PKSL_NS1_7vsmem_tE,"axG",@progbits,_ZN7rocprim17ROCPRIM_304000_NS6detail35device_block_merge_mergepath_kernelINS1_37wrapped_merge_sort_block_merge_configINS0_14default_configEiN2at4cuda3cub6detail10OpaqueTypeILi8EEEEEPiSC_PSA_SD_jNS1_19radix_merge_compareILb0ELb0EiNS0_19identity_decomposerEEEEEvT0_T1_T2_T3_T4_SL_jT5_PKSL_NS1_7vsmem_tE,comdat
	.protected	_ZN7rocprim17ROCPRIM_304000_NS6detail35device_block_merge_mergepath_kernelINS1_37wrapped_merge_sort_block_merge_configINS0_14default_configEiN2at4cuda3cub6detail10OpaqueTypeILi8EEEEEPiSC_PSA_SD_jNS1_19radix_merge_compareILb0ELb0EiNS0_19identity_decomposerEEEEEvT0_T1_T2_T3_T4_SL_jT5_PKSL_NS1_7vsmem_tE ; -- Begin function _ZN7rocprim17ROCPRIM_304000_NS6detail35device_block_merge_mergepath_kernelINS1_37wrapped_merge_sort_block_merge_configINS0_14default_configEiN2at4cuda3cub6detail10OpaqueTypeILi8EEEEEPiSC_PSA_SD_jNS1_19radix_merge_compareILb0ELb0EiNS0_19identity_decomposerEEEEEvT0_T1_T2_T3_T4_SL_jT5_PKSL_NS1_7vsmem_tE
	.globl	_ZN7rocprim17ROCPRIM_304000_NS6detail35device_block_merge_mergepath_kernelINS1_37wrapped_merge_sort_block_merge_configINS0_14default_configEiN2at4cuda3cub6detail10OpaqueTypeILi8EEEEEPiSC_PSA_SD_jNS1_19radix_merge_compareILb0ELb0EiNS0_19identity_decomposerEEEEEvT0_T1_T2_T3_T4_SL_jT5_PKSL_NS1_7vsmem_tE
	.p2align	8
	.type	_ZN7rocprim17ROCPRIM_304000_NS6detail35device_block_merge_mergepath_kernelINS1_37wrapped_merge_sort_block_merge_configINS0_14default_configEiN2at4cuda3cub6detail10OpaqueTypeILi8EEEEEPiSC_PSA_SD_jNS1_19radix_merge_compareILb0ELb0EiNS0_19identity_decomposerEEEEEvT0_T1_T2_T3_T4_SL_jT5_PKSL_NS1_7vsmem_tE,@function
_ZN7rocprim17ROCPRIM_304000_NS6detail35device_block_merge_mergepath_kernelINS1_37wrapped_merge_sort_block_merge_configINS0_14default_configEiN2at4cuda3cub6detail10OpaqueTypeILi8EEEEEPiSC_PSA_SD_jNS1_19radix_merge_compareILb0ELb0EiNS0_19identity_decomposerEEEEEvT0_T1_T2_T3_T4_SL_jT5_PKSL_NS1_7vsmem_tE: ; @_ZN7rocprim17ROCPRIM_304000_NS6detail35device_block_merge_mergepath_kernelINS1_37wrapped_merge_sort_block_merge_configINS0_14default_configEiN2at4cuda3cub6detail10OpaqueTypeILi8EEEEEPiSC_PSA_SD_jNS1_19radix_merge_compareILb0ELb0EiNS0_19identity_decomposerEEEEEvT0_T1_T2_T3_T4_SL_jT5_PKSL_NS1_7vsmem_tE
; %bb.0:
	s_load_dwordx2 s[26:27], s[4:5], 0x40
	s_load_dwordx4 s[16:19], s[4:5], 0x20
	s_add_u32 s2, s4, 64
	s_addc_u32 s3, s5, 0
	s_waitcnt lgkmcnt(0)
	s_mul_i32 s0, s27, s8
	s_add_i32 s0, s0, s7
	s_mul_i32 s0, s0, s26
	s_add_i32 s0, s0, s6
	s_cmp_ge_u32 s0, s18
	s_cbranch_scc1 .LBB90_69
; %bb.1:
	s_load_dwordx8 s[8:15], s[4:5], 0x0
	s_load_dwordx2 s[18:19], s[4:5], 0x30
	s_lshr_b32 s29, s16, 10
	s_cmp_lg_u32 s0, s29
	s_mov_b32 s1, 0
	s_cselect_b64 s[20:21], -1, 0
	s_lshl_b64 s[4:5], s[0:1], 2
	s_waitcnt lgkmcnt(0)
	s_add_u32 s4, s18, s4
	s_addc_u32 s5, s19, s5
	s_load_dwordx2 s[22:23], s[4:5], 0x0
	s_lshr_b32 s4, s17, 9
	s_and_b32 s4, s4, 0x7ffffe
	s_sub_i32 s4, 0, s4
	s_and_b32 s5, s0, s4
	s_lshl_b32 s7, s5, 10
	s_lshl_b32 s18, s0, 10
	;; [unrolled: 1-line block ×3, first 2 shown]
	s_sub_i32 s19, s18, s7
	s_add_i32 s5, s5, s17
	s_add_i32 s19, s5, s19
	s_waitcnt lgkmcnt(0)
	s_sub_i32 s24, s19, s22
	s_sub_i32 s19, s19, s23
	;; [unrolled: 1-line block ×3, first 2 shown]
	s_min_u32 s24, s16, s24
	s_addk_i32 s19, 0x400
	s_or_b32 s4, s0, s4
	s_min_u32 s7, s16, s5
	s_add_i32 s5, s5, s17
	s_cmp_eq_u32 s4, -1
	s_cselect_b32 s4, s5, s19
	s_cselect_b32 s5, s7, s23
	s_min_u32 s4, s4, s16
	s_mov_b32 s23, s1
	s_sub_i32 s19, s5, s22
	s_sub_i32 s27, s4, s24
	s_lshl_b64 s[4:5], s[22:23], 2
	s_add_u32 s7, s8, s4
	s_mov_b32 s25, s1
	s_addc_u32 s28, s9, s5
	s_lshl_b64 s[4:5], s[24:25], 2
	s_add_u32 s4, s8, s4
	s_addc_u32 s5, s9, s5
	s_cmp_lt_u32 s6, s26
	v_mov_b32_e32 v11, 0
	s_cselect_b32 s1, 12, 18
	global_load_dword v1, v11, s[2:3] offset:14
	s_add_u32 s2, s2, s1
	s_addc_u32 s3, s3, 0
	global_load_ushort v2, v11, s[2:3]
	v_cmp_gt_u32_e32 vcc, s19, v0
	s_cmp_eq_u32 s0, s29
	s_waitcnt vmcnt(1)
	v_lshrrev_b32_e32 v3, 16, v1
	v_and_b32_e32 v1, 0xffff, v1
	v_mul_lo_u32 v1, v1, v3
	s_waitcnt vmcnt(0)
	v_mul_lo_u32 v12, v1, v2
	v_add_u32_e32 v8, v12, v0
	v_lshlrev_b32_e32 v1, 2, v0
	v_add_u32_e32 v6, v8, v12
	s_cbranch_scc1 .LBB90_3
; %bb.2:
	v_mov_b32_e32 v2, s28
	v_add_co_u32_e64 v4, s[0:1], s7, v1
	v_subrev_u32_e32 v10, s19, v0
	v_addc_co_u32_e64 v5, s[0:1], 0, v2, s[0:1]
	v_lshlrev_b64 v[2:3], 2, v[10:11]
	v_mov_b32_e32 v7, s5
	v_add_co_u32_e64 v2, s[0:1], s4, v2
	v_addc_co_u32_e64 v3, s[0:1], v7, v3, s[0:1]
	v_mov_b32_e32 v9, v11
	v_cndmask_b32_e32 v3, v3, v5, vcc
	v_cndmask_b32_e32 v2, v2, v4, vcc
	v_lshlrev_b64 v[4:5], 2, v[8:9]
	global_load_dword v2, v[2:3], off
	v_mov_b32_e32 v3, s28
	v_add_co_u32_e32 v7, vcc, s7, v4
	v_subrev_u32_e32 v10, s19, v8
	v_addc_co_u32_e32 v3, vcc, v3, v5, vcc
	v_lshlrev_b64 v[4:5], 2, v[10:11]
	v_mov_b32_e32 v9, s5
	v_add_co_u32_e32 v4, vcc, s4, v4
	v_addc_co_u32_e32 v5, vcc, v9, v5, vcc
	v_cmp_gt_u32_e32 vcc, s19, v8
	v_cndmask_b32_e32 v5, v5, v3, vcc
	v_cndmask_b32_e32 v4, v4, v7, vcc
	v_mov_b32_e32 v7, v11
	global_load_dword v3, v[4:5], off
	v_lshlrev_b64 v[4:5], 2, v[6:7]
	v_mov_b32_e32 v7, s28
	v_add_co_u32_e32 v9, vcc, s7, v4
	v_subrev_u32_e32 v10, s19, v6
	v_addc_co_u32_e32 v7, vcc, v7, v5, vcc
	v_lshlrev_b64 v[4:5], 2, v[10:11]
	v_mov_b32_e32 v10, s5
	v_add_co_u32_e32 v4, vcc, s4, v4
	v_addc_co_u32_e32 v5, vcc, v10, v5, vcc
	v_cmp_gt_u32_e32 vcc, s19, v6
	v_add_u32_e32 v10, v6, v12
	v_cndmask_b32_e32 v5, v5, v7, vcc
	v_cndmask_b32_e32 v4, v4, v9, vcc
	v_lshlrev_b64 v[14:15], 2, v[10:11]
	global_load_dword v4, v[4:5], off
	v_mov_b32_e32 v5, s28
	v_add_co_u32_e32 v7, vcc, s7, v14
	v_addc_co_u32_e32 v5, vcc, v5, v15, vcc
	v_cmp_gt_u32_e32 vcc, s19, v10
	v_subrev_u32_e32 v10, s19, v10
	v_lshlrev_b64 v[10:11], 2, v[10:11]
	v_mov_b32_e32 v9, s5
	v_add_co_u32_e64 v10, s[0:1], s4, v10
	v_addc_co_u32_e64 v9, s[0:1], v9, v11, s[0:1]
	v_cndmask_b32_e32 v11, v9, v5, vcc
	v_cndmask_b32_e32 v10, v10, v7, vcc
	global_load_dword v5, v[10:11], off
	s_add_i32 s17, s27, s19
	s_cbranch_execz .LBB90_4
	s_branch .LBB90_11
.LBB90_3:
                                        ; implicit-def: $vgpr2_vgpr3_vgpr4_vgpr5
                                        ; implicit-def: $sgpr17
.LBB90_4:
	s_add_i32 s17, s27, s19
	v_cmp_gt_u32_e32 vcc, s17, v0
                                        ; implicit-def: $vgpr2_vgpr3_vgpr4_vgpr5
	s_and_saveexec_b64 s[0:1], vcc
	s_cbranch_execnz .LBB90_70
; %bb.5:
	s_or_b64 exec, exec, s[0:1]
	v_cmp_gt_u32_e32 vcc, s17, v8
	s_and_saveexec_b64 s[2:3], vcc
	s_cbranch_execnz .LBB90_71
.LBB90_6:
	s_or_b64 exec, exec, s[2:3]
	v_cmp_gt_u32_e32 vcc, s17, v6
	s_and_saveexec_b64 s[0:1], vcc
	s_cbranch_execz .LBB90_8
.LBB90_7:
	v_mov_b32_e32 v7, 0
	v_lshlrev_b64 v[8:9], 2, v[6:7]
	s_waitcnt vmcnt(1)
	v_mov_b32_e32 v4, s28
	v_add_co_u32_e32 v10, vcc, s7, v8
	v_addc_co_u32_e32 v4, vcc, v4, v9, vcc
	v_subrev_u32_e32 v8, s19, v6
	v_mov_b32_e32 v9, v7
	v_lshlrev_b64 v[8:9], 2, v[8:9]
	v_mov_b32_e32 v7, s5
	v_add_co_u32_e32 v8, vcc, s4, v8
	v_addc_co_u32_e32 v7, vcc, v7, v9, vcc
	v_cmp_gt_u32_e32 vcc, s19, v6
	v_cndmask_b32_e32 v9, v7, v4, vcc
	v_cndmask_b32_e32 v8, v8, v10, vcc
	global_load_dword v4, v[8:9], off
.LBB90_8:
	s_or_b64 exec, exec, s[0:1]
	v_add_u32_e32 v6, v6, v12
	v_cmp_gt_u32_e32 vcc, s17, v6
	s_and_saveexec_b64 s[2:3], vcc
	s_cbranch_execz .LBB90_10
; %bb.9:
	v_mov_b32_e32 v7, 0
	v_lshlrev_b64 v[8:9], 2, v[6:7]
	s_waitcnt vmcnt(0)
	v_mov_b32_e32 v5, s28
	v_add_co_u32_e32 v8, vcc, s7, v8
	v_addc_co_u32_e32 v5, vcc, v5, v9, vcc
	v_cmp_gt_u32_e32 vcc, s19, v6
	v_subrev_u32_e32 v6, s19, v6
	v_lshlrev_b64 v[6:7], 2, v[6:7]
	v_mov_b32_e32 v9, s5
	v_add_co_u32_e64 v6, s[0:1], s4, v6
	v_addc_co_u32_e64 v7, s[0:1], v9, v7, s[0:1]
	v_cndmask_b32_e32 v7, v7, v5, vcc
	v_cndmask_b32_e32 v6, v6, v8, vcc
	global_load_dword v5, v[6:7], off
.LBB90_10:
	s_or_b64 exec, exec, s[2:3]
.LBB90_11:
	v_min_u32_e32 v7, s17, v1
	v_sub_u32_e64 v6, v7, s27 clamp
	v_min_u32_e32 v8, s19, v7
	v_cmp_lt_u32_e32 vcc, v6, v8
	s_waitcnt vmcnt(0)
	ds_write2st64_b32 v1, v2, v3 offset1:4
	ds_write2st64_b32 v1, v4, v5 offset0:8 offset1:12
	s_waitcnt lgkmcnt(0)
	s_barrier
	s_and_saveexec_b64 s[0:1], vcc
	s_cbranch_execz .LBB90_15
; %bb.12:
	v_lshlrev_b32_e32 v9, 2, v7
	v_lshl_add_u32 v9, s19, 2, v9
	s_mov_b64 s[2:3], 0
.LBB90_13:                              ; =>This Inner Loop Header: Depth=1
	v_add_u32_e32 v10, v8, v6
	v_lshrrev_b32_e32 v10, 1, v10
	v_not_b32_e32 v11, v10
	v_lshlrev_b32_e32 v12, 2, v10
	v_lshl_add_u32 v11, v11, 2, v9
	ds_read_b32 v12, v12
	ds_read_b32 v11, v11
	v_add_u32_e32 v13, 1, v10
	s_waitcnt lgkmcnt(0)
	v_cmp_gt_i32_e32 vcc, v12, v11
	v_cndmask_b32_e32 v8, v8, v10, vcc
	v_cndmask_b32_e32 v6, v13, v6, vcc
	v_cmp_ge_u32_e32 vcc, v6, v8
	s_or_b64 s[2:3], vcc, s[2:3]
	s_andn2_b64 exec, exec, s[2:3]
	s_cbranch_execnz .LBB90_13
; %bb.14:
	s_or_b64 exec, exec, s[2:3]
.LBB90_15:
	s_or_b64 exec, exec, s[0:1]
	v_sub_u32_e32 v7, v7, v6
	v_add_u32_e32 v7, s19, v7
	v_cmp_ge_u32_e32 vcc, s19, v6
	v_cmp_ge_u32_e64 s[0:1], s17, v7
	s_or_b64 s[0:1], vcc, s[0:1]
                                        ; implicit-def: $vgpr10
                                        ; implicit-def: $vgpr11
                                        ; implicit-def: $vgpr12
                                        ; implicit-def: $vgpr13
	s_and_saveexec_b64 s[8:9], s[0:1]
	s_cbranch_execz .LBB90_21
; %bb.16:
	v_cmp_gt_u32_e32 vcc, s19, v6
                                        ; implicit-def: $vgpr2
	s_and_saveexec_b64 s[0:1], vcc
	s_cbranch_execz .LBB90_18
; %bb.17:
	v_lshlrev_b32_e32 v2, 2, v6
	ds_read_b32 v2, v2
.LBB90_18:
	s_or_b64 exec, exec, s[0:1]
	v_cmp_le_u32_e64 s[0:1], s17, v7
	v_cmp_gt_u32_e64 s[2:3], s17, v7
                                        ; implicit-def: $vgpr3
	s_and_saveexec_b64 s[4:5], s[2:3]
	s_cbranch_execz .LBB90_20
; %bb.19:
	v_lshlrev_b32_e32 v3, 2, v7
	ds_read_b32 v3, v3
.LBB90_20:
	s_or_b64 exec, exec, s[4:5]
	s_waitcnt lgkmcnt(0)
	v_cmp_le_i32_e64 s[2:3], v2, v3
	s_and_b64 s[2:3], vcc, s[2:3]
	s_or_b64 vcc, s[0:1], s[2:3]
	v_mov_b32_e32 v4, s17
	v_mov_b32_e32 v5, s19
	v_cndmask_b32_e32 v13, v7, v6, vcc
	v_cndmask_b32_e32 v8, v4, v5, vcc
	v_add_u32_e32 v9, 1, v13
	v_add_u32_e32 v8, -1, v8
	v_min_u32_e32 v8, v9, v8
	v_lshlrev_b32_e32 v8, 2, v8
	ds_read_b32 v8, v8
	v_cndmask_b32_e32 v6, v6, v9, vcc
	v_cndmask_b32_e32 v7, v9, v7, vcc
	v_cmp_gt_u32_e64 s[2:3], s19, v6
	v_cmp_le_u32_e64 s[0:1], s17, v7
	s_waitcnt lgkmcnt(0)
	v_cndmask_b32_e32 v10, v8, v3, vcc
	v_cndmask_b32_e32 v8, v2, v8, vcc
	v_cmp_le_i32_e64 s[4:5], v8, v10
	s_and_b64 s[2:3], s[2:3], s[4:5]
	s_or_b64 s[0:1], s[0:1], s[2:3]
	v_cndmask_b32_e64 v12, v7, v6, s[0:1]
	v_cndmask_b32_e64 v9, v4, v5, s[0:1]
	v_add_u32_e32 v11, 1, v12
	v_add_u32_e32 v9, -1, v9
	v_min_u32_e32 v9, v11, v9
	v_lshlrev_b32_e32 v9, 2, v9
	ds_read_b32 v9, v9
	v_cndmask_b32_e64 v6, v6, v11, s[0:1]
	v_cndmask_b32_e64 v7, v11, v7, s[0:1]
	v_cmp_gt_u32_e64 s[4:5], s19, v6
	v_cmp_le_u32_e64 s[2:3], s17, v7
	s_waitcnt lgkmcnt(0)
	v_cndmask_b32_e64 v14, v9, v10, s[0:1]
	v_cndmask_b32_e64 v9, v8, v9, s[0:1]
	v_cmp_le_i32_e64 s[6:7], v9, v14
	s_and_b64 s[4:5], s[4:5], s[6:7]
	s_or_b64 s[2:3], s[2:3], s[4:5]
	v_cndmask_b32_e64 v11, v7, v6, s[2:3]
	v_cndmask_b32_e64 v4, v4, v5, s[2:3]
	v_add_u32_e32 v5, 1, v11
	v_add_u32_e32 v4, -1, v4
	v_min_u32_e32 v4, v5, v4
	v_lshlrev_b32_e32 v4, 2, v4
	ds_read_b32 v15, v4
	v_cndmask_b32_e32 v2, v3, v2, vcc
	v_cndmask_b32_e64 v3, v10, v8, s[0:1]
	v_cndmask_b32_e64 v4, v14, v9, s[2:3]
	;; [unrolled: 1-line block ×3, first 2 shown]
	s_waitcnt lgkmcnt(0)
	v_cndmask_b32_e64 v8, v15, v14, s[2:3]
	v_cndmask_b32_e64 v9, v9, v15, s[2:3]
	v_cndmask_b32_e64 v5, v6, v5, s[2:3]
	v_cmp_gt_u32_e64 s[0:1], s19, v5
	v_cmp_le_i32_e64 s[2:3], v9, v8
	v_cmp_le_u32_e32 vcc, s17, v7
	s_and_b64 s[0:1], s[0:1], s[2:3]
	s_or_b64 vcc, vcc, s[0:1]
	v_cndmask_b32_e32 v10, v7, v5, vcc
	v_cndmask_b32_e32 v5, v8, v9, vcc
.LBB90_21:
	s_or_b64 exec, exec, s[8:9]
	s_lshl_b64 s[0:1], s[22:23], 3
	s_add_u32 s26, s12, s0
	s_addc_u32 s28, s13, s1
	s_lshl_b64 s[0:1], s[24:25], 3
	s_add_u32 s29, s12, s0
	v_cndmask_b32_e64 v6, 0, 1, s[20:21]
	s_addc_u32 s30, s13, s1
	v_cmp_gt_u32_e64 s[4:5], s19, v0
	v_cmp_ne_u32_e64 s[0:1], 1, v6
	s_andn2_b64 vcc, exec, s[20:21]
	v_cmp_le_u32_e64 s[2:3], s19, v0
	s_barrier
	s_cbranch_vccnz .LBB90_23
; %bb.22:
	v_subrev_u32_e32 v6, s19, v0
	v_mov_b32_e32 v7, 0
	v_lshlrev_b64 v[8:9], 3, v[6:7]
	v_mov_b32_e32 v6, s30
	v_add_co_u32_e32 v8, vcc, s29, v8
	v_addc_co_u32_e32 v6, vcc, v6, v9, vcc
	v_lshlrev_b32_e32 v20, 3, v0
	v_mov_b32_e32 v9, s28
	v_add_co_u32_e32 v21, vcc, s26, v20
	v_addc_co_u32_e32 v22, vcc, 0, v9, vcc
	v_cndmask_b32_e64 v9, v6, v22, s[4:5]
	v_cndmask_b32_e64 v8, v8, v21, s[4:5]
	v_or_b32_e32 v16, 0x100, v0
	s_movk_i32 s4, 0x800
	v_add_co_u32_e32 v17, vcc, s4, v21
	v_subrev_u32_e32 v6, s19, v16
	v_addc_co_u32_e32 v18, vcc, 0, v22, vcc
	v_lshlrev_b64 v[14:15], 3, v[6:7]
	v_mov_b32_e32 v6, s30
	v_add_co_u32_e32 v14, vcc, s29, v14
	v_addc_co_u32_e32 v6, vcc, v6, v15, vcc
	v_cmp_gt_u32_e32 vcc, s19, v16
	v_cndmask_b32_e32 v15, v6, v18, vcc
	v_or_b32_e32 v18, 0x200, v0
	s_movk_i32 s4, 0x1000
	v_cndmask_b32_e32 v14, v14, v17, vcc
	v_add_co_u32_e32 v19, vcc, s4, v21
	v_subrev_u32_e32 v6, s19, v18
	global_load_dwordx2 v[16:17], v[14:15], off
	v_addc_co_u32_e32 v23, vcc, 0, v22, vcc
	v_lshlrev_b64 v[14:15], 3, v[6:7]
	v_mov_b32_e32 v6, s30
	v_add_co_u32_e32 v14, vcc, s29, v14
	v_addc_co_u32_e32 v6, vcc, v6, v15, vcc
	v_cmp_gt_u32_e32 vcc, s19, v18
	global_load_dwordx2 v[8:9], v[8:9], off
	v_cndmask_b32_e32 v15, v6, v23, vcc
	v_cndmask_b32_e32 v14, v14, v19, vcc
	global_load_dwordx2 v[18:19], v[14:15], off
	v_or_b32_e32 v14, 0x300, v0
	s_movk_i32 s4, 0x1800
	v_add_co_u32_e32 v21, vcc, s4, v21
	v_subrev_u32_e32 v6, s19, v14
	v_addc_co_u32_e32 v22, vcc, 0, v22, vcc
	v_lshlrev_b64 v[6:7], 3, v[6:7]
	v_mov_b32_e32 v23, s30
	v_add_co_u32_e32 v6, vcc, s29, v6
	v_addc_co_u32_e32 v7, vcc, v23, v7, vcc
	v_cmp_gt_u32_e32 vcc, s19, v14
	v_or_b32_e32 v15, 0x1800, v20
	v_cndmask_b32_e32 v7, v7, v22, vcc
	v_cndmask_b32_e32 v6, v6, v21, vcc
	s_mov_b64 s[4:5], -1
	s_waitcnt vmcnt(1)
	ds_write2st64_b64 v20, v[8:9], v[16:17] offset1:4
	s_waitcnt vmcnt(0)
	ds_write_b64 v20, v[18:19] offset:4096
	s_cbranch_execz .LBB90_24
	s_branch .LBB90_43
.LBB90_23:
	s_mov_b64 s[4:5], 0
                                        ; implicit-def: $vgpr15
                                        ; implicit-def: $vgpr6_vgpr7
.LBB90_24:
	s_mov_b64 s[6:7], 0
                                        ; implicit-def: $vgpr6_vgpr7
	s_and_saveexec_b64 s[8:9], s[2:3]
	s_xor_b64 s[2:3], exec, s[8:9]
	s_cbranch_execnz .LBB90_72
; %bb.25:
	s_andn2_saveexec_b64 s[2:3], s[2:3]
	s_cbranch_execnz .LBB90_75
.LBB90_26:
	s_or_b64 exec, exec, s[2:3]
	v_add_u32_e32 v14, v1, v1
	s_and_saveexec_b64 s[2:3], s[6:7]
	s_cbranch_execz .LBB90_28
.LBB90_27:
	global_load_dwordx2 v[6:7], v[6:7], off
	s_waitcnt vmcnt(0)
	ds_write_b64 v14, v[6:7]
.LBB90_28:
	s_or_b64 exec, exec, s[2:3]
	v_or_b32_e32 v6, 0x100, v0
	v_cmp_le_u32_e32 vcc, s19, v6
	s_mov_b64 s[6:7], -1
	v_pk_mov_b32 v[8:9], s[22:23], s[22:23] op_sel:[0,1]
	s_and_saveexec_b64 s[2:3], vcc
; %bb.29:
	v_subrev_u32_e32 v6, s19, v6
	v_cmp_gt_u32_e32 vcc, s27, v6
	v_pk_mov_b32 v[8:9], s[24:25], s[24:25] op_sel:[0,1]
	s_orn2_b64 s[6:7], vcc, exec
; %bb.30:
	s_or_b64 exec, exec, s[2:3]
	s_and_saveexec_b64 s[2:3], s[6:7]
	s_cbranch_execz .LBB90_32
; %bb.31:
	v_lshlrev_b64 v[8:9], 3, v[8:9]
	v_mov_b32_e32 v7, s13
	v_add_co_u32_e32 v8, vcc, s12, v8
	v_addc_co_u32_e32 v9, vcc, v7, v9, vcc
	v_mov_b32_e32 v7, 0
	v_lshlrev_b64 v[6:7], 3, v[6:7]
	v_add_co_u32_e32 v6, vcc, v8, v6
	v_addc_co_u32_e32 v7, vcc, v9, v7, vcc
	global_load_dwordx2 v[6:7], v[6:7], off
	s_waitcnt vmcnt(0)
	ds_write_b64 v14, v[6:7] offset:2048
.LBB90_32:
	s_or_b64 exec, exec, s[2:3]
	v_or_b32_e32 v6, 0x200, v0
	v_cmp_le_u32_e32 vcc, s19, v6
	s_mov_b64 s[6:7], -1
	v_pk_mov_b32 v[8:9], s[22:23], s[22:23] op_sel:[0,1]
	s_and_saveexec_b64 s[2:3], vcc
; %bb.33:
	v_subrev_u32_e32 v6, s19, v6
	v_cmp_gt_u32_e32 vcc, s27, v6
	v_pk_mov_b32 v[8:9], s[24:25], s[24:25] op_sel:[0,1]
	s_orn2_b64 s[6:7], vcc, exec
; %bb.34:
	s_or_b64 exec, exec, s[2:3]
	s_and_saveexec_b64 s[2:3], s[6:7]
	s_cbranch_execz .LBB90_36
; %bb.35:
	v_lshlrev_b64 v[8:9], 3, v[8:9]
	v_mov_b32_e32 v7, s13
	v_add_co_u32_e32 v8, vcc, s12, v8
	v_addc_co_u32_e32 v9, vcc, v7, v9, vcc
	v_mov_b32_e32 v7, 0
	v_lshlrev_b64 v[6:7], 3, v[6:7]
	v_add_co_u32_e32 v6, vcc, v8, v6
	v_addc_co_u32_e32 v7, vcc, v9, v7, vcc
	global_load_dwordx2 v[6:7], v[6:7], off
	s_waitcnt vmcnt(0)
	ds_write_b64 v14, v[6:7] offset:4096
.LBB90_36:
	s_or_b64 exec, exec, s[2:3]
	v_or_b32_e32 v8, 0x300, v0
	v_cmp_le_u32_e32 vcc, s19, v8
                                        ; implicit-def: $vgpr15
                                        ; implicit-def: $vgpr6_vgpr7
	s_and_saveexec_b64 s[2:3], vcc
	s_xor_b64 s[2:3], exec, s[2:3]
	s_cbranch_execz .LBB90_40
; %bb.37:
	v_subrev_u32_e32 v8, s19, v8
	v_cmp_gt_u32_e32 vcc, s27, v8
	s_mov_b64 s[8:9], s[4:5]
                                        ; implicit-def: $vgpr15
                                        ; implicit-def: $vgpr6_vgpr7
	s_and_saveexec_b64 s[6:7], vcc
; %bb.38:
	v_mov_b32_e32 v9, 0
	v_lshlrev_b64 v[6:7], 3, v[8:9]
	v_mov_b32_e32 v8, s30
	v_add_co_u32_e32 v6, vcc, s29, v6
	v_or_b32_e32 v15, 0x1800, v14
	v_addc_co_u32_e32 v7, vcc, v8, v7, vcc
	s_or_b64 s[8:9], s[4:5], exec
; %bb.39:
	s_or_b64 exec, exec, s[6:7]
	s_andn2_b64 s[4:5], s[4:5], exec
	s_and_b64 s[6:7], s[8:9], exec
	s_or_b64 s[4:5], s[4:5], s[6:7]
                                        ; implicit-def: $vgpr8
                                        ; implicit-def: $vgpr14
.LBB90_40:
	s_andn2_saveexec_b64 s[2:3], s[2:3]
; %bb.41:
	v_lshlrev_b32_e32 v6, 3, v8
	v_mov_b32_e32 v7, s28
	v_add_co_u32_e32 v6, vcc, s26, v6
	v_addc_co_u32_e32 v7, vcc, 0, v7, vcc
	v_or_b32_e32 v15, 0x1800, v14
	s_or_b64 s[4:5], s[4:5], exec
; %bb.42:
	s_or_b64 exec, exec, s[2:3]
.LBB90_43:
	s_and_saveexec_b64 s[2:3], s[4:5]
	s_cbranch_execz .LBB90_45
; %bb.44:
	global_load_dwordx2 v[6:7], v[6:7], off
	s_waitcnt vmcnt(0)
	ds_write_b64 v15, v[6:7]
.LBB90_45:
	s_or_b64 exec, exec, s[2:3]
	s_and_b64 vcc, exec, s[0:1]
	v_add_u32_e32 v6, s18, v1
	s_waitcnt lgkmcnt(0)
	s_barrier
	s_cbranch_vccnz .LBB90_47
; %bb.46:
	v_lshlrev_b32_e32 v14, 3, v13
	v_lshlrev_b32_e32 v16, 3, v12
	;; [unrolled: 1-line block ×3, first 2 shown]
	ds_read_b64 v[14:15], v14
	ds_read_b64 v[16:17], v16
	ds_read_b64 v[18:19], v18
	v_mov_b32_e32 v7, 0
	v_lshlrev_b64 v[8:9], 3, v[6:7]
	v_mov_b32_e32 v20, s15
	v_add_co_u32_e32 v8, vcc, s14, v8
	v_addc_co_u32_e32 v9, vcc, v20, v9, vcc
	s_mov_b64 s[0:1], -1
	s_waitcnt lgkmcnt(1)
	global_store_dwordx4 v[8:9], v[14:17], off
	s_waitcnt lgkmcnt(0)
	global_store_dwordx2 v[8:9], v[18:19], off offset:16
	s_cbranch_execz .LBB90_48
	s_branch .LBB90_57
.LBB90_47:
	s_mov_b64 s[0:1], 0
.LBB90_48:
	v_cmp_gt_u32_e32 vcc, s17, v1
	s_and_saveexec_b64 s[2:3], vcc
	s_cbranch_execz .LBB90_50
; %bb.49:
	v_lshlrev_b32_e32 v13, 3, v13
	ds_read_b64 v[14:15], v13
	v_mov_b32_e32 v7, 0
	v_lshlrev_b64 v[8:9], 3, v[6:7]
	v_mov_b32_e32 v7, s15
	v_add_co_u32_e32 v8, vcc, s14, v8
	v_addc_co_u32_e32 v9, vcc, v7, v9, vcc
	s_waitcnt lgkmcnt(0)
	global_store_dwordx2 v[8:9], v[14:15], off
.LBB90_50:
	s_or_b64 exec, exec, s[2:3]
	v_or_b32_e32 v7, 1, v1
	v_cmp_gt_u32_e32 vcc, s17, v7
	s_and_saveexec_b64 s[2:3], vcc
	s_cbranch_execz .LBB90_52
; %bb.51:
	v_lshlrev_b32_e32 v12, 3, v12
	ds_read_b64 v[12:13], v12
	v_mov_b32_e32 v7, 0
	v_lshlrev_b64 v[8:9], 3, v[6:7]
	v_mov_b32_e32 v7, s15
	v_add_co_u32_e32 v8, vcc, s14, v8
	v_addc_co_u32_e32 v9, vcc, v7, v9, vcc
	s_waitcnt lgkmcnt(0)
	global_store_dwordx2 v[8:9], v[12:13], off offset:8
.LBB90_52:
	s_or_b64 exec, exec, s[2:3]
	v_or_b32_e32 v7, 2, v1
	v_cmp_gt_u32_e32 vcc, s17, v7
	s_and_saveexec_b64 s[2:3], vcc
	s_cbranch_execz .LBB90_54
; %bb.53:
	v_lshlrev_b32_e32 v11, 3, v11
	ds_read_b64 v[12:13], v11
	v_mov_b32_e32 v7, 0
	v_lshlrev_b64 v[8:9], 3, v[6:7]
	v_mov_b32_e32 v7, s15
	v_add_co_u32_e32 v8, vcc, s14, v8
	v_addc_co_u32_e32 v9, vcc, v7, v9, vcc
	s_waitcnt lgkmcnt(0)
	global_store_dwordx2 v[8:9], v[12:13], off offset:16
.LBB90_54:
	s_or_b64 exec, exec, s[2:3]
	v_or_b32_e32 v7, 3, v1
	v_cmp_gt_u32_e32 vcc, s17, v7
	s_and_saveexec_b64 s[2:3], vcc
; %bb.55:
	v_mov_b32_e32 v7, 0
	s_or_b64 s[0:1], s[0:1], exec
; %bb.56:
	s_or_b64 exec, exec, s[2:3]
.LBB90_57:
	s_and_saveexec_b64 s[2:3], s[0:1]
	s_cbranch_execz .LBB90_59
; %bb.58:
	v_lshlrev_b32_e32 v8, 3, v10
	ds_read_b64 v[8:9], v8
	v_lshlrev_b64 v[6:7], 3, v[6:7]
	v_mov_b32_e32 v11, s15
	v_add_co_u32_e32 v6, vcc, s14, v6
	v_addc_co_u32_e32 v7, vcc, v11, v7, vcc
	s_waitcnt lgkmcnt(0)
	global_store_dwordx2 v[6:7], v[8:9], off offset:24
.LBB90_59:
	s_or_b64 exec, exec, s[2:3]
	v_lshrrev_b32_e32 v6, 3, v0
	v_lshlrev_b32_e32 v7, 2, v1
	v_lshl_add_u32 v7, v6, 2, v7
	s_barrier
	s_barrier
	ds_write2_b32 v7, v2, v3 offset1:1
	ds_write2_b32 v7, v4, v5 offset0:2 offset1:3
	v_and_b32_e32 v2, 28, v6
	v_or_b32_e32 v6, 0x100, v0
	v_add_u32_e32 v7, v1, v2
	v_lshrrev_b32_e32 v2, 3, v6
	v_and_b32_e32 v2, 60, v2
	v_or_b32_e32 v5, 0x200, v0
	s_mov_b32 s19, 0
	v_add_u32_e32 v8, v1, v2
	v_lshrrev_b32_e32 v2, 3, v5
	s_lshl_b64 s[0:1], s[18:19], 2
	v_and_b32_e32 v2, 0x5c, v2
	v_or_b32_e32 v4, 0x300, v0
	s_add_u32 s0, s10, s0
	v_add_u32_e32 v9, v1, v2
	v_lshrrev_b32_e32 v2, 3, v4
	s_addc_u32 s1, s11, s1
	v_and_b32_e32 v2, 0x7c, v2
	v_add_u32_e32 v10, v1, v2
	v_mov_b32_e32 v3, s1
	v_add_co_u32_e32 v2, vcc, s0, v1
	v_addc_co_u32_e32 v3, vcc, 0, v3, vcc
	s_and_b64 vcc, exec, s[20:21]
	s_waitcnt lgkmcnt(0)
	s_cbranch_vccz .LBB90_61
; %bb.60:
	s_barrier
	ds_read_b32 v11, v7
	ds_read_b32 v12, v8 offset:1024
	ds_read_b32 v13, v9 offset:2048
	;; [unrolled: 1-line block ×3, first 2 shown]
	s_waitcnt lgkmcnt(3)
	global_store_dword v[2:3], v11, off
	s_waitcnt lgkmcnt(2)
	global_store_dword v[2:3], v12, off offset:1024
	s_waitcnt lgkmcnt(1)
	global_store_dword v[2:3], v13, off offset:2048
	s_mov_b64 s[0:1], -1
	s_cbranch_execz .LBB90_62
	s_branch .LBB90_67
.LBB90_61:
	s_mov_b64 s[0:1], 0
                                        ; implicit-def: $vgpr1
.LBB90_62:
	s_barrier
	s_waitcnt lgkmcnt(0)
	ds_read_b32 v11, v8 offset:1024
	ds_read_b32 v8, v9 offset:2048
	;; [unrolled: 1-line block ×3, first 2 shown]
	s_sub_i32 s2, s16, s18
	v_cmp_gt_u32_e32 vcc, s2, v0
	s_and_saveexec_b64 s[0:1], vcc
	s_cbranch_execnz .LBB90_76
; %bb.63:
	s_or_b64 exec, exec, s[0:1]
	v_cmp_gt_u32_e32 vcc, s2, v6
	s_and_saveexec_b64 s[0:1], vcc
	s_cbranch_execnz .LBB90_77
.LBB90_64:
	s_or_b64 exec, exec, s[0:1]
	v_cmp_gt_u32_e32 vcc, s2, v5
	s_and_saveexec_b64 s[0:1], vcc
	s_cbranch_execz .LBB90_66
.LBB90_65:
	s_waitcnt lgkmcnt(1)
	global_store_dword v[2:3], v8, off offset:2048
.LBB90_66:
	s_or_b64 exec, exec, s[0:1]
	v_cmp_gt_u32_e64 s[0:1], s2, v4
.LBB90_67:
	s_and_saveexec_b64 s[2:3], s[0:1]
	s_cbranch_execz .LBB90_69
; %bb.68:
	s_waitcnt lgkmcnt(0)
	global_store_dword v[2:3], v1, off offset:3072
.LBB90_69:
	s_endpgm
.LBB90_70:
	s_waitcnt vmcnt(3)
	v_mov_b32_e32 v2, s28
	s_waitcnt vmcnt(1)
	v_add_co_u32_e32 v4, vcc, s7, v1
	v_mov_b32_e32 v3, 0
	s_waitcnt vmcnt(0)
	v_addc_co_u32_e32 v5, vcc, 0, v2, vcc
	v_subrev_u32_e32 v2, s19, v0
	v_lshlrev_b64 v[2:3], 2, v[2:3]
	v_mov_b32_e32 v7, s5
	v_add_co_u32_e32 v2, vcc, s4, v2
	v_addc_co_u32_e32 v3, vcc, v7, v3, vcc
	v_cmp_gt_u32_e32 vcc, s19, v0
	v_cndmask_b32_e32 v3, v3, v5, vcc
	v_cndmask_b32_e32 v2, v2, v4, vcc
	global_load_dword v2, v[2:3], off
	s_or_b64 exec, exec, s[0:1]
	v_cmp_gt_u32_e32 vcc, s17, v8
	s_and_saveexec_b64 s[2:3], vcc
	s_cbranch_execz .LBB90_6
.LBB90_71:
	v_mov_b32_e32 v9, 0
	v_lshlrev_b64 v[10:11], 2, v[8:9]
	s_waitcnt vmcnt(2)
	v_mov_b32_e32 v3, s28
	v_add_co_u32_e32 v7, vcc, s7, v10
	v_addc_co_u32_e32 v3, vcc, v3, v11, vcc
	v_cmp_gt_u32_e32 vcc, s19, v8
	v_subrev_u32_e32 v8, s19, v8
	v_lshlrev_b64 v[8:9], 2, v[8:9]
	v_mov_b32_e32 v10, s5
	v_add_co_u32_e64 v8, s[0:1], s4, v8
	v_addc_co_u32_e64 v9, s[0:1], v10, v9, s[0:1]
	v_cndmask_b32_e32 v9, v9, v3, vcc
	v_cndmask_b32_e32 v8, v8, v7, vcc
	global_load_dword v3, v[8:9], off
	s_or_b64 exec, exec, s[2:3]
	v_cmp_gt_u32_e32 vcc, s17, v6
	s_and_saveexec_b64 s[0:1], vcc
	s_cbranch_execnz .LBB90_7
	s_branch .LBB90_8
.LBB90_72:
	v_subrev_u32_e32 v8, s19, v0
	v_cmp_gt_u32_e32 vcc, s27, v8
                                        ; implicit-def: $vgpr6_vgpr7
	s_and_saveexec_b64 s[8:9], vcc
	s_xor_b64 s[8:9], exec, s[8:9]
; %bb.73:
	v_mov_b32_e32 v9, 0
	v_lshlrev_b64 v[6:7], 3, v[8:9]
	v_mov_b32_e32 v8, s30
	v_add_co_u32_e32 v6, vcc, s29, v6
	s_mov_b64 s[6:7], exec
	v_addc_co_u32_e32 v7, vcc, v8, v7, vcc
; %bb.74:
	s_or_b64 exec, exec, s[8:9]
	s_and_b64 s[6:7], s[6:7], exec
	s_andn2_saveexec_b64 s[2:3], s[2:3]
	s_cbranch_execz .LBB90_26
.LBB90_75:
	v_lshlrev_b32_e32 v6, 3, v0
	v_mov_b32_e32 v7, s28
	v_add_co_u32_e32 v6, vcc, s26, v6
	v_addc_co_u32_e32 v7, vcc, 0, v7, vcc
	s_or_b64 s[6:7], s[6:7], exec
	s_or_b64 exec, exec, s[2:3]
	v_add_u32_e32 v14, v1, v1
	s_and_saveexec_b64 s[2:3], s[6:7]
	s_cbranch_execnz .LBB90_27
	s_branch .LBB90_28
.LBB90_76:
	ds_read_b32 v0, v7
	s_waitcnt lgkmcnt(0)
	global_store_dword v[2:3], v0, off
	s_or_b64 exec, exec, s[0:1]
	v_cmp_gt_u32_e32 vcc, s2, v6
	s_and_saveexec_b64 s[0:1], vcc
	s_cbranch_execz .LBB90_64
.LBB90_77:
	s_waitcnt lgkmcnt(2)
	global_store_dword v[2:3], v11, off offset:1024
	s_or_b64 exec, exec, s[0:1]
	v_cmp_gt_u32_e32 vcc, s2, v5
	s_and_saveexec_b64 s[0:1], vcc
	s_cbranch_execnz .LBB90_65
	s_branch .LBB90_66
	.section	.rodata,"a",@progbits
	.p2align	6, 0x0
	.amdhsa_kernel _ZN7rocprim17ROCPRIM_304000_NS6detail35device_block_merge_mergepath_kernelINS1_37wrapped_merge_sort_block_merge_configINS0_14default_configEiN2at4cuda3cub6detail10OpaqueTypeILi8EEEEEPiSC_PSA_SD_jNS1_19radix_merge_compareILb0ELb0EiNS0_19identity_decomposerEEEEEvT0_T1_T2_T3_T4_SL_jT5_PKSL_NS1_7vsmem_tE
		.amdhsa_group_segment_fixed_size 8208
		.amdhsa_private_segment_fixed_size 0
		.amdhsa_kernarg_size 320
		.amdhsa_user_sgpr_count 6
		.amdhsa_user_sgpr_private_segment_buffer 1
		.amdhsa_user_sgpr_dispatch_ptr 0
		.amdhsa_user_sgpr_queue_ptr 0
		.amdhsa_user_sgpr_kernarg_segment_ptr 1
		.amdhsa_user_sgpr_dispatch_id 0
		.amdhsa_user_sgpr_flat_scratch_init 0
		.amdhsa_user_sgpr_kernarg_preload_length 0
		.amdhsa_user_sgpr_kernarg_preload_offset 0
		.amdhsa_user_sgpr_private_segment_size 0
		.amdhsa_uses_dynamic_stack 0
		.amdhsa_system_sgpr_private_segment_wavefront_offset 0
		.amdhsa_system_sgpr_workgroup_id_x 1
		.amdhsa_system_sgpr_workgroup_id_y 1
		.amdhsa_system_sgpr_workgroup_id_z 1
		.amdhsa_system_sgpr_workgroup_info 0
		.amdhsa_system_vgpr_workitem_id 0
		.amdhsa_next_free_vgpr 24
		.amdhsa_next_free_sgpr 31
		.amdhsa_accum_offset 24
		.amdhsa_reserve_vcc 1
		.amdhsa_reserve_flat_scratch 0
		.amdhsa_float_round_mode_32 0
		.amdhsa_float_round_mode_16_64 0
		.amdhsa_float_denorm_mode_32 3
		.amdhsa_float_denorm_mode_16_64 3
		.amdhsa_dx10_clamp 1
		.amdhsa_ieee_mode 1
		.amdhsa_fp16_overflow 0
		.amdhsa_tg_split 0
		.amdhsa_exception_fp_ieee_invalid_op 0
		.amdhsa_exception_fp_denorm_src 0
		.amdhsa_exception_fp_ieee_div_zero 0
		.amdhsa_exception_fp_ieee_overflow 0
		.amdhsa_exception_fp_ieee_underflow 0
		.amdhsa_exception_fp_ieee_inexact 0
		.amdhsa_exception_int_div_zero 0
	.end_amdhsa_kernel
	.section	.text._ZN7rocprim17ROCPRIM_304000_NS6detail35device_block_merge_mergepath_kernelINS1_37wrapped_merge_sort_block_merge_configINS0_14default_configEiN2at4cuda3cub6detail10OpaqueTypeILi8EEEEEPiSC_PSA_SD_jNS1_19radix_merge_compareILb0ELb0EiNS0_19identity_decomposerEEEEEvT0_T1_T2_T3_T4_SL_jT5_PKSL_NS1_7vsmem_tE,"axG",@progbits,_ZN7rocprim17ROCPRIM_304000_NS6detail35device_block_merge_mergepath_kernelINS1_37wrapped_merge_sort_block_merge_configINS0_14default_configEiN2at4cuda3cub6detail10OpaqueTypeILi8EEEEEPiSC_PSA_SD_jNS1_19radix_merge_compareILb0ELb0EiNS0_19identity_decomposerEEEEEvT0_T1_T2_T3_T4_SL_jT5_PKSL_NS1_7vsmem_tE,comdat
.Lfunc_end90:
	.size	_ZN7rocprim17ROCPRIM_304000_NS6detail35device_block_merge_mergepath_kernelINS1_37wrapped_merge_sort_block_merge_configINS0_14default_configEiN2at4cuda3cub6detail10OpaqueTypeILi8EEEEEPiSC_PSA_SD_jNS1_19radix_merge_compareILb0ELb0EiNS0_19identity_decomposerEEEEEvT0_T1_T2_T3_T4_SL_jT5_PKSL_NS1_7vsmem_tE, .Lfunc_end90-_ZN7rocprim17ROCPRIM_304000_NS6detail35device_block_merge_mergepath_kernelINS1_37wrapped_merge_sort_block_merge_configINS0_14default_configEiN2at4cuda3cub6detail10OpaqueTypeILi8EEEEEPiSC_PSA_SD_jNS1_19radix_merge_compareILb0ELb0EiNS0_19identity_decomposerEEEEEvT0_T1_T2_T3_T4_SL_jT5_PKSL_NS1_7vsmem_tE
                                        ; -- End function
	.section	.AMDGPU.csdata,"",@progbits
; Kernel info:
; codeLenInByte = 3440
; NumSgprs: 35
; NumVgprs: 24
; NumAgprs: 0
; TotalNumVgprs: 24
; ScratchSize: 0
; MemoryBound: 1
; FloatMode: 240
; IeeeMode: 1
; LDSByteSize: 8208 bytes/workgroup (compile time only)
; SGPRBlocks: 4
; VGPRBlocks: 2
; NumSGPRsForWavesPerEU: 35
; NumVGPRsForWavesPerEU: 24
; AccumOffset: 24
; Occupancy: 7
; WaveLimiterHint : 1
; COMPUTE_PGM_RSRC2:SCRATCH_EN: 0
; COMPUTE_PGM_RSRC2:USER_SGPR: 6
; COMPUTE_PGM_RSRC2:TRAP_HANDLER: 0
; COMPUTE_PGM_RSRC2:TGID_X_EN: 1
; COMPUTE_PGM_RSRC2:TGID_Y_EN: 1
; COMPUTE_PGM_RSRC2:TGID_Z_EN: 1
; COMPUTE_PGM_RSRC2:TIDIG_COMP_CNT: 0
; COMPUTE_PGM_RSRC3_GFX90A:ACCUM_OFFSET: 5
; COMPUTE_PGM_RSRC3_GFX90A:TG_SPLIT: 0
	.section	.text._ZN7rocprim17ROCPRIM_304000_NS6detail33device_block_merge_oddeven_kernelINS1_37wrapped_merge_sort_block_merge_configINS0_14default_configEiN2at4cuda3cub6detail10OpaqueTypeILi8EEEEEPiSC_PSA_SD_jNS1_19radix_merge_compareILb0ELb0EiNS0_19identity_decomposerEEEEEvT0_T1_T2_T3_T4_SL_T5_,"axG",@progbits,_ZN7rocprim17ROCPRIM_304000_NS6detail33device_block_merge_oddeven_kernelINS1_37wrapped_merge_sort_block_merge_configINS0_14default_configEiN2at4cuda3cub6detail10OpaqueTypeILi8EEEEEPiSC_PSA_SD_jNS1_19radix_merge_compareILb0ELb0EiNS0_19identity_decomposerEEEEEvT0_T1_T2_T3_T4_SL_T5_,comdat
	.protected	_ZN7rocprim17ROCPRIM_304000_NS6detail33device_block_merge_oddeven_kernelINS1_37wrapped_merge_sort_block_merge_configINS0_14default_configEiN2at4cuda3cub6detail10OpaqueTypeILi8EEEEEPiSC_PSA_SD_jNS1_19radix_merge_compareILb0ELb0EiNS0_19identity_decomposerEEEEEvT0_T1_T2_T3_T4_SL_T5_ ; -- Begin function _ZN7rocprim17ROCPRIM_304000_NS6detail33device_block_merge_oddeven_kernelINS1_37wrapped_merge_sort_block_merge_configINS0_14default_configEiN2at4cuda3cub6detail10OpaqueTypeILi8EEEEEPiSC_PSA_SD_jNS1_19radix_merge_compareILb0ELb0EiNS0_19identity_decomposerEEEEEvT0_T1_T2_T3_T4_SL_T5_
	.globl	_ZN7rocprim17ROCPRIM_304000_NS6detail33device_block_merge_oddeven_kernelINS1_37wrapped_merge_sort_block_merge_configINS0_14default_configEiN2at4cuda3cub6detail10OpaqueTypeILi8EEEEEPiSC_PSA_SD_jNS1_19radix_merge_compareILb0ELb0EiNS0_19identity_decomposerEEEEEvT0_T1_T2_T3_T4_SL_T5_
	.p2align	8
	.type	_ZN7rocprim17ROCPRIM_304000_NS6detail33device_block_merge_oddeven_kernelINS1_37wrapped_merge_sort_block_merge_configINS0_14default_configEiN2at4cuda3cub6detail10OpaqueTypeILi8EEEEEPiSC_PSA_SD_jNS1_19radix_merge_compareILb0ELb0EiNS0_19identity_decomposerEEEEEvT0_T1_T2_T3_T4_SL_T5_,@function
_ZN7rocprim17ROCPRIM_304000_NS6detail33device_block_merge_oddeven_kernelINS1_37wrapped_merge_sort_block_merge_configINS0_14default_configEiN2at4cuda3cub6detail10OpaqueTypeILi8EEEEEPiSC_PSA_SD_jNS1_19radix_merge_compareILb0ELb0EiNS0_19identity_decomposerEEEEEvT0_T1_T2_T3_T4_SL_T5_: ; @_ZN7rocprim17ROCPRIM_304000_NS6detail33device_block_merge_oddeven_kernelINS1_37wrapped_merge_sort_block_merge_configINS0_14default_configEiN2at4cuda3cub6detail10OpaqueTypeILi8EEEEEPiSC_PSA_SD_jNS1_19radix_merge_compareILb0ELb0EiNS0_19identity_decomposerEEEEEvT0_T1_T2_T3_T4_SL_T5_
; %bb.0:
	s_load_dwordx2 s[16:17], s[4:5], 0x20
	s_waitcnt lgkmcnt(0)
	s_lshr_b32 s2, s16, 8
	s_cmp_lg_u32 s6, s2
	s_cselect_b64 s[0:1], -1, 0
	s_cmp_eq_u32 s6, s2
	s_cselect_b64 s[18:19], -1, 0
	s_lshl_b32 s20, s6, 8
	s_sub_i32 s2, s16, s20
	v_cmp_gt_u32_e64 s[2:3], s2, v0
	s_or_b64 s[0:1], s[0:1], s[2:3]
	s_and_saveexec_b64 s[8:9], s[0:1]
	s_cbranch_execz .LBB91_26
; %bb.1:
	s_load_dwordx8 s[8:15], s[4:5], 0x0
	s_mov_b32 s21, 0
	s_lshl_b64 s[0:1], s[20:21], 2
	v_lshlrev_b32_e32 v4, 3, v0
	v_lshlrev_b32_e32 v1, 2, v0
	s_waitcnt lgkmcnt(0)
	s_add_u32 s0, s8, s0
	s_addc_u32 s1, s9, s1
	s_lshl_b64 s[4:5], s[20:21], 3
	s_add_u32 s4, s12, s4
	s_addc_u32 s5, s13, s5
	global_load_dwordx2 v[2:3], v4, s[4:5]
	global_load_dword v6, v1, s[0:1]
	s_lshr_b32 s0, s17, 8
	s_sub_i32 s1, 0, s0
	s_and_b32 s1, s6, s1
	s_and_b32 s0, s1, s0
	s_lshl_b32 s22, s1, 8
	s_sub_i32 s6, 0, s17
	s_cmp_eq_u32 s0, 0
	s_cselect_b64 s[0:1], -1, 0
	s_and_b64 s[4:5], s[0:1], exec
	s_cselect_b32 s21, s17, s6
	s_add_i32 s21, s21, s22
	s_cmp_lt_u32 s21, s16
	v_add_u32_e32 v4, s20, v0
	s_cbranch_scc1 .LBB91_6
; %bb.2:
	s_and_b64 vcc, exec, s[18:19]
	s_cbranch_vccz .LBB91_7
; %bb.3:
	v_cmp_gt_u32_e32 vcc, s16, v4
	s_mov_b64 s[6:7], 0
	s_mov_b64 s[4:5], 0
                                        ; implicit-def: $vgpr0_vgpr1
	s_and_saveexec_b64 s[12:13], vcc
	s_cbranch_execz .LBB91_5
; %bb.4:
	v_mov_b32_e32 v5, 0
	v_lshlrev_b64 v[0:1], 3, v[4:5]
	v_mov_b32_e32 v7, s15
	v_add_co_u32_e32 v0, vcc, s14, v0
	v_addc_co_u32_e32 v1, vcc, v7, v1, vcc
	v_lshlrev_b64 v[8:9], 2, v[4:5]
	v_mov_b32_e32 v5, s11
	v_add_co_u32_e32 v8, vcc, s10, v8
	s_mov_b64 s[4:5], exec
	v_addc_co_u32_e32 v9, vcc, v5, v9, vcc
	s_waitcnt vmcnt(0)
	global_store_dword v[8:9], v6, off
.LBB91_5:
	s_or_b64 exec, exec, s[12:13]
	s_and_b64 vcc, exec, s[6:7]
	s_cbranch_vccnz .LBB91_8
	s_branch .LBB91_9
.LBB91_6:
	s_mov_b64 s[4:5], 0
                                        ; implicit-def: $vgpr0_vgpr1
	s_cbranch_execnz .LBB91_10
	s_branch .LBB91_24
.LBB91_7:
	s_mov_b64 s[4:5], 0
                                        ; implicit-def: $vgpr0_vgpr1
	s_cbranch_execz .LBB91_9
.LBB91_8:
	v_mov_b32_e32 v5, 0
	v_lshlrev_b64 v[0:1], 2, v[4:5]
	v_mov_b32_e32 v7, s11
	v_add_co_u32_e32 v0, vcc, s10, v0
	v_addc_co_u32_e32 v1, vcc, v7, v1, vcc
	s_waitcnt vmcnt(0)
	global_store_dword v[0:1], v6, off
	v_lshlrev_b64 v[0:1], 3, v[4:5]
	v_mov_b32_e32 v5, s15
	v_add_co_u32_e32 v0, vcc, s14, v0
	v_addc_co_u32_e32 v1, vcc, v5, v1, vcc
	s_or_b64 s[4:5], s[4:5], exec
.LBB91_9:
	s_branch .LBB91_24
.LBB91_10:
	s_min_u32 s12, s21, s16
	s_add_i32 s6, s12, s17
	s_min_u32 s13, s6, s16
	s_min_u32 s6, s22, s12
	s_add_i32 s22, s22, s12
	v_subrev_u32_e32 v0, s22, v4
	v_add_u32_e32 v4, s6, v0
	s_and_b64 vcc, exec, s[18:19]
	s_cbranch_vccz .LBB91_18
; %bb.11:
                                        ; implicit-def: $vgpr0_vgpr1
	s_and_saveexec_b64 s[6:7], s[2:3]
	s_cbranch_execz .LBB91_17
; %bb.12:
	s_cmp_ge_u32 s21, s13
	v_mov_b32_e32 v5, s12
	s_cbranch_scc1 .LBB91_16
; %bb.13:
	s_mov_b64 s[2:3], 0
	v_mov_b32_e32 v7, s13
	v_mov_b32_e32 v5, s12
	;; [unrolled: 1-line block ×4, first 2 shown]
.LBB91_14:                              ; =>This Inner Loop Header: Depth=1
	v_add_u32_e32 v0, v5, v7
	v_lshrrev_b32_e32 v0, 1, v0
	v_lshlrev_b64 v[10:11], 2, v[0:1]
	v_add_co_u32_e32 v10, vcc, s8, v10
	v_addc_co_u32_e32 v11, vcc, v8, v11, vcc
	global_load_dword v9, v[10:11], off
	v_add_u32_e32 v10, 1, v0
	s_waitcnt vmcnt(0)
	v_cmp_gt_i32_e32 vcc, v6, v9
	v_cndmask_b32_e64 v11, 0, 1, vcc
	v_cmp_le_i32_e32 vcc, v9, v6
	v_cndmask_b32_e64 v9, 0, 1, vcc
	v_cndmask_b32_e64 v9, v9, v11, s[0:1]
	v_and_b32_e32 v9, 1, v9
	v_cmp_eq_u32_e32 vcc, 1, v9
	v_cndmask_b32_e32 v7, v0, v7, vcc
	v_cndmask_b32_e32 v5, v5, v10, vcc
	v_cmp_ge_u32_e32 vcc, v5, v7
	s_or_b64 s[2:3], vcc, s[2:3]
	s_andn2_b64 exec, exec, s[2:3]
	s_cbranch_execnz .LBB91_14
; %bb.15:
	s_or_b64 exec, exec, s[2:3]
.LBB91_16:
	v_add_u32_e32 v0, v5, v4
	v_mov_b32_e32 v1, 0
	v_lshlrev_b64 v[8:9], 2, v[0:1]
	v_mov_b32_e32 v5, s11
	v_add_co_u32_e32 v8, vcc, s10, v8
	v_addc_co_u32_e32 v9, vcc, v5, v9, vcc
	v_lshlrev_b64 v[0:1], 3, v[0:1]
	v_mov_b32_e32 v5, s15
	v_add_co_u32_e32 v0, vcc, s14, v0
	s_waitcnt vmcnt(0)
	global_store_dword v[8:9], v6, off
	v_addc_co_u32_e32 v1, vcc, v5, v1, vcc
	s_or_b64 s[4:5], s[4:5], exec
.LBB91_17:
	s_or_b64 exec, exec, s[6:7]
	s_branch .LBB91_24
.LBB91_18:
                                        ; implicit-def: $vgpr0_vgpr1
	s_cbranch_execz .LBB91_24
; %bb.19:
	s_cmp_ge_u32 s21, s13
	v_mov_b32_e32 v5, s12
	s_cbranch_scc1 .LBB91_23
; %bb.20:
	s_mov_b64 s[2:3], 0
	v_mov_b32_e32 v7, s13
	v_mov_b32_e32 v5, s12
	;; [unrolled: 1-line block ×4, first 2 shown]
.LBB91_21:                              ; =>This Inner Loop Header: Depth=1
	v_add_u32_e32 v0, v5, v7
	v_lshrrev_b32_e32 v0, 1, v0
	v_lshlrev_b64 v[10:11], 2, v[0:1]
	v_add_co_u32_e32 v10, vcc, s8, v10
	v_addc_co_u32_e32 v11, vcc, v8, v11, vcc
	global_load_dword v9, v[10:11], off
	v_add_u32_e32 v10, 1, v0
	s_waitcnt vmcnt(0)
	v_cmp_gt_i32_e32 vcc, v6, v9
	v_cndmask_b32_e64 v11, 0, 1, vcc
	v_cmp_le_i32_e32 vcc, v9, v6
	v_cndmask_b32_e64 v9, 0, 1, vcc
	v_cndmask_b32_e64 v9, v9, v11, s[0:1]
	v_and_b32_e32 v9, 1, v9
	v_cmp_eq_u32_e32 vcc, 1, v9
	v_cndmask_b32_e32 v7, v0, v7, vcc
	v_cndmask_b32_e32 v5, v5, v10, vcc
	v_cmp_ge_u32_e32 vcc, v5, v7
	s_or_b64 s[2:3], vcc, s[2:3]
	s_andn2_b64 exec, exec, s[2:3]
	s_cbranch_execnz .LBB91_21
; %bb.22:
	s_or_b64 exec, exec, s[2:3]
.LBB91_23:
	v_add_u32_e32 v0, v5, v4
	v_mov_b32_e32 v1, 0
	v_lshlrev_b64 v[4:5], 2, v[0:1]
	v_mov_b32_e32 v7, s11
	v_add_co_u32_e32 v4, vcc, s10, v4
	v_addc_co_u32_e32 v5, vcc, v7, v5, vcc
	v_lshlrev_b64 v[0:1], 3, v[0:1]
	s_waitcnt vmcnt(0)
	global_store_dword v[4:5], v6, off
	v_mov_b32_e32 v4, s15
	v_add_co_u32_e32 v0, vcc, s14, v0
	v_addc_co_u32_e32 v1, vcc, v4, v1, vcc
	s_mov_b64 s[4:5], -1
.LBB91_24:
	s_and_b64 exec, exec, s[4:5]
	s_cbranch_execz .LBB91_26
; %bb.25:
	s_waitcnt vmcnt(1)
	global_store_dwordx2 v[0:1], v[2:3], off
.LBB91_26:
	s_endpgm
	.section	.rodata,"a",@progbits
	.p2align	6, 0x0
	.amdhsa_kernel _ZN7rocprim17ROCPRIM_304000_NS6detail33device_block_merge_oddeven_kernelINS1_37wrapped_merge_sort_block_merge_configINS0_14default_configEiN2at4cuda3cub6detail10OpaqueTypeILi8EEEEEPiSC_PSA_SD_jNS1_19radix_merge_compareILb0ELb0EiNS0_19identity_decomposerEEEEEvT0_T1_T2_T3_T4_SL_T5_
		.amdhsa_group_segment_fixed_size 0
		.amdhsa_private_segment_fixed_size 0
		.amdhsa_kernarg_size 44
		.amdhsa_user_sgpr_count 6
		.amdhsa_user_sgpr_private_segment_buffer 1
		.amdhsa_user_sgpr_dispatch_ptr 0
		.amdhsa_user_sgpr_queue_ptr 0
		.amdhsa_user_sgpr_kernarg_segment_ptr 1
		.amdhsa_user_sgpr_dispatch_id 0
		.amdhsa_user_sgpr_flat_scratch_init 0
		.amdhsa_user_sgpr_kernarg_preload_length 0
		.amdhsa_user_sgpr_kernarg_preload_offset 0
		.amdhsa_user_sgpr_private_segment_size 0
		.amdhsa_uses_dynamic_stack 0
		.amdhsa_system_sgpr_private_segment_wavefront_offset 0
		.amdhsa_system_sgpr_workgroup_id_x 1
		.amdhsa_system_sgpr_workgroup_id_y 0
		.amdhsa_system_sgpr_workgroup_id_z 0
		.amdhsa_system_sgpr_workgroup_info 0
		.amdhsa_system_vgpr_workitem_id 0
		.amdhsa_next_free_vgpr 12
		.amdhsa_next_free_sgpr 23
		.amdhsa_accum_offset 12
		.amdhsa_reserve_vcc 1
		.amdhsa_reserve_flat_scratch 0
		.amdhsa_float_round_mode_32 0
		.amdhsa_float_round_mode_16_64 0
		.amdhsa_float_denorm_mode_32 3
		.amdhsa_float_denorm_mode_16_64 3
		.amdhsa_dx10_clamp 1
		.amdhsa_ieee_mode 1
		.amdhsa_fp16_overflow 0
		.amdhsa_tg_split 0
		.amdhsa_exception_fp_ieee_invalid_op 0
		.amdhsa_exception_fp_denorm_src 0
		.amdhsa_exception_fp_ieee_div_zero 0
		.amdhsa_exception_fp_ieee_overflow 0
		.amdhsa_exception_fp_ieee_underflow 0
		.amdhsa_exception_fp_ieee_inexact 0
		.amdhsa_exception_int_div_zero 0
	.end_amdhsa_kernel
	.section	.text._ZN7rocprim17ROCPRIM_304000_NS6detail33device_block_merge_oddeven_kernelINS1_37wrapped_merge_sort_block_merge_configINS0_14default_configEiN2at4cuda3cub6detail10OpaqueTypeILi8EEEEEPiSC_PSA_SD_jNS1_19radix_merge_compareILb0ELb0EiNS0_19identity_decomposerEEEEEvT0_T1_T2_T3_T4_SL_T5_,"axG",@progbits,_ZN7rocprim17ROCPRIM_304000_NS6detail33device_block_merge_oddeven_kernelINS1_37wrapped_merge_sort_block_merge_configINS0_14default_configEiN2at4cuda3cub6detail10OpaqueTypeILi8EEEEEPiSC_PSA_SD_jNS1_19radix_merge_compareILb0ELb0EiNS0_19identity_decomposerEEEEEvT0_T1_T2_T3_T4_SL_T5_,comdat
.Lfunc_end91:
	.size	_ZN7rocprim17ROCPRIM_304000_NS6detail33device_block_merge_oddeven_kernelINS1_37wrapped_merge_sort_block_merge_configINS0_14default_configEiN2at4cuda3cub6detail10OpaqueTypeILi8EEEEEPiSC_PSA_SD_jNS1_19radix_merge_compareILb0ELb0EiNS0_19identity_decomposerEEEEEvT0_T1_T2_T3_T4_SL_T5_, .Lfunc_end91-_ZN7rocprim17ROCPRIM_304000_NS6detail33device_block_merge_oddeven_kernelINS1_37wrapped_merge_sort_block_merge_configINS0_14default_configEiN2at4cuda3cub6detail10OpaqueTypeILi8EEEEEPiSC_PSA_SD_jNS1_19radix_merge_compareILb0ELb0EiNS0_19identity_decomposerEEEEEvT0_T1_T2_T3_T4_SL_T5_
                                        ; -- End function
	.section	.AMDGPU.csdata,"",@progbits
; Kernel info:
; codeLenInByte = 856
; NumSgprs: 27
; NumVgprs: 12
; NumAgprs: 0
; TotalNumVgprs: 12
; ScratchSize: 0
; MemoryBound: 0
; FloatMode: 240
; IeeeMode: 1
; LDSByteSize: 0 bytes/workgroup (compile time only)
; SGPRBlocks: 3
; VGPRBlocks: 1
; NumSGPRsForWavesPerEU: 27
; NumVGPRsForWavesPerEU: 12
; AccumOffset: 12
; Occupancy: 8
; WaveLimiterHint : 0
; COMPUTE_PGM_RSRC2:SCRATCH_EN: 0
; COMPUTE_PGM_RSRC2:USER_SGPR: 6
; COMPUTE_PGM_RSRC2:TRAP_HANDLER: 0
; COMPUTE_PGM_RSRC2:TGID_X_EN: 1
; COMPUTE_PGM_RSRC2:TGID_Y_EN: 0
; COMPUTE_PGM_RSRC2:TGID_Z_EN: 0
; COMPUTE_PGM_RSRC2:TIDIG_COMP_CNT: 0
; COMPUTE_PGM_RSRC3_GFX90A:ACCUM_OFFSET: 2
; COMPUTE_PGM_RSRC3_GFX90A:TG_SPLIT: 0
	.section	.text._ZN7rocprim17ROCPRIM_304000_NS6detail45device_block_merge_mergepath_partition_kernelINS1_37wrapped_merge_sort_block_merge_configINS0_14default_configEiN2at4cuda3cub6detail10OpaqueTypeILi8EEEEEPijNS1_19radix_merge_compareILb0ELb1EiNS0_19identity_decomposerEEEEEvT0_T1_jPSH_T2_SH_,"axG",@progbits,_ZN7rocprim17ROCPRIM_304000_NS6detail45device_block_merge_mergepath_partition_kernelINS1_37wrapped_merge_sort_block_merge_configINS0_14default_configEiN2at4cuda3cub6detail10OpaqueTypeILi8EEEEEPijNS1_19radix_merge_compareILb0ELb1EiNS0_19identity_decomposerEEEEEvT0_T1_jPSH_T2_SH_,comdat
	.protected	_ZN7rocprim17ROCPRIM_304000_NS6detail45device_block_merge_mergepath_partition_kernelINS1_37wrapped_merge_sort_block_merge_configINS0_14default_configEiN2at4cuda3cub6detail10OpaqueTypeILi8EEEEEPijNS1_19radix_merge_compareILb0ELb1EiNS0_19identity_decomposerEEEEEvT0_T1_jPSH_T2_SH_ ; -- Begin function _ZN7rocprim17ROCPRIM_304000_NS6detail45device_block_merge_mergepath_partition_kernelINS1_37wrapped_merge_sort_block_merge_configINS0_14default_configEiN2at4cuda3cub6detail10OpaqueTypeILi8EEEEEPijNS1_19radix_merge_compareILb0ELb1EiNS0_19identity_decomposerEEEEEvT0_T1_jPSH_T2_SH_
	.globl	_ZN7rocprim17ROCPRIM_304000_NS6detail45device_block_merge_mergepath_partition_kernelINS1_37wrapped_merge_sort_block_merge_configINS0_14default_configEiN2at4cuda3cub6detail10OpaqueTypeILi8EEEEEPijNS1_19radix_merge_compareILb0ELb1EiNS0_19identity_decomposerEEEEEvT0_T1_jPSH_T2_SH_
	.p2align	8
	.type	_ZN7rocprim17ROCPRIM_304000_NS6detail45device_block_merge_mergepath_partition_kernelINS1_37wrapped_merge_sort_block_merge_configINS0_14default_configEiN2at4cuda3cub6detail10OpaqueTypeILi8EEEEEPijNS1_19radix_merge_compareILb0ELb1EiNS0_19identity_decomposerEEEEEvT0_T1_jPSH_T2_SH_,@function
_ZN7rocprim17ROCPRIM_304000_NS6detail45device_block_merge_mergepath_partition_kernelINS1_37wrapped_merge_sort_block_merge_configINS0_14default_configEiN2at4cuda3cub6detail10OpaqueTypeILi8EEEEEPijNS1_19radix_merge_compareILb0ELb1EiNS0_19identity_decomposerEEEEEvT0_T1_jPSH_T2_SH_: ; @_ZN7rocprim17ROCPRIM_304000_NS6detail45device_block_merge_mergepath_partition_kernelINS1_37wrapped_merge_sort_block_merge_configINS0_14default_configEiN2at4cuda3cub6detail10OpaqueTypeILi8EEEEEPijNS1_19radix_merge_compareILb0ELb1EiNS0_19identity_decomposerEEEEEvT0_T1_jPSH_T2_SH_
; %bb.0:
	s_load_dwordx2 s[2:3], s[4:5], 0x8
	v_lshl_or_b32 v0, s6, 7, v0
	s_waitcnt lgkmcnt(0)
	v_cmp_gt_u32_e32 vcc, s3, v0
	s_and_saveexec_b64 s[0:1], vcc
	s_cbranch_execz .LBB92_6
; %bb.1:
	s_load_dwordx2 s[0:1], s[4:5], 0x18
	s_waitcnt lgkmcnt(0)
	s_lshr_b32 s3, s1, 9
	s_and_b32 s3, s3, 0x7ffffe
	s_add_i32 s6, s3, -1
	s_sub_i32 s3, 0, s3
	v_and_b32_e32 v1, s3, v0
	v_and_b32_e32 v2, s6, v0
	v_lshlrev_b32_e32 v1, 10, v1
	v_lshlrev_b32_e32 v3, 10, v2
	v_min_u32_e32 v2, s2, v1
	v_add_u32_e32 v1, s1, v1
	v_min_u32_e32 v4, s2, v1
	v_add_u32_e32 v1, s1, v4
	v_min_u32_e32 v1, s2, v1
	v_sub_u32_e32 v5, v1, v2
	v_min_u32_e32 v6, v5, v3
	v_sub_u32_e32 v3, v4, v2
	v_sub_u32_e32 v1, v1, v4
	v_sub_u32_e64 v1, v6, v1 clamp
	v_min_u32_e32 v7, v6, v3
	v_cmp_lt_u32_e32 vcc, v1, v7
	s_and_saveexec_b64 s[2:3], vcc
	s_cbranch_execz .LBB92_5
; %bb.2:
	s_load_dwordx2 s[6:7], s[4:5], 0x0
	v_mov_b32_e32 v5, 0
	v_mov_b32_e32 v3, v5
	v_lshlrev_b64 v[8:9], 2, v[2:3]
	v_lshlrev_b64 v[10:11], 2, v[4:5]
	s_waitcnt lgkmcnt(0)
	v_mov_b32_e32 v12, s7
	v_add_co_u32_e32 v3, vcc, s6, v8
	v_addc_co_u32_e32 v8, vcc, v12, v9, vcc
	v_add_co_u32_e32 v9, vcc, s6, v10
	v_addc_co_u32_e32 v10, vcc, v12, v11, vcc
	s_mov_b64 s[6:7], 0
.LBB92_3:                               ; =>This Inner Loop Header: Depth=1
	v_add_u32_e32 v4, v7, v1
	v_lshrrev_b32_e32 v4, 1, v4
	v_lshlrev_b64 v[14:15], 2, v[4:5]
	v_mov_b32_e32 v13, v5
	v_xad_u32 v12, v4, -1, v6
	v_add_co_u32_e32 v14, vcc, v3, v14
	v_addc_co_u32_e32 v15, vcc, v8, v15, vcc
	v_lshlrev_b64 v[12:13], 2, v[12:13]
	v_add_co_u32_e32 v12, vcc, v9, v12
	v_addc_co_u32_e32 v13, vcc, v10, v13, vcc
	global_load_dword v11, v[14:15], off
	global_load_dword v16, v[12:13], off
	v_add_u32_e32 v12, 1, v4
	s_waitcnt vmcnt(1)
	v_and_b32_e32 v11, s0, v11
	s_waitcnt vmcnt(0)
	v_and_b32_e32 v13, s0, v16
	v_cmp_gt_i32_e32 vcc, v11, v13
	v_cndmask_b32_e32 v7, v7, v4, vcc
	v_cndmask_b32_e32 v1, v12, v1, vcc
	v_cmp_ge_u32_e32 vcc, v1, v7
	s_or_b64 s[6:7], vcc, s[6:7]
	s_andn2_b64 exec, exec, s[6:7]
	s_cbranch_execnz .LBB92_3
; %bb.4:
	s_or_b64 exec, exec, s[6:7]
.LBB92_5:
	s_or_b64 exec, exec, s[2:3]
	s_load_dwordx2 s[0:1], s[4:5], 0x10
	v_add_u32_e32 v2, v1, v2
	v_mov_b32_e32 v1, 0
	v_lshlrev_b64 v[0:1], 2, v[0:1]
	s_waitcnt lgkmcnt(0)
	v_mov_b32_e32 v3, s1
	v_add_co_u32_e32 v0, vcc, s0, v0
	v_addc_co_u32_e32 v1, vcc, v3, v1, vcc
	global_store_dword v[0:1], v2, off
.LBB92_6:
	s_endpgm
	.section	.rodata,"a",@progbits
	.p2align	6, 0x0
	.amdhsa_kernel _ZN7rocprim17ROCPRIM_304000_NS6detail45device_block_merge_mergepath_partition_kernelINS1_37wrapped_merge_sort_block_merge_configINS0_14default_configEiN2at4cuda3cub6detail10OpaqueTypeILi8EEEEEPijNS1_19radix_merge_compareILb0ELb1EiNS0_19identity_decomposerEEEEEvT0_T1_jPSH_T2_SH_
		.amdhsa_group_segment_fixed_size 0
		.amdhsa_private_segment_fixed_size 0
		.amdhsa_kernarg_size 32
		.amdhsa_user_sgpr_count 6
		.amdhsa_user_sgpr_private_segment_buffer 1
		.amdhsa_user_sgpr_dispatch_ptr 0
		.amdhsa_user_sgpr_queue_ptr 0
		.amdhsa_user_sgpr_kernarg_segment_ptr 1
		.amdhsa_user_sgpr_dispatch_id 0
		.amdhsa_user_sgpr_flat_scratch_init 0
		.amdhsa_user_sgpr_kernarg_preload_length 0
		.amdhsa_user_sgpr_kernarg_preload_offset 0
		.amdhsa_user_sgpr_private_segment_size 0
		.amdhsa_uses_dynamic_stack 0
		.amdhsa_system_sgpr_private_segment_wavefront_offset 0
		.amdhsa_system_sgpr_workgroup_id_x 1
		.amdhsa_system_sgpr_workgroup_id_y 0
		.amdhsa_system_sgpr_workgroup_id_z 0
		.amdhsa_system_sgpr_workgroup_info 0
		.amdhsa_system_vgpr_workitem_id 0
		.amdhsa_next_free_vgpr 17
		.amdhsa_next_free_sgpr 8
		.amdhsa_accum_offset 20
		.amdhsa_reserve_vcc 1
		.amdhsa_reserve_flat_scratch 0
		.amdhsa_float_round_mode_32 0
		.amdhsa_float_round_mode_16_64 0
		.amdhsa_float_denorm_mode_32 3
		.amdhsa_float_denorm_mode_16_64 3
		.amdhsa_dx10_clamp 1
		.amdhsa_ieee_mode 1
		.amdhsa_fp16_overflow 0
		.amdhsa_tg_split 0
		.amdhsa_exception_fp_ieee_invalid_op 0
		.amdhsa_exception_fp_denorm_src 0
		.amdhsa_exception_fp_ieee_div_zero 0
		.amdhsa_exception_fp_ieee_overflow 0
		.amdhsa_exception_fp_ieee_underflow 0
		.amdhsa_exception_fp_ieee_inexact 0
		.amdhsa_exception_int_div_zero 0
	.end_amdhsa_kernel
	.section	.text._ZN7rocprim17ROCPRIM_304000_NS6detail45device_block_merge_mergepath_partition_kernelINS1_37wrapped_merge_sort_block_merge_configINS0_14default_configEiN2at4cuda3cub6detail10OpaqueTypeILi8EEEEEPijNS1_19radix_merge_compareILb0ELb1EiNS0_19identity_decomposerEEEEEvT0_T1_jPSH_T2_SH_,"axG",@progbits,_ZN7rocprim17ROCPRIM_304000_NS6detail45device_block_merge_mergepath_partition_kernelINS1_37wrapped_merge_sort_block_merge_configINS0_14default_configEiN2at4cuda3cub6detail10OpaqueTypeILi8EEEEEPijNS1_19radix_merge_compareILb0ELb1EiNS0_19identity_decomposerEEEEEvT0_T1_jPSH_T2_SH_,comdat
.Lfunc_end92:
	.size	_ZN7rocprim17ROCPRIM_304000_NS6detail45device_block_merge_mergepath_partition_kernelINS1_37wrapped_merge_sort_block_merge_configINS0_14default_configEiN2at4cuda3cub6detail10OpaqueTypeILi8EEEEEPijNS1_19radix_merge_compareILb0ELb1EiNS0_19identity_decomposerEEEEEvT0_T1_jPSH_T2_SH_, .Lfunc_end92-_ZN7rocprim17ROCPRIM_304000_NS6detail45device_block_merge_mergepath_partition_kernelINS1_37wrapped_merge_sort_block_merge_configINS0_14default_configEiN2at4cuda3cub6detail10OpaqueTypeILi8EEEEEPijNS1_19radix_merge_compareILb0ELb1EiNS0_19identity_decomposerEEEEEvT0_T1_jPSH_T2_SH_
                                        ; -- End function
	.section	.AMDGPU.csdata,"",@progbits
; Kernel info:
; codeLenInByte = 376
; NumSgprs: 12
; NumVgprs: 17
; NumAgprs: 0
; TotalNumVgprs: 17
; ScratchSize: 0
; MemoryBound: 0
; FloatMode: 240
; IeeeMode: 1
; LDSByteSize: 0 bytes/workgroup (compile time only)
; SGPRBlocks: 1
; VGPRBlocks: 2
; NumSGPRsForWavesPerEU: 12
; NumVGPRsForWavesPerEU: 17
; AccumOffset: 20
; Occupancy: 8
; WaveLimiterHint : 0
; COMPUTE_PGM_RSRC2:SCRATCH_EN: 0
; COMPUTE_PGM_RSRC2:USER_SGPR: 6
; COMPUTE_PGM_RSRC2:TRAP_HANDLER: 0
; COMPUTE_PGM_RSRC2:TGID_X_EN: 1
; COMPUTE_PGM_RSRC2:TGID_Y_EN: 0
; COMPUTE_PGM_RSRC2:TGID_Z_EN: 0
; COMPUTE_PGM_RSRC2:TIDIG_COMP_CNT: 0
; COMPUTE_PGM_RSRC3_GFX90A:ACCUM_OFFSET: 4
; COMPUTE_PGM_RSRC3_GFX90A:TG_SPLIT: 0
	.section	.text._ZN7rocprim17ROCPRIM_304000_NS6detail35device_block_merge_mergepath_kernelINS1_37wrapped_merge_sort_block_merge_configINS0_14default_configEiN2at4cuda3cub6detail10OpaqueTypeILi8EEEEEPiSC_PSA_SD_jNS1_19radix_merge_compareILb0ELb1EiNS0_19identity_decomposerEEEEEvT0_T1_T2_T3_T4_SL_jT5_PKSL_NS1_7vsmem_tE,"axG",@progbits,_ZN7rocprim17ROCPRIM_304000_NS6detail35device_block_merge_mergepath_kernelINS1_37wrapped_merge_sort_block_merge_configINS0_14default_configEiN2at4cuda3cub6detail10OpaqueTypeILi8EEEEEPiSC_PSA_SD_jNS1_19radix_merge_compareILb0ELb1EiNS0_19identity_decomposerEEEEEvT0_T1_T2_T3_T4_SL_jT5_PKSL_NS1_7vsmem_tE,comdat
	.protected	_ZN7rocprim17ROCPRIM_304000_NS6detail35device_block_merge_mergepath_kernelINS1_37wrapped_merge_sort_block_merge_configINS0_14default_configEiN2at4cuda3cub6detail10OpaqueTypeILi8EEEEEPiSC_PSA_SD_jNS1_19radix_merge_compareILb0ELb1EiNS0_19identity_decomposerEEEEEvT0_T1_T2_T3_T4_SL_jT5_PKSL_NS1_7vsmem_tE ; -- Begin function _ZN7rocprim17ROCPRIM_304000_NS6detail35device_block_merge_mergepath_kernelINS1_37wrapped_merge_sort_block_merge_configINS0_14default_configEiN2at4cuda3cub6detail10OpaqueTypeILi8EEEEEPiSC_PSA_SD_jNS1_19radix_merge_compareILb0ELb1EiNS0_19identity_decomposerEEEEEvT0_T1_T2_T3_T4_SL_jT5_PKSL_NS1_7vsmem_tE
	.globl	_ZN7rocprim17ROCPRIM_304000_NS6detail35device_block_merge_mergepath_kernelINS1_37wrapped_merge_sort_block_merge_configINS0_14default_configEiN2at4cuda3cub6detail10OpaqueTypeILi8EEEEEPiSC_PSA_SD_jNS1_19radix_merge_compareILb0ELb1EiNS0_19identity_decomposerEEEEEvT0_T1_T2_T3_T4_SL_jT5_PKSL_NS1_7vsmem_tE
	.p2align	8
	.type	_ZN7rocprim17ROCPRIM_304000_NS6detail35device_block_merge_mergepath_kernelINS1_37wrapped_merge_sort_block_merge_configINS0_14default_configEiN2at4cuda3cub6detail10OpaqueTypeILi8EEEEEPiSC_PSA_SD_jNS1_19radix_merge_compareILb0ELb1EiNS0_19identity_decomposerEEEEEvT0_T1_T2_T3_T4_SL_jT5_PKSL_NS1_7vsmem_tE,@function
_ZN7rocprim17ROCPRIM_304000_NS6detail35device_block_merge_mergepath_kernelINS1_37wrapped_merge_sort_block_merge_configINS0_14default_configEiN2at4cuda3cub6detail10OpaqueTypeILi8EEEEEPiSC_PSA_SD_jNS1_19radix_merge_compareILb0ELb1EiNS0_19identity_decomposerEEEEEvT0_T1_T2_T3_T4_SL_jT5_PKSL_NS1_7vsmem_tE: ; @_ZN7rocprim17ROCPRIM_304000_NS6detail35device_block_merge_mergepath_kernelINS1_37wrapped_merge_sort_block_merge_configINS0_14default_configEiN2at4cuda3cub6detail10OpaqueTypeILi8EEEEEPiSC_PSA_SD_jNS1_19radix_merge_compareILb0ELb1EiNS0_19identity_decomposerEEEEEvT0_T1_T2_T3_T4_SL_jT5_PKSL_NS1_7vsmem_tE
; %bb.0:
	s_load_dwordx2 s[26:27], s[4:5], 0x40
	s_load_dwordx4 s[16:19], s[4:5], 0x20
	s_add_u32 s2, s4, 64
	s_addc_u32 s3, s5, 0
	s_waitcnt lgkmcnt(0)
	s_mul_i32 s0, s27, s8
	s_add_i32 s0, s0, s7
	s_mul_i32 s0, s0, s26
	s_add_i32 s0, s0, s6
	s_cmp_ge_u32 s0, s18
	s_cbranch_scc1 .LBB93_69
; %bb.1:
	s_load_dwordx8 s[8:15], s[4:5], 0x0
	s_load_dwordx2 s[22:23], s[4:5], 0x30
	s_lshr_b32 s30, s16, 10
	s_cmp_lg_u32 s0, s30
	s_mov_b32 s1, 0
	s_cselect_b64 s[20:21], -1, 0
	s_lshl_b64 s[4:5], s[0:1], 2
	s_waitcnt lgkmcnt(0)
	s_add_u32 s4, s22, s4
	s_addc_u32 s5, s23, s5
	s_load_dwordx2 s[22:23], s[4:5], 0x0
	s_lshr_b32 s4, s17, 9
	s_and_b32 s4, s4, 0x7ffffe
	s_sub_i32 s4, 0, s4
	s_and_b32 s5, s0, s4
	s_lshl_b32 s7, s5, 10
	s_lshl_b32 s18, s0, 10
	;; [unrolled: 1-line block ×3, first 2 shown]
	s_sub_i32 s24, s18, s7
	s_add_i32 s5, s5, s17
	s_add_i32 s25, s5, s24
	s_waitcnt lgkmcnt(0)
	s_sub_i32 s24, s25, s22
	s_sub_i32 s25, s25, s23
	;; [unrolled: 1-line block ×3, first 2 shown]
	s_min_u32 s24, s16, s24
	s_addk_i32 s25, 0x400
	s_or_b32 s4, s0, s4
	s_min_u32 s7, s16, s5
	s_add_i32 s5, s5, s17
	s_cmp_eq_u32 s4, -1
	s_cselect_b32 s4, s5, s25
	s_cselect_b32 s5, s7, s23
	s_min_u32 s4, s4, s16
	s_mov_b32 s23, s1
	s_sub_i32 s27, s5, s22
	s_sub_i32 s28, s4, s24
	s_lshl_b64 s[4:5], s[22:23], 2
	s_add_u32 s7, s8, s4
	s_mov_b32 s25, s1
	s_addc_u32 s29, s9, s5
	s_lshl_b64 s[4:5], s[24:25], 2
	s_add_u32 s4, s8, s4
	s_addc_u32 s5, s9, s5
	s_cmp_lt_u32 s6, s26
	v_mov_b32_e32 v11, 0
	s_cselect_b32 s1, 12, 18
	global_load_dword v1, v11, s[2:3] offset:14
	s_add_u32 s2, s2, s1
	s_addc_u32 s3, s3, 0
	global_load_ushort v2, v11, s[2:3]
	v_cmp_gt_u32_e32 vcc, s27, v0
	s_cmp_eq_u32 s0, s30
	s_waitcnt vmcnt(1)
	v_lshrrev_b32_e32 v3, 16, v1
	v_and_b32_e32 v1, 0xffff, v1
	v_mul_lo_u32 v1, v1, v3
	s_waitcnt vmcnt(0)
	v_mul_lo_u32 v12, v1, v2
	v_add_u32_e32 v8, v12, v0
	v_lshlrev_b32_e32 v1, 2, v0
	v_add_u32_e32 v6, v8, v12
	s_cbranch_scc1 .LBB93_3
; %bb.2:
	v_mov_b32_e32 v2, s29
	v_add_co_u32_e64 v4, s[0:1], s7, v1
	v_subrev_u32_e32 v10, s27, v0
	v_addc_co_u32_e64 v5, s[0:1], 0, v2, s[0:1]
	v_lshlrev_b64 v[2:3], 2, v[10:11]
	v_mov_b32_e32 v7, s5
	v_add_co_u32_e64 v2, s[0:1], s4, v2
	v_addc_co_u32_e64 v3, s[0:1], v7, v3, s[0:1]
	v_mov_b32_e32 v9, v11
	v_cndmask_b32_e32 v3, v3, v5, vcc
	v_cndmask_b32_e32 v2, v2, v4, vcc
	v_lshlrev_b64 v[4:5], 2, v[8:9]
	global_load_dword v2, v[2:3], off
	v_mov_b32_e32 v3, s29
	v_add_co_u32_e32 v7, vcc, s7, v4
	v_subrev_u32_e32 v10, s27, v8
	v_addc_co_u32_e32 v3, vcc, v3, v5, vcc
	v_lshlrev_b64 v[4:5], 2, v[10:11]
	v_mov_b32_e32 v9, s5
	v_add_co_u32_e32 v4, vcc, s4, v4
	v_addc_co_u32_e32 v5, vcc, v9, v5, vcc
	v_cmp_gt_u32_e32 vcc, s27, v8
	v_cndmask_b32_e32 v5, v5, v3, vcc
	v_cndmask_b32_e32 v4, v4, v7, vcc
	v_mov_b32_e32 v7, v11
	global_load_dword v3, v[4:5], off
	v_lshlrev_b64 v[4:5], 2, v[6:7]
	v_mov_b32_e32 v7, s29
	v_add_co_u32_e32 v9, vcc, s7, v4
	v_subrev_u32_e32 v10, s27, v6
	v_addc_co_u32_e32 v7, vcc, v7, v5, vcc
	v_lshlrev_b64 v[4:5], 2, v[10:11]
	v_mov_b32_e32 v10, s5
	v_add_co_u32_e32 v4, vcc, s4, v4
	v_addc_co_u32_e32 v5, vcc, v10, v5, vcc
	v_cmp_gt_u32_e32 vcc, s27, v6
	v_add_u32_e32 v10, v6, v12
	v_cndmask_b32_e32 v5, v5, v7, vcc
	v_cndmask_b32_e32 v4, v4, v9, vcc
	v_lshlrev_b64 v[14:15], 2, v[10:11]
	global_load_dword v4, v[4:5], off
	v_mov_b32_e32 v5, s29
	v_add_co_u32_e32 v7, vcc, s7, v14
	v_addc_co_u32_e32 v5, vcc, v5, v15, vcc
	v_cmp_gt_u32_e32 vcc, s27, v10
	v_subrev_u32_e32 v10, s27, v10
	v_lshlrev_b64 v[10:11], 2, v[10:11]
	v_mov_b32_e32 v9, s5
	v_add_co_u32_e64 v10, s[0:1], s4, v10
	v_addc_co_u32_e64 v9, s[0:1], v9, v11, s[0:1]
	v_cndmask_b32_e32 v11, v9, v5, vcc
	v_cndmask_b32_e32 v10, v10, v7, vcc
	global_load_dword v5, v[10:11], off
	s_add_i32 s17, s28, s27
	s_cbranch_execz .LBB93_4
	s_branch .LBB93_11
.LBB93_3:
                                        ; implicit-def: $vgpr2_vgpr3_vgpr4_vgpr5
                                        ; implicit-def: $sgpr17
.LBB93_4:
	s_add_i32 s17, s28, s27
	v_cmp_gt_u32_e32 vcc, s17, v0
                                        ; implicit-def: $vgpr2_vgpr3_vgpr4_vgpr5
	s_and_saveexec_b64 s[0:1], vcc
	s_cbranch_execnz .LBB93_70
; %bb.5:
	s_or_b64 exec, exec, s[0:1]
	v_cmp_gt_u32_e32 vcc, s17, v8
	s_and_saveexec_b64 s[2:3], vcc
	s_cbranch_execnz .LBB93_71
.LBB93_6:
	s_or_b64 exec, exec, s[2:3]
	v_cmp_gt_u32_e32 vcc, s17, v6
	s_and_saveexec_b64 s[0:1], vcc
	s_cbranch_execz .LBB93_8
.LBB93_7:
	v_mov_b32_e32 v7, 0
	v_lshlrev_b64 v[8:9], 2, v[6:7]
	s_waitcnt vmcnt(1)
	v_mov_b32_e32 v4, s29
	v_add_co_u32_e32 v10, vcc, s7, v8
	v_addc_co_u32_e32 v4, vcc, v4, v9, vcc
	v_subrev_u32_e32 v8, s27, v6
	v_mov_b32_e32 v9, v7
	v_lshlrev_b64 v[8:9], 2, v[8:9]
	v_mov_b32_e32 v7, s5
	v_add_co_u32_e32 v8, vcc, s4, v8
	v_addc_co_u32_e32 v7, vcc, v7, v9, vcc
	v_cmp_gt_u32_e32 vcc, s27, v6
	v_cndmask_b32_e32 v9, v7, v4, vcc
	v_cndmask_b32_e32 v8, v8, v10, vcc
	global_load_dword v4, v[8:9], off
.LBB93_8:
	s_or_b64 exec, exec, s[0:1]
	v_add_u32_e32 v6, v6, v12
	v_cmp_gt_u32_e32 vcc, s17, v6
	s_and_saveexec_b64 s[2:3], vcc
	s_cbranch_execz .LBB93_10
; %bb.9:
	v_mov_b32_e32 v7, 0
	v_lshlrev_b64 v[8:9], 2, v[6:7]
	s_waitcnt vmcnt(0)
	v_mov_b32_e32 v5, s29
	v_add_co_u32_e32 v8, vcc, s7, v8
	v_addc_co_u32_e32 v5, vcc, v5, v9, vcc
	v_cmp_gt_u32_e32 vcc, s27, v6
	v_subrev_u32_e32 v6, s27, v6
	v_lshlrev_b64 v[6:7], 2, v[6:7]
	v_mov_b32_e32 v9, s5
	v_add_co_u32_e64 v6, s[0:1], s4, v6
	v_addc_co_u32_e64 v7, s[0:1], v9, v7, s[0:1]
	v_cndmask_b32_e32 v7, v7, v5, vcc
	v_cndmask_b32_e32 v6, v6, v8, vcc
	global_load_dword v5, v[6:7], off
.LBB93_10:
	s_or_b64 exec, exec, s[2:3]
.LBB93_11:
	v_min_u32_e32 v7, s17, v1
	v_sub_u32_e64 v6, v7, s28 clamp
	v_min_u32_e32 v8, s27, v7
	v_cmp_lt_u32_e32 vcc, v6, v8
	s_waitcnt vmcnt(0)
	ds_write2st64_b32 v1, v2, v3 offset1:4
	ds_write2st64_b32 v1, v4, v5 offset0:8 offset1:12
	s_waitcnt lgkmcnt(0)
	s_barrier
	s_and_saveexec_b64 s[0:1], vcc
	s_cbranch_execz .LBB93_15
; %bb.12:
	v_lshlrev_b32_e32 v9, 2, v7
	v_lshl_add_u32 v9, s27, 2, v9
	s_mov_b64 s[2:3], 0
.LBB93_13:                              ; =>This Inner Loop Header: Depth=1
	v_add_u32_e32 v10, v8, v6
	v_lshrrev_b32_e32 v10, 1, v10
	v_not_b32_e32 v11, v10
	v_lshlrev_b32_e32 v12, 2, v10
	v_lshl_add_u32 v11, v11, 2, v9
	ds_read_b32 v12, v12
	ds_read_b32 v11, v11
	v_add_u32_e32 v13, 1, v10
	s_waitcnt lgkmcnt(1)
	v_and_b32_e32 v12, s19, v12
	s_waitcnt lgkmcnt(0)
	v_and_b32_e32 v11, s19, v11
	v_cmp_gt_i32_e32 vcc, v12, v11
	v_cndmask_b32_e32 v8, v8, v10, vcc
	v_cndmask_b32_e32 v6, v13, v6, vcc
	v_cmp_ge_u32_e32 vcc, v6, v8
	s_or_b64 s[2:3], vcc, s[2:3]
	s_andn2_b64 exec, exec, s[2:3]
	s_cbranch_execnz .LBB93_13
; %bb.14:
	s_or_b64 exec, exec, s[2:3]
.LBB93_15:
	s_or_b64 exec, exec, s[0:1]
	v_sub_u32_e32 v7, v7, v6
	v_add_u32_e32 v7, s27, v7
	v_cmp_ge_u32_e32 vcc, s27, v6
	v_cmp_ge_u32_e64 s[0:1], s17, v7
	s_or_b64 s[0:1], vcc, s[0:1]
                                        ; implicit-def: $vgpr10
                                        ; implicit-def: $vgpr11
                                        ; implicit-def: $vgpr12
                                        ; implicit-def: $vgpr13
	s_and_saveexec_b64 s[8:9], s[0:1]
	s_cbranch_execz .LBB93_21
; %bb.16:
	v_cmp_gt_u32_e32 vcc, s27, v6
                                        ; implicit-def: $vgpr2
	s_and_saveexec_b64 s[0:1], vcc
	s_cbranch_execz .LBB93_18
; %bb.17:
	v_lshlrev_b32_e32 v2, 2, v6
	ds_read_b32 v2, v2
.LBB93_18:
	s_or_b64 exec, exec, s[0:1]
	v_cmp_le_u32_e64 s[0:1], s17, v7
	v_cmp_gt_u32_e64 s[2:3], s17, v7
                                        ; implicit-def: $vgpr3
	s_and_saveexec_b64 s[4:5], s[2:3]
	s_cbranch_execz .LBB93_20
; %bb.19:
	v_lshlrev_b32_e32 v3, 2, v7
	ds_read_b32 v3, v3
.LBB93_20:
	s_or_b64 exec, exec, s[4:5]
	s_waitcnt lgkmcnt(0)
	v_and_b32_e32 v4, s19, v3
	v_and_b32_e32 v5, s19, v2
	v_cmp_le_i32_e64 s[2:3], v5, v4
	s_and_b64 s[2:3], vcc, s[2:3]
	s_or_b64 vcc, s[0:1], s[2:3]
	v_mov_b32_e32 v4, s17
	v_mov_b32_e32 v5, s27
	v_cndmask_b32_e32 v13, v7, v6, vcc
	v_cndmask_b32_e32 v8, v4, v5, vcc
	v_add_u32_e32 v9, 1, v13
	v_add_u32_e32 v8, -1, v8
	v_min_u32_e32 v8, v9, v8
	v_lshlrev_b32_e32 v8, 2, v8
	ds_read_b32 v8, v8
	v_cndmask_b32_e32 v7, v9, v7, vcc
	v_cndmask_b32_e32 v6, v6, v9, vcc
	v_cmp_gt_u32_e64 s[2:3], s27, v6
	v_cmp_le_u32_e64 s[0:1], s17, v7
	s_waitcnt lgkmcnt(0)
	v_cndmask_b32_e32 v10, v8, v3, vcc
	v_cndmask_b32_e32 v8, v2, v8, vcc
	v_and_b32_e32 v9, s19, v10
	v_and_b32_e32 v11, s19, v8
	v_cmp_le_i32_e64 s[4:5], v11, v9
	s_and_b64 s[2:3], s[2:3], s[4:5]
	s_or_b64 s[0:1], s[0:1], s[2:3]
	v_cndmask_b32_e64 v12, v7, v6, s[0:1]
	v_cndmask_b32_e64 v9, v4, v5, s[0:1]
	v_add_u32_e32 v11, 1, v12
	v_add_u32_e32 v9, -1, v9
	v_min_u32_e32 v9, v11, v9
	v_lshlrev_b32_e32 v9, 2, v9
	ds_read_b32 v9, v9
	v_cndmask_b32_e64 v7, v11, v7, s[0:1]
	v_cndmask_b32_e64 v6, v6, v11, s[0:1]
	v_cmp_gt_u32_e64 s[4:5], s27, v6
	v_cmp_le_u32_e64 s[2:3], s17, v7
	s_waitcnt lgkmcnt(0)
	v_cndmask_b32_e64 v14, v9, v10, s[0:1]
	v_cndmask_b32_e64 v9, v8, v9, s[0:1]
	v_and_b32_e32 v11, s19, v14
	v_and_b32_e32 v15, s19, v9
	v_cmp_le_i32_e64 s[6:7], v15, v11
	s_and_b64 s[4:5], s[4:5], s[6:7]
	s_or_b64 s[2:3], s[2:3], s[4:5]
	v_cndmask_b32_e64 v11, v7, v6, s[2:3]
	v_cndmask_b32_e64 v4, v4, v5, s[2:3]
	v_add_u32_e32 v5, 1, v11
	v_add_u32_e32 v4, -1, v4
	v_min_u32_e32 v4, v5, v4
	v_lshlrev_b32_e32 v4, 2, v4
	ds_read_b32 v15, v4
	v_cndmask_b32_e32 v2, v3, v2, vcc
	v_cndmask_b32_e64 v3, v10, v8, s[0:1]
	v_cndmask_b32_e64 v4, v14, v9, s[2:3]
	;; [unrolled: 1-line block ×3, first 2 shown]
	s_waitcnt lgkmcnt(0)
	v_cndmask_b32_e64 v8, v15, v14, s[2:3]
	v_cndmask_b32_e64 v9, v9, v15, s[2:3]
	;; [unrolled: 1-line block ×3, first 2 shown]
	v_and_b32_e32 v6, s19, v8
	v_and_b32_e32 v10, s19, v9
	v_cmp_gt_u32_e64 s[0:1], s27, v5
	v_cmp_le_i32_e64 s[2:3], v10, v6
	v_cmp_le_u32_e32 vcc, s17, v7
	s_and_b64 s[0:1], s[0:1], s[2:3]
	s_or_b64 vcc, vcc, s[0:1]
	v_cndmask_b32_e32 v10, v7, v5, vcc
	v_cndmask_b32_e32 v5, v8, v9, vcc
.LBB93_21:
	s_or_b64 exec, exec, s[8:9]
	s_lshl_b64 s[0:1], s[22:23], 3
	s_add_u32 s19, s12, s0
	s_addc_u32 s26, s13, s1
	s_lshl_b64 s[0:1], s[24:25], 3
	s_add_u32 s29, s12, s0
	v_cndmask_b32_e64 v6, 0, 1, s[20:21]
	s_addc_u32 s30, s13, s1
	v_cmp_gt_u32_e64 s[4:5], s27, v0
	v_cmp_ne_u32_e64 s[0:1], 1, v6
	s_andn2_b64 vcc, exec, s[20:21]
	v_cmp_le_u32_e64 s[2:3], s27, v0
	s_barrier
	s_cbranch_vccnz .LBB93_23
; %bb.22:
	v_subrev_u32_e32 v6, s27, v0
	v_mov_b32_e32 v7, 0
	v_lshlrev_b64 v[8:9], 3, v[6:7]
	v_mov_b32_e32 v6, s30
	v_add_co_u32_e32 v8, vcc, s29, v8
	v_addc_co_u32_e32 v6, vcc, v6, v9, vcc
	v_lshlrev_b32_e32 v20, 3, v0
	v_mov_b32_e32 v9, s26
	v_add_co_u32_e32 v21, vcc, s19, v20
	v_addc_co_u32_e32 v22, vcc, 0, v9, vcc
	v_cndmask_b32_e64 v9, v6, v22, s[4:5]
	v_cndmask_b32_e64 v8, v8, v21, s[4:5]
	v_or_b32_e32 v16, 0x100, v0
	s_movk_i32 s4, 0x800
	v_add_co_u32_e32 v17, vcc, s4, v21
	v_subrev_u32_e32 v6, s27, v16
	v_addc_co_u32_e32 v18, vcc, 0, v22, vcc
	v_lshlrev_b64 v[14:15], 3, v[6:7]
	v_mov_b32_e32 v6, s30
	v_add_co_u32_e32 v14, vcc, s29, v14
	v_addc_co_u32_e32 v6, vcc, v6, v15, vcc
	v_cmp_gt_u32_e32 vcc, s27, v16
	v_cndmask_b32_e32 v15, v6, v18, vcc
	v_or_b32_e32 v18, 0x200, v0
	s_movk_i32 s4, 0x1000
	v_cndmask_b32_e32 v14, v14, v17, vcc
	v_add_co_u32_e32 v19, vcc, s4, v21
	v_subrev_u32_e32 v6, s27, v18
	global_load_dwordx2 v[16:17], v[14:15], off
	v_addc_co_u32_e32 v23, vcc, 0, v22, vcc
	v_lshlrev_b64 v[14:15], 3, v[6:7]
	v_mov_b32_e32 v6, s30
	v_add_co_u32_e32 v14, vcc, s29, v14
	v_addc_co_u32_e32 v6, vcc, v6, v15, vcc
	v_cmp_gt_u32_e32 vcc, s27, v18
	global_load_dwordx2 v[8:9], v[8:9], off
	v_cndmask_b32_e32 v15, v6, v23, vcc
	v_cndmask_b32_e32 v14, v14, v19, vcc
	global_load_dwordx2 v[18:19], v[14:15], off
	v_or_b32_e32 v14, 0x300, v0
	s_movk_i32 s4, 0x1800
	v_add_co_u32_e32 v21, vcc, s4, v21
	v_subrev_u32_e32 v6, s27, v14
	v_addc_co_u32_e32 v22, vcc, 0, v22, vcc
	v_lshlrev_b64 v[6:7], 3, v[6:7]
	v_mov_b32_e32 v23, s30
	v_add_co_u32_e32 v6, vcc, s29, v6
	v_addc_co_u32_e32 v7, vcc, v23, v7, vcc
	v_cmp_gt_u32_e32 vcc, s27, v14
	v_or_b32_e32 v15, 0x1800, v20
	v_cndmask_b32_e32 v7, v7, v22, vcc
	v_cndmask_b32_e32 v6, v6, v21, vcc
	s_mov_b64 s[4:5], -1
	s_waitcnt vmcnt(1)
	ds_write2st64_b64 v20, v[8:9], v[16:17] offset1:4
	s_waitcnt vmcnt(0)
	ds_write_b64 v20, v[18:19] offset:4096
	s_cbranch_execz .LBB93_24
	s_branch .LBB93_43
.LBB93_23:
	s_mov_b64 s[4:5], 0
                                        ; implicit-def: $vgpr15
                                        ; implicit-def: $vgpr6_vgpr7
.LBB93_24:
	s_mov_b64 s[6:7], 0
                                        ; implicit-def: $vgpr6_vgpr7
	s_and_saveexec_b64 s[8:9], s[2:3]
	s_xor_b64 s[2:3], exec, s[8:9]
	s_cbranch_execnz .LBB93_72
; %bb.25:
	s_andn2_saveexec_b64 s[2:3], s[2:3]
	s_cbranch_execnz .LBB93_75
.LBB93_26:
	s_or_b64 exec, exec, s[2:3]
	v_add_u32_e32 v14, v1, v1
	s_and_saveexec_b64 s[2:3], s[6:7]
	s_cbranch_execz .LBB93_28
.LBB93_27:
	global_load_dwordx2 v[6:7], v[6:7], off
	s_waitcnt vmcnt(0)
	ds_write_b64 v14, v[6:7]
.LBB93_28:
	s_or_b64 exec, exec, s[2:3]
	v_or_b32_e32 v6, 0x100, v0
	v_cmp_le_u32_e32 vcc, s27, v6
	s_mov_b64 s[6:7], -1
	v_pk_mov_b32 v[8:9], s[22:23], s[22:23] op_sel:[0,1]
	s_and_saveexec_b64 s[2:3], vcc
; %bb.29:
	v_subrev_u32_e32 v6, s27, v6
	v_cmp_gt_u32_e32 vcc, s28, v6
	v_pk_mov_b32 v[8:9], s[24:25], s[24:25] op_sel:[0,1]
	s_orn2_b64 s[6:7], vcc, exec
; %bb.30:
	s_or_b64 exec, exec, s[2:3]
	s_and_saveexec_b64 s[2:3], s[6:7]
	s_cbranch_execz .LBB93_32
; %bb.31:
	v_lshlrev_b64 v[8:9], 3, v[8:9]
	v_mov_b32_e32 v7, s13
	v_add_co_u32_e32 v8, vcc, s12, v8
	v_addc_co_u32_e32 v9, vcc, v7, v9, vcc
	v_mov_b32_e32 v7, 0
	v_lshlrev_b64 v[6:7], 3, v[6:7]
	v_add_co_u32_e32 v6, vcc, v8, v6
	v_addc_co_u32_e32 v7, vcc, v9, v7, vcc
	global_load_dwordx2 v[6:7], v[6:7], off
	s_waitcnt vmcnt(0)
	ds_write_b64 v14, v[6:7] offset:2048
.LBB93_32:
	s_or_b64 exec, exec, s[2:3]
	v_or_b32_e32 v6, 0x200, v0
	v_cmp_le_u32_e32 vcc, s27, v6
	s_mov_b64 s[6:7], -1
	v_pk_mov_b32 v[8:9], s[22:23], s[22:23] op_sel:[0,1]
	s_and_saveexec_b64 s[2:3], vcc
; %bb.33:
	v_subrev_u32_e32 v6, s27, v6
	v_cmp_gt_u32_e32 vcc, s28, v6
	v_pk_mov_b32 v[8:9], s[24:25], s[24:25] op_sel:[0,1]
	s_orn2_b64 s[6:7], vcc, exec
; %bb.34:
	s_or_b64 exec, exec, s[2:3]
	s_and_saveexec_b64 s[2:3], s[6:7]
	s_cbranch_execz .LBB93_36
; %bb.35:
	v_lshlrev_b64 v[8:9], 3, v[8:9]
	v_mov_b32_e32 v7, s13
	v_add_co_u32_e32 v8, vcc, s12, v8
	v_addc_co_u32_e32 v9, vcc, v7, v9, vcc
	v_mov_b32_e32 v7, 0
	v_lshlrev_b64 v[6:7], 3, v[6:7]
	v_add_co_u32_e32 v6, vcc, v8, v6
	v_addc_co_u32_e32 v7, vcc, v9, v7, vcc
	global_load_dwordx2 v[6:7], v[6:7], off
	s_waitcnt vmcnt(0)
	ds_write_b64 v14, v[6:7] offset:4096
.LBB93_36:
	s_or_b64 exec, exec, s[2:3]
	v_or_b32_e32 v8, 0x300, v0
	v_cmp_le_u32_e32 vcc, s27, v8
                                        ; implicit-def: $vgpr15
                                        ; implicit-def: $vgpr6_vgpr7
	s_and_saveexec_b64 s[2:3], vcc
	s_xor_b64 s[2:3], exec, s[2:3]
	s_cbranch_execz .LBB93_40
; %bb.37:
	v_subrev_u32_e32 v8, s27, v8
	v_cmp_gt_u32_e32 vcc, s28, v8
	s_mov_b64 s[8:9], s[4:5]
                                        ; implicit-def: $vgpr15
                                        ; implicit-def: $vgpr6_vgpr7
	s_and_saveexec_b64 s[6:7], vcc
; %bb.38:
	v_mov_b32_e32 v9, 0
	v_lshlrev_b64 v[6:7], 3, v[8:9]
	v_mov_b32_e32 v8, s30
	v_add_co_u32_e32 v6, vcc, s29, v6
	v_or_b32_e32 v15, 0x1800, v14
	v_addc_co_u32_e32 v7, vcc, v8, v7, vcc
	s_or_b64 s[8:9], s[4:5], exec
; %bb.39:
	s_or_b64 exec, exec, s[6:7]
	s_andn2_b64 s[4:5], s[4:5], exec
	s_and_b64 s[6:7], s[8:9], exec
	s_or_b64 s[4:5], s[4:5], s[6:7]
                                        ; implicit-def: $vgpr8
                                        ; implicit-def: $vgpr14
.LBB93_40:
	s_andn2_saveexec_b64 s[2:3], s[2:3]
; %bb.41:
	v_lshlrev_b32_e32 v6, 3, v8
	v_mov_b32_e32 v7, s26
	v_add_co_u32_e32 v6, vcc, s19, v6
	v_addc_co_u32_e32 v7, vcc, 0, v7, vcc
	v_or_b32_e32 v15, 0x1800, v14
	s_or_b64 s[4:5], s[4:5], exec
; %bb.42:
	s_or_b64 exec, exec, s[2:3]
.LBB93_43:
	s_and_saveexec_b64 s[2:3], s[4:5]
	s_cbranch_execz .LBB93_45
; %bb.44:
	global_load_dwordx2 v[6:7], v[6:7], off
	s_waitcnt vmcnt(0)
	ds_write_b64 v15, v[6:7]
.LBB93_45:
	s_or_b64 exec, exec, s[2:3]
	s_and_b64 vcc, exec, s[0:1]
	v_add_u32_e32 v6, s18, v1
	s_waitcnt lgkmcnt(0)
	s_barrier
	s_cbranch_vccnz .LBB93_47
; %bb.46:
	v_lshlrev_b32_e32 v14, 3, v13
	v_lshlrev_b32_e32 v16, 3, v12
	;; [unrolled: 1-line block ×3, first 2 shown]
	ds_read_b64 v[14:15], v14
	ds_read_b64 v[16:17], v16
	;; [unrolled: 1-line block ×3, first 2 shown]
	v_mov_b32_e32 v7, 0
	v_lshlrev_b64 v[8:9], 3, v[6:7]
	v_mov_b32_e32 v20, s15
	v_add_co_u32_e32 v8, vcc, s14, v8
	v_addc_co_u32_e32 v9, vcc, v20, v9, vcc
	s_mov_b64 s[0:1], -1
	s_waitcnt lgkmcnt(1)
	global_store_dwordx4 v[8:9], v[14:17], off
	s_waitcnt lgkmcnt(0)
	global_store_dwordx2 v[8:9], v[18:19], off offset:16
	s_cbranch_execz .LBB93_48
	s_branch .LBB93_57
.LBB93_47:
	s_mov_b64 s[0:1], 0
.LBB93_48:
	v_cmp_gt_u32_e32 vcc, s17, v1
	s_and_saveexec_b64 s[2:3], vcc
	s_cbranch_execz .LBB93_50
; %bb.49:
	v_lshlrev_b32_e32 v13, 3, v13
	ds_read_b64 v[14:15], v13
	v_mov_b32_e32 v7, 0
	v_lshlrev_b64 v[8:9], 3, v[6:7]
	v_mov_b32_e32 v7, s15
	v_add_co_u32_e32 v8, vcc, s14, v8
	v_addc_co_u32_e32 v9, vcc, v7, v9, vcc
	s_waitcnt lgkmcnt(0)
	global_store_dwordx2 v[8:9], v[14:15], off
.LBB93_50:
	s_or_b64 exec, exec, s[2:3]
	v_or_b32_e32 v7, 1, v1
	v_cmp_gt_u32_e32 vcc, s17, v7
	s_and_saveexec_b64 s[2:3], vcc
	s_cbranch_execz .LBB93_52
; %bb.51:
	v_lshlrev_b32_e32 v12, 3, v12
	ds_read_b64 v[12:13], v12
	v_mov_b32_e32 v7, 0
	v_lshlrev_b64 v[8:9], 3, v[6:7]
	v_mov_b32_e32 v7, s15
	v_add_co_u32_e32 v8, vcc, s14, v8
	v_addc_co_u32_e32 v9, vcc, v7, v9, vcc
	s_waitcnt lgkmcnt(0)
	global_store_dwordx2 v[8:9], v[12:13], off offset:8
.LBB93_52:
	s_or_b64 exec, exec, s[2:3]
	v_or_b32_e32 v7, 2, v1
	v_cmp_gt_u32_e32 vcc, s17, v7
	s_and_saveexec_b64 s[2:3], vcc
	s_cbranch_execz .LBB93_54
; %bb.53:
	v_lshlrev_b32_e32 v11, 3, v11
	ds_read_b64 v[12:13], v11
	v_mov_b32_e32 v7, 0
	v_lshlrev_b64 v[8:9], 3, v[6:7]
	v_mov_b32_e32 v7, s15
	v_add_co_u32_e32 v8, vcc, s14, v8
	v_addc_co_u32_e32 v9, vcc, v7, v9, vcc
	s_waitcnt lgkmcnt(0)
	global_store_dwordx2 v[8:9], v[12:13], off offset:16
.LBB93_54:
	s_or_b64 exec, exec, s[2:3]
	v_or_b32_e32 v7, 3, v1
	v_cmp_gt_u32_e32 vcc, s17, v7
	s_and_saveexec_b64 s[2:3], vcc
; %bb.55:
	v_mov_b32_e32 v7, 0
	s_or_b64 s[0:1], s[0:1], exec
; %bb.56:
	s_or_b64 exec, exec, s[2:3]
.LBB93_57:
	s_and_saveexec_b64 s[2:3], s[0:1]
	s_cbranch_execz .LBB93_59
; %bb.58:
	v_lshlrev_b32_e32 v8, 3, v10
	ds_read_b64 v[8:9], v8
	v_lshlrev_b64 v[6:7], 3, v[6:7]
	v_mov_b32_e32 v11, s15
	v_add_co_u32_e32 v6, vcc, s14, v6
	v_addc_co_u32_e32 v7, vcc, v11, v7, vcc
	s_waitcnt lgkmcnt(0)
	global_store_dwordx2 v[6:7], v[8:9], off offset:24
.LBB93_59:
	s_or_b64 exec, exec, s[2:3]
	v_lshrrev_b32_e32 v6, 3, v0
	v_lshlrev_b32_e32 v7, 2, v1
	v_lshl_add_u32 v7, v6, 2, v7
	s_barrier
	s_barrier
	ds_write2_b32 v7, v2, v3 offset1:1
	ds_write2_b32 v7, v4, v5 offset0:2 offset1:3
	v_and_b32_e32 v2, 28, v6
	v_or_b32_e32 v6, 0x100, v0
	v_add_u32_e32 v7, v1, v2
	v_lshrrev_b32_e32 v2, 3, v6
	v_and_b32_e32 v2, 60, v2
	v_or_b32_e32 v5, 0x200, v0
	s_mov_b32 s19, 0
	v_add_u32_e32 v8, v1, v2
	v_lshrrev_b32_e32 v2, 3, v5
	s_lshl_b64 s[0:1], s[18:19], 2
	v_and_b32_e32 v2, 0x5c, v2
	v_or_b32_e32 v4, 0x300, v0
	s_add_u32 s0, s10, s0
	v_add_u32_e32 v9, v1, v2
	v_lshrrev_b32_e32 v2, 3, v4
	s_addc_u32 s1, s11, s1
	v_and_b32_e32 v2, 0x7c, v2
	v_add_u32_e32 v10, v1, v2
	v_mov_b32_e32 v3, s1
	v_add_co_u32_e32 v2, vcc, s0, v1
	v_addc_co_u32_e32 v3, vcc, 0, v3, vcc
	s_and_b64 vcc, exec, s[20:21]
	s_waitcnt lgkmcnt(0)
	s_cbranch_vccz .LBB93_61
; %bb.60:
	s_barrier
	ds_read_b32 v11, v7
	ds_read_b32 v12, v8 offset:1024
	ds_read_b32 v13, v9 offset:2048
	ds_read_b32 v1, v10 offset:3072
	s_waitcnt lgkmcnt(3)
	global_store_dword v[2:3], v11, off
	s_waitcnt lgkmcnt(2)
	global_store_dword v[2:3], v12, off offset:1024
	s_waitcnt lgkmcnt(1)
	global_store_dword v[2:3], v13, off offset:2048
	s_mov_b64 s[0:1], -1
	s_cbranch_execz .LBB93_62
	s_branch .LBB93_67
.LBB93_61:
	s_mov_b64 s[0:1], 0
                                        ; implicit-def: $vgpr1
.LBB93_62:
	s_barrier
	s_waitcnt lgkmcnt(0)
	ds_read_b32 v11, v8 offset:1024
	ds_read_b32 v8, v9 offset:2048
	;; [unrolled: 1-line block ×3, first 2 shown]
	s_sub_i32 s2, s16, s18
	v_cmp_gt_u32_e32 vcc, s2, v0
	s_and_saveexec_b64 s[0:1], vcc
	s_cbranch_execnz .LBB93_76
; %bb.63:
	s_or_b64 exec, exec, s[0:1]
	v_cmp_gt_u32_e32 vcc, s2, v6
	s_and_saveexec_b64 s[0:1], vcc
	s_cbranch_execnz .LBB93_77
.LBB93_64:
	s_or_b64 exec, exec, s[0:1]
	v_cmp_gt_u32_e32 vcc, s2, v5
	s_and_saveexec_b64 s[0:1], vcc
	s_cbranch_execz .LBB93_66
.LBB93_65:
	s_waitcnt lgkmcnt(1)
	global_store_dword v[2:3], v8, off offset:2048
.LBB93_66:
	s_or_b64 exec, exec, s[0:1]
	v_cmp_gt_u32_e64 s[0:1], s2, v4
.LBB93_67:
	s_and_saveexec_b64 s[2:3], s[0:1]
	s_cbranch_execz .LBB93_69
; %bb.68:
	s_waitcnt lgkmcnt(0)
	global_store_dword v[2:3], v1, off offset:3072
.LBB93_69:
	s_endpgm
.LBB93_70:
	s_waitcnt vmcnt(3)
	v_mov_b32_e32 v2, s29
	s_waitcnt vmcnt(1)
	v_add_co_u32_e32 v4, vcc, s7, v1
	v_mov_b32_e32 v3, 0
	s_waitcnt vmcnt(0)
	v_addc_co_u32_e32 v5, vcc, 0, v2, vcc
	v_subrev_u32_e32 v2, s27, v0
	v_lshlrev_b64 v[2:3], 2, v[2:3]
	v_mov_b32_e32 v7, s5
	v_add_co_u32_e32 v2, vcc, s4, v2
	v_addc_co_u32_e32 v3, vcc, v7, v3, vcc
	v_cmp_gt_u32_e32 vcc, s27, v0
	v_cndmask_b32_e32 v3, v3, v5, vcc
	v_cndmask_b32_e32 v2, v2, v4, vcc
	global_load_dword v2, v[2:3], off
	s_or_b64 exec, exec, s[0:1]
	v_cmp_gt_u32_e32 vcc, s17, v8
	s_and_saveexec_b64 s[2:3], vcc
	s_cbranch_execz .LBB93_6
.LBB93_71:
	v_mov_b32_e32 v9, 0
	v_lshlrev_b64 v[10:11], 2, v[8:9]
	s_waitcnt vmcnt(2)
	v_mov_b32_e32 v3, s29
	v_add_co_u32_e32 v7, vcc, s7, v10
	v_addc_co_u32_e32 v3, vcc, v3, v11, vcc
	v_cmp_gt_u32_e32 vcc, s27, v8
	v_subrev_u32_e32 v8, s27, v8
	v_lshlrev_b64 v[8:9], 2, v[8:9]
	v_mov_b32_e32 v10, s5
	v_add_co_u32_e64 v8, s[0:1], s4, v8
	v_addc_co_u32_e64 v9, s[0:1], v10, v9, s[0:1]
	v_cndmask_b32_e32 v9, v9, v3, vcc
	v_cndmask_b32_e32 v8, v8, v7, vcc
	global_load_dword v3, v[8:9], off
	s_or_b64 exec, exec, s[2:3]
	v_cmp_gt_u32_e32 vcc, s17, v6
	s_and_saveexec_b64 s[0:1], vcc
	s_cbranch_execnz .LBB93_7
	s_branch .LBB93_8
.LBB93_72:
	v_subrev_u32_e32 v8, s27, v0
	v_cmp_gt_u32_e32 vcc, s28, v8
                                        ; implicit-def: $vgpr6_vgpr7
	s_and_saveexec_b64 s[8:9], vcc
	s_xor_b64 s[8:9], exec, s[8:9]
; %bb.73:
	v_mov_b32_e32 v9, 0
	v_lshlrev_b64 v[6:7], 3, v[8:9]
	v_mov_b32_e32 v8, s30
	v_add_co_u32_e32 v6, vcc, s29, v6
	s_mov_b64 s[6:7], exec
	v_addc_co_u32_e32 v7, vcc, v8, v7, vcc
; %bb.74:
	s_or_b64 exec, exec, s[8:9]
	s_and_b64 s[6:7], s[6:7], exec
	s_andn2_saveexec_b64 s[2:3], s[2:3]
	s_cbranch_execz .LBB93_26
.LBB93_75:
	v_lshlrev_b32_e32 v6, 3, v0
	v_mov_b32_e32 v7, s26
	v_add_co_u32_e32 v6, vcc, s19, v6
	v_addc_co_u32_e32 v7, vcc, 0, v7, vcc
	s_or_b64 s[6:7], s[6:7], exec
	s_or_b64 exec, exec, s[2:3]
	v_add_u32_e32 v14, v1, v1
	s_and_saveexec_b64 s[2:3], s[6:7]
	s_cbranch_execnz .LBB93_27
	s_branch .LBB93_28
.LBB93_76:
	ds_read_b32 v0, v7
	s_waitcnt lgkmcnt(0)
	global_store_dword v[2:3], v0, off
	s_or_b64 exec, exec, s[0:1]
	v_cmp_gt_u32_e32 vcc, s2, v6
	s_and_saveexec_b64 s[0:1], vcc
	s_cbranch_execz .LBB93_64
.LBB93_77:
	s_waitcnt lgkmcnt(2)
	global_store_dword v[2:3], v11, off offset:1024
	s_or_b64 exec, exec, s[0:1]
	v_cmp_gt_u32_e32 vcc, s2, v5
	s_and_saveexec_b64 s[0:1], vcc
	s_cbranch_execnz .LBB93_65
	s_branch .LBB93_66
	.section	.rodata,"a",@progbits
	.p2align	6, 0x0
	.amdhsa_kernel _ZN7rocprim17ROCPRIM_304000_NS6detail35device_block_merge_mergepath_kernelINS1_37wrapped_merge_sort_block_merge_configINS0_14default_configEiN2at4cuda3cub6detail10OpaqueTypeILi8EEEEEPiSC_PSA_SD_jNS1_19radix_merge_compareILb0ELb1EiNS0_19identity_decomposerEEEEEvT0_T1_T2_T3_T4_SL_jT5_PKSL_NS1_7vsmem_tE
		.amdhsa_group_segment_fixed_size 8208
		.amdhsa_private_segment_fixed_size 0
		.amdhsa_kernarg_size 320
		.amdhsa_user_sgpr_count 6
		.amdhsa_user_sgpr_private_segment_buffer 1
		.amdhsa_user_sgpr_dispatch_ptr 0
		.amdhsa_user_sgpr_queue_ptr 0
		.amdhsa_user_sgpr_kernarg_segment_ptr 1
		.amdhsa_user_sgpr_dispatch_id 0
		.amdhsa_user_sgpr_flat_scratch_init 0
		.amdhsa_user_sgpr_kernarg_preload_length 0
		.amdhsa_user_sgpr_kernarg_preload_offset 0
		.amdhsa_user_sgpr_private_segment_size 0
		.amdhsa_uses_dynamic_stack 0
		.amdhsa_system_sgpr_private_segment_wavefront_offset 0
		.amdhsa_system_sgpr_workgroup_id_x 1
		.amdhsa_system_sgpr_workgroup_id_y 1
		.amdhsa_system_sgpr_workgroup_id_z 1
		.amdhsa_system_sgpr_workgroup_info 0
		.amdhsa_system_vgpr_workitem_id 0
		.amdhsa_next_free_vgpr 24
		.amdhsa_next_free_sgpr 31
		.amdhsa_accum_offset 24
		.amdhsa_reserve_vcc 1
		.amdhsa_reserve_flat_scratch 0
		.amdhsa_float_round_mode_32 0
		.amdhsa_float_round_mode_16_64 0
		.amdhsa_float_denorm_mode_32 3
		.amdhsa_float_denorm_mode_16_64 3
		.amdhsa_dx10_clamp 1
		.amdhsa_ieee_mode 1
		.amdhsa_fp16_overflow 0
		.amdhsa_tg_split 0
		.amdhsa_exception_fp_ieee_invalid_op 0
		.amdhsa_exception_fp_denorm_src 0
		.amdhsa_exception_fp_ieee_div_zero 0
		.amdhsa_exception_fp_ieee_overflow 0
		.amdhsa_exception_fp_ieee_underflow 0
		.amdhsa_exception_fp_ieee_inexact 0
		.amdhsa_exception_int_div_zero 0
	.end_amdhsa_kernel
	.section	.text._ZN7rocprim17ROCPRIM_304000_NS6detail35device_block_merge_mergepath_kernelINS1_37wrapped_merge_sort_block_merge_configINS0_14default_configEiN2at4cuda3cub6detail10OpaqueTypeILi8EEEEEPiSC_PSA_SD_jNS1_19radix_merge_compareILb0ELb1EiNS0_19identity_decomposerEEEEEvT0_T1_T2_T3_T4_SL_jT5_PKSL_NS1_7vsmem_tE,"axG",@progbits,_ZN7rocprim17ROCPRIM_304000_NS6detail35device_block_merge_mergepath_kernelINS1_37wrapped_merge_sort_block_merge_configINS0_14default_configEiN2at4cuda3cub6detail10OpaqueTypeILi8EEEEEPiSC_PSA_SD_jNS1_19radix_merge_compareILb0ELb1EiNS0_19identity_decomposerEEEEEvT0_T1_T2_T3_T4_SL_jT5_PKSL_NS1_7vsmem_tE,comdat
.Lfunc_end93:
	.size	_ZN7rocprim17ROCPRIM_304000_NS6detail35device_block_merge_mergepath_kernelINS1_37wrapped_merge_sort_block_merge_configINS0_14default_configEiN2at4cuda3cub6detail10OpaqueTypeILi8EEEEEPiSC_PSA_SD_jNS1_19radix_merge_compareILb0ELb1EiNS0_19identity_decomposerEEEEEvT0_T1_T2_T3_T4_SL_jT5_PKSL_NS1_7vsmem_tE, .Lfunc_end93-_ZN7rocprim17ROCPRIM_304000_NS6detail35device_block_merge_mergepath_kernelINS1_37wrapped_merge_sort_block_merge_configINS0_14default_configEiN2at4cuda3cub6detail10OpaqueTypeILi8EEEEEPiSC_PSA_SD_jNS1_19radix_merge_compareILb0ELb1EiNS0_19identity_decomposerEEEEEvT0_T1_T2_T3_T4_SL_jT5_PKSL_NS1_7vsmem_tE
                                        ; -- End function
	.section	.AMDGPU.csdata,"",@progbits
; Kernel info:
; codeLenInByte = 3484
; NumSgprs: 35
; NumVgprs: 24
; NumAgprs: 0
; TotalNumVgprs: 24
; ScratchSize: 0
; MemoryBound: 1
; FloatMode: 240
; IeeeMode: 1
; LDSByteSize: 8208 bytes/workgroup (compile time only)
; SGPRBlocks: 4
; VGPRBlocks: 2
; NumSGPRsForWavesPerEU: 35
; NumVGPRsForWavesPerEU: 24
; AccumOffset: 24
; Occupancy: 7
; WaveLimiterHint : 1
; COMPUTE_PGM_RSRC2:SCRATCH_EN: 0
; COMPUTE_PGM_RSRC2:USER_SGPR: 6
; COMPUTE_PGM_RSRC2:TRAP_HANDLER: 0
; COMPUTE_PGM_RSRC2:TGID_X_EN: 1
; COMPUTE_PGM_RSRC2:TGID_Y_EN: 1
; COMPUTE_PGM_RSRC2:TGID_Z_EN: 1
; COMPUTE_PGM_RSRC2:TIDIG_COMP_CNT: 0
; COMPUTE_PGM_RSRC3_GFX90A:ACCUM_OFFSET: 5
; COMPUTE_PGM_RSRC3_GFX90A:TG_SPLIT: 0
	.section	.text._ZN7rocprim17ROCPRIM_304000_NS6detail33device_block_merge_oddeven_kernelINS1_37wrapped_merge_sort_block_merge_configINS0_14default_configEiN2at4cuda3cub6detail10OpaqueTypeILi8EEEEEPiSC_PSA_SD_jNS1_19radix_merge_compareILb0ELb1EiNS0_19identity_decomposerEEEEEvT0_T1_T2_T3_T4_SL_T5_,"axG",@progbits,_ZN7rocprim17ROCPRIM_304000_NS6detail33device_block_merge_oddeven_kernelINS1_37wrapped_merge_sort_block_merge_configINS0_14default_configEiN2at4cuda3cub6detail10OpaqueTypeILi8EEEEEPiSC_PSA_SD_jNS1_19radix_merge_compareILb0ELb1EiNS0_19identity_decomposerEEEEEvT0_T1_T2_T3_T4_SL_T5_,comdat
	.protected	_ZN7rocprim17ROCPRIM_304000_NS6detail33device_block_merge_oddeven_kernelINS1_37wrapped_merge_sort_block_merge_configINS0_14default_configEiN2at4cuda3cub6detail10OpaqueTypeILi8EEEEEPiSC_PSA_SD_jNS1_19radix_merge_compareILb0ELb1EiNS0_19identity_decomposerEEEEEvT0_T1_T2_T3_T4_SL_T5_ ; -- Begin function _ZN7rocprim17ROCPRIM_304000_NS6detail33device_block_merge_oddeven_kernelINS1_37wrapped_merge_sort_block_merge_configINS0_14default_configEiN2at4cuda3cub6detail10OpaqueTypeILi8EEEEEPiSC_PSA_SD_jNS1_19radix_merge_compareILb0ELb1EiNS0_19identity_decomposerEEEEEvT0_T1_T2_T3_T4_SL_T5_
	.globl	_ZN7rocprim17ROCPRIM_304000_NS6detail33device_block_merge_oddeven_kernelINS1_37wrapped_merge_sort_block_merge_configINS0_14default_configEiN2at4cuda3cub6detail10OpaqueTypeILi8EEEEEPiSC_PSA_SD_jNS1_19radix_merge_compareILb0ELb1EiNS0_19identity_decomposerEEEEEvT0_T1_T2_T3_T4_SL_T5_
	.p2align	8
	.type	_ZN7rocprim17ROCPRIM_304000_NS6detail33device_block_merge_oddeven_kernelINS1_37wrapped_merge_sort_block_merge_configINS0_14default_configEiN2at4cuda3cub6detail10OpaqueTypeILi8EEEEEPiSC_PSA_SD_jNS1_19radix_merge_compareILb0ELb1EiNS0_19identity_decomposerEEEEEvT0_T1_T2_T3_T4_SL_T5_,@function
_ZN7rocprim17ROCPRIM_304000_NS6detail33device_block_merge_oddeven_kernelINS1_37wrapped_merge_sort_block_merge_configINS0_14default_configEiN2at4cuda3cub6detail10OpaqueTypeILi8EEEEEPiSC_PSA_SD_jNS1_19radix_merge_compareILb0ELb1EiNS0_19identity_decomposerEEEEEvT0_T1_T2_T3_T4_SL_T5_: ; @_ZN7rocprim17ROCPRIM_304000_NS6detail33device_block_merge_oddeven_kernelINS1_37wrapped_merge_sort_block_merge_configINS0_14default_configEiN2at4cuda3cub6detail10OpaqueTypeILi8EEEEEPiSC_PSA_SD_jNS1_19radix_merge_compareILb0ELb1EiNS0_19identity_decomposerEEEEEvT0_T1_T2_T3_T4_SL_T5_
; %bb.0:
	s_load_dwordx4 s[16:19], s[4:5], 0x20
	s_waitcnt lgkmcnt(0)
	s_lshr_b32 s2, s16, 8
	s_cmp_lg_u32 s6, s2
	s_cselect_b64 s[0:1], -1, 0
	s_cmp_eq_u32 s6, s2
	s_cselect_b64 s[20:21], -1, 0
	s_lshl_b32 s22, s6, 8
	s_sub_i32 s2, s16, s22
	v_cmp_gt_u32_e64 s[2:3], s2, v0
	s_or_b64 s[0:1], s[0:1], s[2:3]
	s_and_saveexec_b64 s[8:9], s[0:1]
	s_cbranch_execz .LBB94_26
; %bb.1:
	s_load_dwordx8 s[8:15], s[4:5], 0x0
	s_mov_b32 s23, 0
	s_lshl_b64 s[0:1], s[22:23], 2
	v_lshlrev_b32_e32 v4, 3, v0
	v_lshlrev_b32_e32 v1, 2, v0
	s_waitcnt lgkmcnt(0)
	s_add_u32 s0, s8, s0
	s_addc_u32 s1, s9, s1
	s_lshl_b64 s[4:5], s[22:23], 3
	s_add_u32 s4, s12, s4
	s_addc_u32 s5, s13, s5
	global_load_dwordx2 v[2:3], v4, s[4:5]
	global_load_dword v6, v1, s[0:1]
	s_lshr_b32 s0, s17, 8
	s_sub_i32 s1, 0, s0
	s_and_b32 s1, s6, s1
	s_and_b32 s0, s1, s0
	s_lshl_b32 s23, s1, 8
	s_sub_i32 s6, 0, s17
	s_cmp_eq_u32 s0, 0
	s_cselect_b64 s[0:1], -1, 0
	s_and_b64 s[4:5], s[0:1], exec
	s_cselect_b32 s19, s17, s6
	s_add_i32 s19, s19, s23
	s_cmp_lt_u32 s19, s16
	v_add_u32_e32 v4, s22, v0
	s_cbranch_scc1 .LBB94_6
; %bb.2:
	s_and_b64 vcc, exec, s[20:21]
	s_cbranch_vccz .LBB94_7
; %bb.3:
	v_cmp_gt_u32_e32 vcc, s16, v4
	s_mov_b64 s[6:7], 0
	s_mov_b64 s[4:5], 0
                                        ; implicit-def: $vgpr0_vgpr1
	s_and_saveexec_b64 s[12:13], vcc
	s_cbranch_execz .LBB94_5
; %bb.4:
	v_mov_b32_e32 v5, 0
	v_lshlrev_b64 v[0:1], 3, v[4:5]
	v_mov_b32_e32 v7, s15
	v_add_co_u32_e32 v0, vcc, s14, v0
	v_addc_co_u32_e32 v1, vcc, v7, v1, vcc
	v_lshlrev_b64 v[8:9], 2, v[4:5]
	v_mov_b32_e32 v5, s11
	v_add_co_u32_e32 v8, vcc, s10, v8
	s_mov_b64 s[4:5], exec
	v_addc_co_u32_e32 v9, vcc, v5, v9, vcc
	s_waitcnt vmcnt(0)
	global_store_dword v[8:9], v6, off
.LBB94_5:
	s_or_b64 exec, exec, s[12:13]
	s_and_b64 vcc, exec, s[6:7]
	s_cbranch_vccnz .LBB94_8
	s_branch .LBB94_9
.LBB94_6:
	s_mov_b64 s[4:5], 0
                                        ; implicit-def: $vgpr0_vgpr1
	s_cbranch_execnz .LBB94_10
	s_branch .LBB94_24
.LBB94_7:
	s_mov_b64 s[4:5], 0
                                        ; implicit-def: $vgpr0_vgpr1
	s_cbranch_execz .LBB94_9
.LBB94_8:
	v_mov_b32_e32 v5, 0
	v_lshlrev_b64 v[0:1], 2, v[4:5]
	v_mov_b32_e32 v7, s11
	v_add_co_u32_e32 v0, vcc, s10, v0
	v_addc_co_u32_e32 v1, vcc, v7, v1, vcc
	s_waitcnt vmcnt(0)
	global_store_dword v[0:1], v6, off
	v_lshlrev_b64 v[0:1], 3, v[4:5]
	v_mov_b32_e32 v5, s15
	v_add_co_u32_e32 v0, vcc, s14, v0
	v_addc_co_u32_e32 v1, vcc, v5, v1, vcc
	s_or_b64 s[4:5], s[4:5], exec
.LBB94_9:
	s_branch .LBB94_24
.LBB94_10:
	s_min_u32 s12, s19, s16
	s_add_i32 s6, s12, s17
	s_min_u32 s13, s6, s16
	s_min_u32 s6, s23, s12
	s_add_i32 s23, s23, s12
	v_subrev_u32_e32 v0, s23, v4
	v_add_u32_e32 v4, s6, v0
	s_and_b64 vcc, exec, s[20:21]
	s_cbranch_vccz .LBB94_18
; %bb.11:
                                        ; implicit-def: $vgpr0_vgpr1
	s_and_saveexec_b64 s[6:7], s[2:3]
	s_cbranch_execz .LBB94_17
; %bb.12:
	s_cmp_ge_u32 s19, s13
	v_mov_b32_e32 v5, s12
	s_cbranch_scc1 .LBB94_16
; %bb.13:
	s_waitcnt vmcnt(0)
	v_and_b32_e32 v7, s18, v6
	s_mov_b64 s[2:3], 0
	v_mov_b32_e32 v8, s13
	v_mov_b32_e32 v5, s12
	v_mov_b32_e32 v1, 0
	v_mov_b32_e32 v9, s9
.LBB94_14:                              ; =>This Inner Loop Header: Depth=1
	v_add_u32_e32 v0, v5, v8
	v_lshrrev_b32_e32 v0, 1, v0
	v_lshlrev_b64 v[10:11], 2, v[0:1]
	v_add_co_u32_e32 v10, vcc, s8, v10
	v_addc_co_u32_e32 v11, vcc, v9, v11, vcc
	global_load_dword v10, v[10:11], off
	v_add_u32_e32 v11, 1, v0
	s_waitcnt vmcnt(0)
	v_and_b32_e32 v10, s18, v10
	v_cmp_gt_i32_e32 vcc, v7, v10
	v_cndmask_b32_e64 v12, 0, 1, vcc
	v_cmp_le_i32_e32 vcc, v10, v7
	v_cndmask_b32_e64 v10, 0, 1, vcc
	v_cndmask_b32_e64 v10, v10, v12, s[0:1]
	v_and_b32_e32 v10, 1, v10
	v_cmp_eq_u32_e32 vcc, 1, v10
	v_cndmask_b32_e32 v8, v0, v8, vcc
	v_cndmask_b32_e32 v5, v5, v11, vcc
	v_cmp_ge_u32_e32 vcc, v5, v8
	s_or_b64 s[2:3], vcc, s[2:3]
	s_andn2_b64 exec, exec, s[2:3]
	s_cbranch_execnz .LBB94_14
; %bb.15:
	s_or_b64 exec, exec, s[2:3]
.LBB94_16:
	v_add_u32_e32 v0, v5, v4
	v_mov_b32_e32 v1, 0
	v_lshlrev_b64 v[8:9], 2, v[0:1]
	v_mov_b32_e32 v5, s11
	v_add_co_u32_e32 v8, vcc, s10, v8
	v_addc_co_u32_e32 v9, vcc, v5, v9, vcc
	v_lshlrev_b64 v[0:1], 3, v[0:1]
	v_mov_b32_e32 v5, s15
	v_add_co_u32_e32 v0, vcc, s14, v0
	s_waitcnt vmcnt(0)
	global_store_dword v[8:9], v6, off
	v_addc_co_u32_e32 v1, vcc, v5, v1, vcc
	s_or_b64 s[4:5], s[4:5], exec
.LBB94_17:
	s_or_b64 exec, exec, s[6:7]
	s_branch .LBB94_24
.LBB94_18:
                                        ; implicit-def: $vgpr0_vgpr1
	s_cbranch_execz .LBB94_24
; %bb.19:
	s_cmp_ge_u32 s19, s13
	v_mov_b32_e32 v5, s12
	s_cbranch_scc1 .LBB94_23
; %bb.20:
	s_waitcnt vmcnt(0)
	v_and_b32_e32 v7, s18, v6
	s_mov_b64 s[2:3], 0
	v_mov_b32_e32 v8, s13
	v_mov_b32_e32 v5, s12
	;; [unrolled: 1-line block ×4, first 2 shown]
.LBB94_21:                              ; =>This Inner Loop Header: Depth=1
	v_add_u32_e32 v0, v5, v8
	v_lshrrev_b32_e32 v0, 1, v0
	v_lshlrev_b64 v[10:11], 2, v[0:1]
	v_add_co_u32_e32 v10, vcc, s8, v10
	v_addc_co_u32_e32 v11, vcc, v9, v11, vcc
	global_load_dword v10, v[10:11], off
	v_add_u32_e32 v11, 1, v0
	s_waitcnt vmcnt(0)
	v_and_b32_e32 v10, s18, v10
	v_cmp_gt_i32_e32 vcc, v7, v10
	v_cndmask_b32_e64 v12, 0, 1, vcc
	v_cmp_le_i32_e32 vcc, v10, v7
	v_cndmask_b32_e64 v10, 0, 1, vcc
	v_cndmask_b32_e64 v10, v10, v12, s[0:1]
	v_and_b32_e32 v10, 1, v10
	v_cmp_eq_u32_e32 vcc, 1, v10
	v_cndmask_b32_e32 v8, v0, v8, vcc
	v_cndmask_b32_e32 v5, v5, v11, vcc
	v_cmp_ge_u32_e32 vcc, v5, v8
	s_or_b64 s[2:3], vcc, s[2:3]
	s_andn2_b64 exec, exec, s[2:3]
	s_cbranch_execnz .LBB94_21
; %bb.22:
	s_or_b64 exec, exec, s[2:3]
.LBB94_23:
	v_add_u32_e32 v0, v5, v4
	v_mov_b32_e32 v1, 0
	v_lshlrev_b64 v[4:5], 2, v[0:1]
	v_mov_b32_e32 v7, s11
	v_add_co_u32_e32 v4, vcc, s10, v4
	v_addc_co_u32_e32 v5, vcc, v7, v5, vcc
	v_lshlrev_b64 v[0:1], 3, v[0:1]
	s_waitcnt vmcnt(0)
	global_store_dword v[4:5], v6, off
	v_mov_b32_e32 v4, s15
	v_add_co_u32_e32 v0, vcc, s14, v0
	v_addc_co_u32_e32 v1, vcc, v4, v1, vcc
	s_mov_b64 s[4:5], -1
.LBB94_24:
	s_and_b64 exec, exec, s[4:5]
	s_cbranch_execz .LBB94_26
; %bb.25:
	s_waitcnt vmcnt(1)
	global_store_dwordx2 v[0:1], v[2:3], off
.LBB94_26:
	s_endpgm
	.section	.rodata,"a",@progbits
	.p2align	6, 0x0
	.amdhsa_kernel _ZN7rocprim17ROCPRIM_304000_NS6detail33device_block_merge_oddeven_kernelINS1_37wrapped_merge_sort_block_merge_configINS0_14default_configEiN2at4cuda3cub6detail10OpaqueTypeILi8EEEEEPiSC_PSA_SD_jNS1_19radix_merge_compareILb0ELb1EiNS0_19identity_decomposerEEEEEvT0_T1_T2_T3_T4_SL_T5_
		.amdhsa_group_segment_fixed_size 0
		.amdhsa_private_segment_fixed_size 0
		.amdhsa_kernarg_size 44
		.amdhsa_user_sgpr_count 6
		.amdhsa_user_sgpr_private_segment_buffer 1
		.amdhsa_user_sgpr_dispatch_ptr 0
		.amdhsa_user_sgpr_queue_ptr 0
		.amdhsa_user_sgpr_kernarg_segment_ptr 1
		.amdhsa_user_sgpr_dispatch_id 0
		.amdhsa_user_sgpr_flat_scratch_init 0
		.amdhsa_user_sgpr_kernarg_preload_length 0
		.amdhsa_user_sgpr_kernarg_preload_offset 0
		.amdhsa_user_sgpr_private_segment_size 0
		.amdhsa_uses_dynamic_stack 0
		.amdhsa_system_sgpr_private_segment_wavefront_offset 0
		.amdhsa_system_sgpr_workgroup_id_x 1
		.amdhsa_system_sgpr_workgroup_id_y 0
		.amdhsa_system_sgpr_workgroup_id_z 0
		.amdhsa_system_sgpr_workgroup_info 0
		.amdhsa_system_vgpr_workitem_id 0
		.amdhsa_next_free_vgpr 13
		.amdhsa_next_free_sgpr 24
		.amdhsa_accum_offset 16
		.amdhsa_reserve_vcc 1
		.amdhsa_reserve_flat_scratch 0
		.amdhsa_float_round_mode_32 0
		.amdhsa_float_round_mode_16_64 0
		.amdhsa_float_denorm_mode_32 3
		.amdhsa_float_denorm_mode_16_64 3
		.amdhsa_dx10_clamp 1
		.amdhsa_ieee_mode 1
		.amdhsa_fp16_overflow 0
		.amdhsa_tg_split 0
		.amdhsa_exception_fp_ieee_invalid_op 0
		.amdhsa_exception_fp_denorm_src 0
		.amdhsa_exception_fp_ieee_div_zero 0
		.amdhsa_exception_fp_ieee_overflow 0
		.amdhsa_exception_fp_ieee_underflow 0
		.amdhsa_exception_fp_ieee_inexact 0
		.amdhsa_exception_int_div_zero 0
	.end_amdhsa_kernel
	.section	.text._ZN7rocprim17ROCPRIM_304000_NS6detail33device_block_merge_oddeven_kernelINS1_37wrapped_merge_sort_block_merge_configINS0_14default_configEiN2at4cuda3cub6detail10OpaqueTypeILi8EEEEEPiSC_PSA_SD_jNS1_19radix_merge_compareILb0ELb1EiNS0_19identity_decomposerEEEEEvT0_T1_T2_T3_T4_SL_T5_,"axG",@progbits,_ZN7rocprim17ROCPRIM_304000_NS6detail33device_block_merge_oddeven_kernelINS1_37wrapped_merge_sort_block_merge_configINS0_14default_configEiN2at4cuda3cub6detail10OpaqueTypeILi8EEEEEPiSC_PSA_SD_jNS1_19radix_merge_compareILb0ELb1EiNS0_19identity_decomposerEEEEEvT0_T1_T2_T3_T4_SL_T5_,comdat
.Lfunc_end94:
	.size	_ZN7rocprim17ROCPRIM_304000_NS6detail33device_block_merge_oddeven_kernelINS1_37wrapped_merge_sort_block_merge_configINS0_14default_configEiN2at4cuda3cub6detail10OpaqueTypeILi8EEEEEPiSC_PSA_SD_jNS1_19radix_merge_compareILb0ELb1EiNS0_19identity_decomposerEEEEEvT0_T1_T2_T3_T4_SL_T5_, .Lfunc_end94-_ZN7rocprim17ROCPRIM_304000_NS6detail33device_block_merge_oddeven_kernelINS1_37wrapped_merge_sort_block_merge_configINS0_14default_configEiN2at4cuda3cub6detail10OpaqueTypeILi8EEEEEPiSC_PSA_SD_jNS1_19radix_merge_compareILb0ELb1EiNS0_19identity_decomposerEEEEEvT0_T1_T2_T3_T4_SL_T5_
                                        ; -- End function
	.section	.AMDGPU.csdata,"",@progbits
; Kernel info:
; codeLenInByte = 880
; NumSgprs: 28
; NumVgprs: 13
; NumAgprs: 0
; TotalNumVgprs: 13
; ScratchSize: 0
; MemoryBound: 0
; FloatMode: 240
; IeeeMode: 1
; LDSByteSize: 0 bytes/workgroup (compile time only)
; SGPRBlocks: 3
; VGPRBlocks: 1
; NumSGPRsForWavesPerEU: 28
; NumVGPRsForWavesPerEU: 13
; AccumOffset: 16
; Occupancy: 8
; WaveLimiterHint : 0
; COMPUTE_PGM_RSRC2:SCRATCH_EN: 0
; COMPUTE_PGM_RSRC2:USER_SGPR: 6
; COMPUTE_PGM_RSRC2:TRAP_HANDLER: 0
; COMPUTE_PGM_RSRC2:TGID_X_EN: 1
; COMPUTE_PGM_RSRC2:TGID_Y_EN: 0
; COMPUTE_PGM_RSRC2:TGID_Z_EN: 0
; COMPUTE_PGM_RSRC2:TIDIG_COMP_CNT: 0
; COMPUTE_PGM_RSRC3_GFX90A:ACCUM_OFFSET: 3
; COMPUTE_PGM_RSRC3_GFX90A:TG_SPLIT: 0
	.section	.text._ZN7rocprim17ROCPRIM_304000_NS6detail26onesweep_histograms_kernelINS1_34wrapped_radix_sort_onesweep_configINS0_14default_configEiN2at4cuda3cub6detail10OpaqueTypeILi8EEEEELb0EPKimNS0_19identity_decomposerEEEvT1_PT2_SG_SG_T3_jj,"axG",@progbits,_ZN7rocprim17ROCPRIM_304000_NS6detail26onesweep_histograms_kernelINS1_34wrapped_radix_sort_onesweep_configINS0_14default_configEiN2at4cuda3cub6detail10OpaqueTypeILi8EEEEELb0EPKimNS0_19identity_decomposerEEEvT1_PT2_SG_SG_T3_jj,comdat
	.protected	_ZN7rocprim17ROCPRIM_304000_NS6detail26onesweep_histograms_kernelINS1_34wrapped_radix_sort_onesweep_configINS0_14default_configEiN2at4cuda3cub6detail10OpaqueTypeILi8EEEEELb0EPKimNS0_19identity_decomposerEEEvT1_PT2_SG_SG_T3_jj ; -- Begin function _ZN7rocprim17ROCPRIM_304000_NS6detail26onesweep_histograms_kernelINS1_34wrapped_radix_sort_onesweep_configINS0_14default_configEiN2at4cuda3cub6detail10OpaqueTypeILi8EEEEELb0EPKimNS0_19identity_decomposerEEEvT1_PT2_SG_SG_T3_jj
	.globl	_ZN7rocprim17ROCPRIM_304000_NS6detail26onesweep_histograms_kernelINS1_34wrapped_radix_sort_onesweep_configINS0_14default_configEiN2at4cuda3cub6detail10OpaqueTypeILi8EEEEELb0EPKimNS0_19identity_decomposerEEEvT1_PT2_SG_SG_T3_jj
	.p2align	8
	.type	_ZN7rocprim17ROCPRIM_304000_NS6detail26onesweep_histograms_kernelINS1_34wrapped_radix_sort_onesweep_configINS0_14default_configEiN2at4cuda3cub6detail10OpaqueTypeILi8EEEEELb0EPKimNS0_19identity_decomposerEEEvT1_PT2_SG_SG_T3_jj,@function
_ZN7rocprim17ROCPRIM_304000_NS6detail26onesweep_histograms_kernelINS1_34wrapped_radix_sort_onesweep_configINS0_14default_configEiN2at4cuda3cub6detail10OpaqueTypeILi8EEEEELb0EPKimNS0_19identity_decomposerEEEvT1_PT2_SG_SG_T3_jj: ; @_ZN7rocprim17ROCPRIM_304000_NS6detail26onesweep_histograms_kernelINS1_34wrapped_radix_sort_onesweep_configINS0_14default_configEiN2at4cuda3cub6detail10OpaqueTypeILi8EEEEELb0EPKimNS0_19identity_decomposerEEEvT1_PT2_SG_SG_T3_jj
; %bb.0:
	s_load_dwordx8 s[12:19], s[4:5], 0x0
	s_load_dwordx2 s[20:21], s[4:5], 0x24
	s_mov_b32 s7, 0
	s_mul_i32 s1, s6, 0x3000
	s_mul_hi_u32 s0, s6, 0x3000
	s_waitcnt lgkmcnt(0)
	v_pk_mov_b32 v[2:3], s[18:19], s[18:19] op_sel:[0,1]
	v_cmp_ge_u64_e32 vcc, s[6:7], v[2:3]
	s_add_u32 s12, s12, s1
	s_addc_u32 s13, s13, s0
	s_mov_b64 s[0:1], -1
	v_lshlrev_b32_e32 v1, 2, v0
	s_cbranch_vccz .LBB95_52
; %bb.1:
	s_mul_i32 s0, s18, 0xfffff400
	s_add_i32 s16, s0, s16
	v_mov_b32_e32 v2, s13
	v_add_co_u32_e32 v8, vcc, s12, v1
	v_addc_co_u32_e32 v9, vcc, 0, v2, vcc
	v_cmp_gt_u32_e64 s[10:11], s16, v0
                                        ; implicit-def: $vgpr2_vgpr3_vgpr4_vgpr5_vgpr6_vgpr7
	s_and_saveexec_b64 s[0:1], s[10:11]
	s_cbranch_execz .LBB95_3
; %bb.2:
	global_load_dword v2, v[8:9], off
.LBB95_3:
	s_or_b64 exec, exec, s[0:1]
	v_or_b32_e32 v10, 0x200, v0
	v_cmp_gt_u32_e64 s[8:9], s16, v10
	s_and_saveexec_b64 s[0:1], s[8:9]
	s_cbranch_execz .LBB95_5
; %bb.4:
	global_load_dword v3, v[8:9], off offset:2048
.LBB95_5:
	s_or_b64 exec, exec, s[0:1]
	v_or_b32_e32 v10, 0x400, v0
	v_cmp_gt_u32_e64 s[6:7], s16, v10
	s_and_saveexec_b64 s[0:1], s[6:7]
	s_cbranch_execz .LBB95_7
; %bb.6:
	v_add_co_u32_e32 v10, vcc, 0x1000, v8
	v_addc_co_u32_e32 v11, vcc, 0, v9, vcc
	global_load_dword v4, v[10:11], off
.LBB95_7:
	s_or_b64 exec, exec, s[0:1]
	v_or_b32_e32 v10, 0x600, v0
	v_cmp_gt_u32_e64 s[4:5], s16, v10
	s_and_saveexec_b64 s[0:1], s[4:5]
	s_cbranch_execz .LBB95_9
; %bb.8:
	v_add_co_u32_e32 v10, vcc, 0x1000, v8
	v_addc_co_u32_e32 v11, vcc, 0, v9, vcc
	global_load_dword v5, v[10:11], off offset:2048
.LBB95_9:
	s_or_b64 exec, exec, s[0:1]
	v_or_b32_e32 v10, 0x800, v0
	v_cmp_gt_u32_e64 s[2:3], s16, v10
	s_and_saveexec_b64 s[0:1], s[2:3]
	s_cbranch_execz .LBB95_11
; %bb.10:
	v_add_co_u32_e32 v10, vcc, 0x2000, v8
	v_addc_co_u32_e32 v11, vcc, 0, v9, vcc
	global_load_dword v6, v[10:11], off
.LBB95_11:
	s_or_b64 exec, exec, s[0:1]
	v_or_b32_e32 v10, 0xa00, v0
	v_cmp_gt_u32_e64 s[0:1], s16, v10
	s_and_saveexec_b64 s[16:17], s[0:1]
	s_cbranch_execz .LBB95_13
; %bb.12:
	v_add_co_u32_e32 v8, vcc, 0x2000, v8
	v_addc_co_u32_e32 v9, vcc, 0, v9, vcc
	global_load_dword v7, v[8:9], off offset:2048
.LBB95_13:
	s_or_b64 exec, exec, s[16:17]
	v_mov_b32_e32 v8, 0
	s_mov_b64 s[16:17], -1
	ds_write2st64_b32 v1, v8, v8 offset1:8
	ds_write2st64_b32 v1, v8, v8 offset0:16 offset1:24
	s_and_saveexec_b64 s[18:19], s[16:17]
	s_cbranch_execz .LBB95_15
; %bb.14:
	ds_write_b32 v1, v8 offset:8192
.LBB95_15:
	s_or_b64 exec, exec, s[18:19]
	s_and_saveexec_b64 s[18:19], s[16:17]
	s_cbranch_execz .LBB95_17
; %bb.16:
	v_mov_b32_e32 v8, 0
	ds_write_b32 v1, v8 offset:10240
.LBB95_17:
	s_or_b64 exec, exec, s[18:19]
	v_cmp_gt_u32_e64 s[16:17], 7, 6
	v_cmp_gt_u32_e64 s[22:23], 7, 5
	s_and_saveexec_b64 s[18:19], s[22:23]
	s_cbranch_execz .LBB95_19
; %bb.18:
	v_mov_b32_e32 v8, 0
	ds_write_b32 v1, v8 offset:12288
.LBB95_19:
	s_or_b64 exec, exec, s[18:19]
	s_and_saveexec_b64 s[18:19], s[16:17]
	s_cbranch_execz .LBB95_21
; %bb.20:
	v_mov_b32_e32 v8, 0
	ds_write_b32 v1, v8 offset:14336
.LBB95_21:
	s_or_b64 exec, exec, s[18:19]
	s_cmp_gt_u32 s21, s20
	s_cselect_b64 s[16:17], -1, 0
	s_cmp_le_u32 s21, s20
	s_waitcnt lgkmcnt(0)
	s_barrier
	s_cbranch_scc1 .LBB95_46
; %bb.22:
	s_waitcnt vmcnt(0)
	v_xor_b32_e32 v8, 0x80000000, v2
	v_and_b32_e32 v2, 3, v0
	v_lshlrev_b32_e32 v2, 2, v2
	s_sub_i32 s22, s21, s20
	v_mov_b32_e32 v9, 1
	s_mov_b32 s23, s22
	v_mov_b32_e32 v10, v2
	s_mov_b32 s24, s20
	s_branch .LBB95_24
.LBB95_23:                              ;   in Loop: Header=BB95_24 Depth=1
	s_or_b64 exec, exec, s[18:19]
	s_add_i32 s24, s24, 8
	s_add_i32 s23, s23, -8
	s_cmp_lt_u32 s24, s21
	v_add_u32_e32 v10, 0x1000, v10
	s_cbranch_scc0 .LBB95_26
.LBB95_24:                              ; =>This Inner Loop Header: Depth=1
	s_and_saveexec_b64 s[18:19], s[10:11]
	s_cbranch_execz .LBB95_23
; %bb.25:                               ;   in Loop: Header=BB95_24 Depth=1
	s_min_u32 s25, s23, 8
	v_lshrrev_b32_e32 v11, s24, v8
	v_bfe_u32 v11, v11, 0, s25
	v_lshl_add_u32 v11, v11, 4, v10
	ds_add_u32 v11, v9
	s_branch .LBB95_23
.LBB95_26:
	v_xor_b32_e32 v3, 0x80000000, v3
	v_mov_b32_e32 v8, 1
	s_mov_b32 s18, s22
	v_mov_b32_e32 v9, v2
	s_mov_b32 s19, s20
	s_branch .LBB95_28
.LBB95_27:                              ;   in Loop: Header=BB95_28 Depth=1
	s_or_b64 exec, exec, s[10:11]
	s_add_i32 s19, s19, 8
	s_add_i32 s18, s18, -8
	s_cmp_lt_u32 s19, s21
	v_add_u32_e32 v9, 0x1000, v9
	s_cbranch_scc0 .LBB95_30
.LBB95_28:                              ; =>This Inner Loop Header: Depth=1
	s_and_saveexec_b64 s[10:11], s[8:9]
	s_cbranch_execz .LBB95_27
; %bb.29:                               ;   in Loop: Header=BB95_28 Depth=1
	s_min_u32 s23, s18, 8
	v_lshrrev_b32_e32 v10, s19, v3
	v_bfe_u32 v10, v10, 0, s23
	v_lshl_add_u32 v10, v10, 4, v9
	ds_add_u32 v10, v8
	s_branch .LBB95_27
.LBB95_30:
	v_xor_b32_e32 v3, 0x80000000, v4
	;; [unrolled: 24-line block ×5, first 2 shown]
	v_mov_b32_e32 v4, 1
	s_mov_b32 s4, s20
	s_branch .LBB95_44
.LBB95_43:                              ;   in Loop: Header=BB95_44 Depth=1
	s_or_b64 exec, exec, s[2:3]
	s_add_i32 s4, s4, 8
	s_add_i32 s22, s22, -8
	s_cmp_lt_u32 s4, s21
	v_add_u32_e32 v2, 0x1000, v2
	s_cbranch_scc0 .LBB95_46
.LBB95_44:                              ; =>This Inner Loop Header: Depth=1
	s_and_saveexec_b64 s[2:3], s[0:1]
	s_cbranch_execz .LBB95_43
; %bb.45:                               ;   in Loop: Header=BB95_44 Depth=1
	s_min_u32 s5, s22, 8
	v_lshrrev_b32_e32 v5, s4, v3
	v_bfe_u32 v5, v5, 0, s5
	v_lshl_add_u32 v5, v5, 4, v2
	ds_add_u32 v5, v4
	s_branch .LBB95_43
.LBB95_46:
	s_and_b64 vcc, exec, s[16:17]
	s_waitcnt lgkmcnt(0)
	s_barrier
	s_cbranch_vccz .LBB95_51
; %bb.47:
	s_movk_i32 s0, 0x100
	v_cmp_gt_u32_e32 vcc, s0, v0
	s_waitcnt vmcnt(0)
	v_lshlrev_b32_e32 v4, 4, v0
	v_mov_b32_e32 v3, 0
	v_mov_b32_e32 v2, v0
	s_mov_b32 s4, s20
	s_branch .LBB95_49
.LBB95_48:                              ;   in Loop: Header=BB95_49 Depth=1
	s_or_b64 exec, exec, s[2:3]
	s_add_i32 s4, s4, 8
	v_add_u32_e32 v2, 0x100, v2
	s_cmp_lt_u32 s4, s21
	v_add_u32_e32 v4, 0x1000, v4
	s_cbranch_scc0 .LBB95_51
.LBB95_49:                              ; =>This Inner Loop Header: Depth=1
	s_and_saveexec_b64 s[2:3], vcc
	s_cbranch_execz .LBB95_48
; %bb.50:                               ;   in Loop: Header=BB95_49 Depth=1
	ds_read2_b32 v[6:7], v4 offset1:1
	ds_read2_b32 v[8:9], v4 offset0:2 offset1:3
	v_lshlrev_b64 v[10:11], 3, v[2:3]
	v_mov_b32_e32 v5, s15
	s_waitcnt lgkmcnt(1)
	v_add_u32_e32 v6, v7, v6
	s_waitcnt lgkmcnt(0)
	v_add3_u32 v6, v6, v8, v9
	v_add_co_u32_e64 v8, s[0:1], s14, v10
	v_addc_co_u32_e64 v9, s[0:1], v5, v11, s[0:1]
	v_mov_b32_e32 v7, v3
	global_atomic_add_x2 v[8:9], v[6:7], off
	s_branch .LBB95_48
.LBB95_51:
	s_mov_b64 s[0:1], 0
.LBB95_52:
	s_and_b64 vcc, exec, s[0:1]
	s_cbranch_vccz .LBB95_92
; %bb.53:
	s_waitcnt vmcnt(0)
	v_mov_b32_e32 v2, s13
	v_add_co_u32_e32 v4, vcc, s12, v1
	v_addc_co_u32_e32 v5, vcc, 0, v2, vcc
	v_add_co_u32_e32 v2, vcc, 0x1000, v4
	v_addc_co_u32_e32 v3, vcc, 0, v5, vcc
	v_add_co_u32_e32 v10, vcc, 0x2000, v4
	global_load_dword v8, v1, s[12:13] offset:2048
	v_addc_co_u32_e32 v11, vcc, 0, v5, vcc
	global_load_dword v7, v[2:3], off
	global_load_dword v6, v[2:3], off offset:2048
	global_load_dword v5, v[10:11], off
	global_load_dword v9, v1, s[12:13]
	global_load_dword v4, v[10:11], off offset:2048
	s_cmp_eq_u32 s20, 0
	s_cselect_b64 s[0:1], -1, 0
	s_cmp_eq_u32 s21, 32
	s_cselect_b64 s[2:3], -1, 0
	s_and_b64 s[0:1], s[0:1], s[2:3]
	s_mov_b64 s[2:3], -1
	s_and_b64 vcc, exec, s[0:1]
	v_cmp_gt_u32_e64 s[0:1], 7, 4
	v_cmp_gt_u32_e64 s[4:5], 7, 3
	s_cbranch_vccnz .LBB95_81
; %bb.54:
	v_mov_b32_e32 v2, 0
	ds_write2st64_b32 v1, v2, v2 offset1:8
	ds_write2st64_b32 v1, v2, v2 offset0:16 offset1:24
	s_and_saveexec_b64 s[2:3], s[4:5]
	s_cbranch_execz .LBB95_56
; %bb.55:
	ds_write_b32 v1, v2 offset:8192
.LBB95_56:
	s_or_b64 exec, exec, s[2:3]
	s_and_saveexec_b64 s[2:3], s[0:1]
	s_cbranch_execz .LBB95_58
; %bb.57:
	v_mov_b32_e32 v2, 0
	ds_write_b32 v1, v2 offset:10240
.LBB95_58:
	s_or_b64 exec, exec, s[2:3]
	v_cmp_gt_u32_e64 s[0:1], 7, 6
	v_cmp_gt_u32_e64 s[4:5], 7, 5
	s_and_saveexec_b64 s[2:3], s[4:5]
	s_cbranch_execz .LBB95_60
; %bb.59:
	v_mov_b32_e32 v2, 0
	ds_write_b32 v1, v2 offset:12288
.LBB95_60:
	s_or_b64 exec, exec, s[2:3]
	s_and_saveexec_b64 s[2:3], s[0:1]
	s_cbranch_execz .LBB95_62
; %bb.61:
	v_mov_b32_e32 v2, 0
	ds_write_b32 v1, v2 offset:14336
.LBB95_62:
	s_or_b64 exec, exec, s[2:3]
	s_cmp_gt_u32 s21, s20
	s_cselect_b64 s[0:1], -1, 0
	s_cmp_le_u32 s21, s20
	s_waitcnt lgkmcnt(0)
	s_barrier
	s_cbranch_scc1 .LBB95_75
; %bb.63:
	v_and_b32_e32 v2, 3, v0
	v_lshlrev_b32_e32 v2, 2, v2
	s_sub_i32 s2, s21, s20
	s_waitcnt vmcnt(1)
	v_xor_b32_e32 v3, 0x80000000, v9
	v_mov_b32_e32 v10, 1
	s_mov_b32 s3, s2
	v_mov_b32_e32 v11, v2
	s_mov_b32 s4, s20
.LBB95_64:                              ; =>This Inner Loop Header: Depth=1
	s_min_u32 s5, s3, 8
	v_lshrrev_b32_e32 v12, s4, v3
	v_bfe_u32 v12, v12, 0, s5
	v_lshl_add_u32 v12, v12, 4, v11
	ds_add_u32 v12, v10
	s_add_i32 s4, s4, 8
	s_add_i32 s3, s3, -8
	s_cmp_lt_u32 s4, s21
	v_add_u32_e32 v11, 0x1000, v11
	s_cbranch_scc1 .LBB95_64
; %bb.65:
	v_xor_b32_e32 v3, 0x80000000, v8
	v_mov_b32_e32 v10, 1
	s_mov_b32 s3, s2
	v_mov_b32_e32 v11, v2
	s_mov_b32 s4, s20
.LBB95_66:                              ; =>This Inner Loop Header: Depth=1
	s_min_u32 s5, s3, 8
	v_lshrrev_b32_e32 v12, s4, v3
	v_bfe_u32 v12, v12, 0, s5
	v_lshl_add_u32 v12, v12, 4, v11
	ds_add_u32 v12, v10
	s_add_i32 s4, s4, 8
	s_add_i32 s3, s3, -8
	s_cmp_lt_u32 s4, s21
	v_add_u32_e32 v11, 0x1000, v11
	s_cbranch_scc1 .LBB95_66
; %bb.67:
	;; [unrolled: 17-line block ×5, first 2 shown]
	s_waitcnt vmcnt(0)
	v_xor_b32_e32 v3, 0x80000000, v4
	v_mov_b32_e32 v10, 1
	s_mov_b32 s3, s20
.LBB95_74:                              ; =>This Inner Loop Header: Depth=1
	s_min_u32 s4, s2, 8
	v_lshrrev_b32_e32 v11, s3, v3
	v_bfe_u32 v11, v11, 0, s4
	v_lshl_add_u32 v11, v11, 4, v2
	ds_add_u32 v11, v10
	s_add_i32 s3, s3, 8
	s_add_i32 s2, s2, -8
	s_cmp_lt_u32 s3, s21
	v_add_u32_e32 v2, 0x1000, v2
	s_cbranch_scc1 .LBB95_74
.LBB95_75:
	s_and_b64 vcc, exec, s[0:1]
	s_waitcnt lgkmcnt(0)
	s_barrier
	s_cbranch_vccz .LBB95_80
; %bb.76:
	s_movk_i32 s0, 0x100
	v_cmp_gt_u32_e32 vcc, s0, v0
	v_lshlrev_b32_e32 v10, 4, v0
	v_mov_b32_e32 v3, 0
	v_mov_b32_e32 v2, v0
	s_branch .LBB95_78
.LBB95_77:                              ;   in Loop: Header=BB95_78 Depth=1
	s_or_b64 exec, exec, s[2:3]
	s_add_i32 s20, s20, 8
	v_add_u32_e32 v2, 0x100, v2
	s_cmp_ge_u32 s20, s21
	v_add_u32_e32 v10, 0x1000, v10
	s_cbranch_scc1 .LBB95_80
.LBB95_78:                              ; =>This Inner Loop Header: Depth=1
	s_and_saveexec_b64 s[2:3], vcc
	s_cbranch_execz .LBB95_77
; %bb.79:                               ;   in Loop: Header=BB95_78 Depth=1
	ds_read2_b32 v[12:13], v10 offset1:1
	ds_read2_b32 v[14:15], v10 offset0:2 offset1:3
	v_lshlrev_b64 v[16:17], 3, v[2:3]
	v_mov_b32_e32 v11, s15
	s_waitcnt lgkmcnt(1)
	v_add_u32_e32 v12, v13, v12
	s_waitcnt lgkmcnt(0)
	v_add3_u32 v12, v12, v14, v15
	v_add_co_u32_e64 v14, s[0:1], s14, v16
	v_addc_co_u32_e64 v15, s[0:1], v11, v17, s[0:1]
	v_mov_b32_e32 v13, v3
	global_atomic_add_x2 v[14:15], v[12:13], off
	s_branch .LBB95_77
.LBB95_80:
	s_mov_b64 s[2:3], 0
.LBB95_81:
	s_and_b64 vcc, exec, s[2:3]
	s_cbranch_vccz .LBB95_92
; %bb.82:
	v_mov_b32_e32 v2, 0
	v_cmp_gt_u32_e64 s[0:1], 7, 4
	v_cmp_gt_u32_e64 s[4:5], 7, 3
	ds_write2st64_b32 v1, v2, v2 offset1:8
	ds_write2st64_b32 v1, v2, v2 offset0:16 offset1:24
	s_and_saveexec_b64 s[2:3], s[4:5]
	s_cbranch_execz .LBB95_84
; %bb.83:
	ds_write_b32 v1, v2 offset:8192
.LBB95_84:
	s_or_b64 exec, exec, s[2:3]
	s_and_saveexec_b64 s[2:3], s[0:1]
	s_cbranch_execz .LBB95_86
; %bb.85:
	v_mov_b32_e32 v2, 0
	ds_write_b32 v1, v2 offset:10240
.LBB95_86:
	s_or_b64 exec, exec, s[2:3]
	v_cmp_gt_u32_e64 s[0:1], 7, 6
	v_cmp_gt_u32_e64 s[4:5], 7, 5
	s_and_saveexec_b64 s[2:3], s[4:5]
	s_cbranch_execz .LBB95_88
; %bb.87:
	v_mov_b32_e32 v2, 0
	ds_write_b32 v1, v2 offset:12288
.LBB95_88:
	s_or_b64 exec, exec, s[2:3]
	s_and_saveexec_b64 s[2:3], s[0:1]
	s_cbranch_execz .LBB95_90
; %bb.89:
	v_mov_b32_e32 v2, 0
	ds_write_b32 v1, v2 offset:14336
.LBB95_90:
	s_or_b64 exec, exec, s[2:3]
	v_and_b32_e32 v1, 3, v0
	s_waitcnt vmcnt(1)
	v_lshlrev_b32_e32 v2, 2, v9
	s_movk_i32 s0, 0x3fc
	v_and_or_b32 v2, v2, s0, v1
	v_lshlrev_b32_e32 v2, 2, v2
	v_mov_b32_e32 v3, 1
	s_waitcnt lgkmcnt(0)
	s_barrier
	ds_add_u32 v2, v3
	v_bfe_u32 v2, v9, 8, 8
	v_lshl_or_b32 v2, v2, 2, v1
	v_lshlrev_b32_e32 v2, 2, v2
	ds_add_u32 v2, v3 offset:4096
	v_bfe_u32 v2, v9, 16, 8
	v_lshl_or_b32 v2, v2, 2, v1
	v_lshlrev_b32_e32 v2, 2, v2
	ds_add_u32 v2, v3 offset:8192
	v_lshrrev_b32_e32 v2, 24, v9
	v_or_b32_e32 v9, 0xc00, v1
	v_lshl_or_b32 v2, v2, 2, v9
	v_xor_b32_e32 v2, 0x200, v2
	v_lshlrev_b32_e32 v2, 2, v2
	ds_add_u32 v2, v3
	v_lshlrev_b32_e32 v2, 2, v8
	v_and_or_b32 v2, v2, s0, v1
	v_lshlrev_b32_e32 v2, 2, v2
	ds_add_u32 v2, v3
	v_bfe_u32 v2, v8, 8, 8
	v_lshl_or_b32 v2, v2, 2, v1
	v_lshlrev_b32_e32 v2, 2, v2
	ds_add_u32 v2, v3 offset:4096
	v_bfe_u32 v2, v8, 16, 8
	v_lshl_or_b32 v2, v2, 2, v1
	v_lshlrev_b32_e32 v2, 2, v2
	ds_add_u32 v2, v3 offset:8192
	v_lshrrev_b32_e32 v2, 24, v8
	v_lshl_or_b32 v2, v2, 2, v9
	v_xor_b32_e32 v2, 0x200, v2
	v_lshlrev_b32_e32 v2, 2, v2
	ds_add_u32 v2, v3
	v_lshlrev_b32_e32 v2, 2, v7
	v_and_or_b32 v2, v2, s0, v1
	v_lshlrev_b32_e32 v2, 2, v2
	ds_add_u32 v2, v3
	v_bfe_u32 v2, v7, 8, 8
	v_lshl_or_b32 v2, v2, 2, v1
	v_lshlrev_b32_e32 v2, 2, v2
	ds_add_u32 v2, v3 offset:4096
	v_bfe_u32 v2, v7, 16, 8
	v_lshl_or_b32 v2, v2, 2, v1
	v_lshlrev_b32_e32 v2, 2, v2
	ds_add_u32 v2, v3 offset:8192
	v_lshrrev_b32_e32 v2, 24, v7
	;; [unrolled: 17-line block ×4, first 2 shown]
	v_lshl_or_b32 v2, v2, 2, v9
	v_xor_b32_e32 v2, 0x200, v2
	v_lshlrev_b32_e32 v2, 2, v2
	ds_add_u32 v2, v3
	s_waitcnt vmcnt(0)
	v_lshlrev_b32_e32 v2, 2, v4
	v_and_or_b32 v2, v2, s0, v1
	v_lshlrev_b32_e32 v2, 2, v2
	ds_add_u32 v2, v3
	v_bfe_u32 v2, v4, 8, 8
	v_lshl_or_b32 v2, v2, 2, v1
	v_lshlrev_b32_e32 v2, 2, v2
	ds_add_u32 v2, v3 offset:4096
	v_bfe_u32 v2, v4, 16, 8
	v_lshl_or_b32 v1, v2, 2, v1
	v_lshlrev_b32_e32 v1, 2, v1
	ds_add_u32 v1, v3 offset:8192
	v_lshrrev_b32_e32 v1, 24, v4
	v_lshl_or_b32 v1, v1, 2, v9
	v_xor_b32_e32 v1, 0x200, v1
	v_lshlrev_b32_e32 v1, 2, v1
	ds_add_u32 v1, v3
	s_movk_i32 s0, 0x100
	v_cmp_gt_u32_e32 vcc, s0, v0
	s_waitcnt lgkmcnt(0)
	s_barrier
	s_and_saveexec_b64 s[0:1], vcc
	s_cbranch_execz .LBB95_92
; %bb.91:
	v_lshlrev_b32_e32 v6, 4, v0
	ds_read2_b32 v[2:3], v6 offset1:1
	ds_read2_b32 v[4:5], v6 offset0:2 offset1:3
	v_lshlrev_b32_e32 v7, 3, v0
	v_mov_b32_e32 v1, 0
	v_add_u32_e32 v8, 0x1000, v6
	s_waitcnt lgkmcnt(1)
	v_add_u32_e32 v0, v3, v2
	s_waitcnt lgkmcnt(0)
	v_add3_u32 v0, v0, v4, v5
	global_atomic_add_x2 v7, v[0:1], s[14:15]
	v_add_u32_e32 v0, 0x1008, v6
	ds_read2_b32 v[2:3], v8 offset1:1
	ds_read2_b32 v[4:5], v0 offset1:1
	v_or_b32_e32 v8, 0x2000, v6
	v_or_b32_e32 v9, 0x2008, v6
	s_waitcnt lgkmcnt(1)
	v_add_u32_e32 v0, v3, v2
	s_waitcnt lgkmcnt(0)
	v_add3_u32 v0, v0, v4, v5
	global_atomic_add_x2 v7, v[0:1], s[14:15] offset:2048
	ds_read2_b32 v[2:3], v8 offset1:1
	ds_read2_b32 v[4:5], v9 offset1:1
	v_or_b32_e32 v8, 0x1000, v7
	v_add_u32_e32 v9, 0x3000, v6
	v_add_u32_e32 v6, 0x3008, v6
	s_waitcnt lgkmcnt(1)
	v_add_u32_e32 v0, v3, v2
	s_waitcnt lgkmcnt(0)
	v_add3_u32 v0, v0, v4, v5
	global_atomic_add_x2 v8, v[0:1], s[14:15]
	ds_read2_b32 v[2:3], v9 offset1:1
	ds_read2_b32 v[4:5], v6 offset1:1
	s_waitcnt lgkmcnt(1)
	v_add_u32_e32 v0, v3, v2
	s_waitcnt lgkmcnt(0)
	v_add3_u32 v0, v0, v4, v5
	v_or_b32_e32 v2, 0x1800, v7
	global_atomic_add_x2 v2, v[0:1], s[14:15]
.LBB95_92:
	s_endpgm
	.section	.rodata,"a",@progbits
	.p2align	6, 0x0
	.amdhsa_kernel _ZN7rocprim17ROCPRIM_304000_NS6detail26onesweep_histograms_kernelINS1_34wrapped_radix_sort_onesweep_configINS0_14default_configEiN2at4cuda3cub6detail10OpaqueTypeILi8EEEEELb0EPKimNS0_19identity_decomposerEEEvT1_PT2_SG_SG_T3_jj
		.amdhsa_group_segment_fixed_size 16384
		.amdhsa_private_segment_fixed_size 0
		.amdhsa_kernarg_size 44
		.amdhsa_user_sgpr_count 6
		.amdhsa_user_sgpr_private_segment_buffer 1
		.amdhsa_user_sgpr_dispatch_ptr 0
		.amdhsa_user_sgpr_queue_ptr 0
		.amdhsa_user_sgpr_kernarg_segment_ptr 1
		.amdhsa_user_sgpr_dispatch_id 0
		.amdhsa_user_sgpr_flat_scratch_init 0
		.amdhsa_user_sgpr_kernarg_preload_length 0
		.amdhsa_user_sgpr_kernarg_preload_offset 0
		.amdhsa_user_sgpr_private_segment_size 0
		.amdhsa_uses_dynamic_stack 0
		.amdhsa_system_sgpr_private_segment_wavefront_offset 0
		.amdhsa_system_sgpr_workgroup_id_x 1
		.amdhsa_system_sgpr_workgroup_id_y 0
		.amdhsa_system_sgpr_workgroup_id_z 0
		.amdhsa_system_sgpr_workgroup_info 0
		.amdhsa_system_vgpr_workitem_id 0
		.amdhsa_next_free_vgpr 18
		.amdhsa_next_free_sgpr 26
		.amdhsa_accum_offset 20
		.amdhsa_reserve_vcc 1
		.amdhsa_reserve_flat_scratch 0
		.amdhsa_float_round_mode_32 0
		.amdhsa_float_round_mode_16_64 0
		.amdhsa_float_denorm_mode_32 3
		.amdhsa_float_denorm_mode_16_64 3
		.amdhsa_dx10_clamp 1
		.amdhsa_ieee_mode 1
		.amdhsa_fp16_overflow 0
		.amdhsa_tg_split 0
		.amdhsa_exception_fp_ieee_invalid_op 0
		.amdhsa_exception_fp_denorm_src 0
		.amdhsa_exception_fp_ieee_div_zero 0
		.amdhsa_exception_fp_ieee_overflow 0
		.amdhsa_exception_fp_ieee_underflow 0
		.amdhsa_exception_fp_ieee_inexact 0
		.amdhsa_exception_int_div_zero 0
	.end_amdhsa_kernel
	.section	.text._ZN7rocprim17ROCPRIM_304000_NS6detail26onesweep_histograms_kernelINS1_34wrapped_radix_sort_onesweep_configINS0_14default_configEiN2at4cuda3cub6detail10OpaqueTypeILi8EEEEELb0EPKimNS0_19identity_decomposerEEEvT1_PT2_SG_SG_T3_jj,"axG",@progbits,_ZN7rocprim17ROCPRIM_304000_NS6detail26onesweep_histograms_kernelINS1_34wrapped_radix_sort_onesweep_configINS0_14default_configEiN2at4cuda3cub6detail10OpaqueTypeILi8EEEEELb0EPKimNS0_19identity_decomposerEEEvT1_PT2_SG_SG_T3_jj,comdat
.Lfunc_end95:
	.size	_ZN7rocprim17ROCPRIM_304000_NS6detail26onesweep_histograms_kernelINS1_34wrapped_radix_sort_onesweep_configINS0_14default_configEiN2at4cuda3cub6detail10OpaqueTypeILi8EEEEELb0EPKimNS0_19identity_decomposerEEEvT1_PT2_SG_SG_T3_jj, .Lfunc_end95-_ZN7rocprim17ROCPRIM_304000_NS6detail26onesweep_histograms_kernelINS1_34wrapped_radix_sort_onesweep_configINS0_14default_configEiN2at4cuda3cub6detail10OpaqueTypeILi8EEEEELb0EPKimNS0_19identity_decomposerEEEvT1_PT2_SG_SG_T3_jj
                                        ; -- End function
	.section	.AMDGPU.csdata,"",@progbits
; Kernel info:
; codeLenInByte = 3380
; NumSgprs: 30
; NumVgprs: 18
; NumAgprs: 0
; TotalNumVgprs: 18
; ScratchSize: 0
; MemoryBound: 0
; FloatMode: 240
; IeeeMode: 1
; LDSByteSize: 16384 bytes/workgroup (compile time only)
; SGPRBlocks: 3
; VGPRBlocks: 2
; NumSGPRsForWavesPerEU: 30
; NumVGPRsForWavesPerEU: 18
; AccumOffset: 20
; Occupancy: 8
; WaveLimiterHint : 1
; COMPUTE_PGM_RSRC2:SCRATCH_EN: 0
; COMPUTE_PGM_RSRC2:USER_SGPR: 6
; COMPUTE_PGM_RSRC2:TRAP_HANDLER: 0
; COMPUTE_PGM_RSRC2:TGID_X_EN: 1
; COMPUTE_PGM_RSRC2:TGID_Y_EN: 0
; COMPUTE_PGM_RSRC2:TGID_Z_EN: 0
; COMPUTE_PGM_RSRC2:TIDIG_COMP_CNT: 0
; COMPUTE_PGM_RSRC3_GFX90A:ACCUM_OFFSET: 4
; COMPUTE_PGM_RSRC3_GFX90A:TG_SPLIT: 0
	.section	.text._ZN7rocprim17ROCPRIM_304000_NS6detail25onesweep_iteration_kernelINS1_34wrapped_radix_sort_onesweep_configINS0_14default_configEiN2at4cuda3cub6detail10OpaqueTypeILi8EEEEELb0EPKiPiPKSA_PSA_mNS0_19identity_decomposerEEEvT1_T2_T3_T4_jPT5_SO_PNS1_23onesweep_lookback_stateET6_jjj,"axG",@progbits,_ZN7rocprim17ROCPRIM_304000_NS6detail25onesweep_iteration_kernelINS1_34wrapped_radix_sort_onesweep_configINS0_14default_configEiN2at4cuda3cub6detail10OpaqueTypeILi8EEEEELb0EPKiPiPKSA_PSA_mNS0_19identity_decomposerEEEvT1_T2_T3_T4_jPT5_SO_PNS1_23onesweep_lookback_stateET6_jjj,comdat
	.protected	_ZN7rocprim17ROCPRIM_304000_NS6detail25onesweep_iteration_kernelINS1_34wrapped_radix_sort_onesweep_configINS0_14default_configEiN2at4cuda3cub6detail10OpaqueTypeILi8EEEEELb0EPKiPiPKSA_PSA_mNS0_19identity_decomposerEEEvT1_T2_T3_T4_jPT5_SO_PNS1_23onesweep_lookback_stateET6_jjj ; -- Begin function _ZN7rocprim17ROCPRIM_304000_NS6detail25onesweep_iteration_kernelINS1_34wrapped_radix_sort_onesweep_configINS0_14default_configEiN2at4cuda3cub6detail10OpaqueTypeILi8EEEEELb0EPKiPiPKSA_PSA_mNS0_19identity_decomposerEEEvT1_T2_T3_T4_jPT5_SO_PNS1_23onesweep_lookback_stateET6_jjj
	.globl	_ZN7rocprim17ROCPRIM_304000_NS6detail25onesweep_iteration_kernelINS1_34wrapped_radix_sort_onesweep_configINS0_14default_configEiN2at4cuda3cub6detail10OpaqueTypeILi8EEEEELb0EPKiPiPKSA_PSA_mNS0_19identity_decomposerEEEvT1_T2_T3_T4_jPT5_SO_PNS1_23onesweep_lookback_stateET6_jjj
	.p2align	8
	.type	_ZN7rocprim17ROCPRIM_304000_NS6detail25onesweep_iteration_kernelINS1_34wrapped_radix_sort_onesweep_configINS0_14default_configEiN2at4cuda3cub6detail10OpaqueTypeILi8EEEEELb0EPKiPiPKSA_PSA_mNS0_19identity_decomposerEEEvT1_T2_T3_T4_jPT5_SO_PNS1_23onesweep_lookback_stateET6_jjj,@function
_ZN7rocprim17ROCPRIM_304000_NS6detail25onesweep_iteration_kernelINS1_34wrapped_radix_sort_onesweep_configINS0_14default_configEiN2at4cuda3cub6detail10OpaqueTypeILi8EEEEELb0EPKiPiPKSA_PSA_mNS0_19identity_decomposerEEEvT1_T2_T3_T4_jPT5_SO_PNS1_23onesweep_lookback_stateET6_jjj: ; @_ZN7rocprim17ROCPRIM_304000_NS6detail25onesweep_iteration_kernelINS1_34wrapped_radix_sort_onesweep_configINS0_14default_configEiN2at4cuda3cub6detail10OpaqueTypeILi8EEEEELb0EPKiPiPKSA_PSA_mNS0_19identity_decomposerEEEvT1_T2_T3_T4_jPT5_SO_PNS1_23onesweep_lookback_stateET6_jjj
; %bb.0:
	s_load_dwordx4 s[48:51], s[4:5], 0x44
	s_load_dwordx8 s[36:43], s[4:5], 0x0
	s_load_dwordx4 s[44:47], s[4:5], 0x28
	s_load_dwordx2 s[34:35], s[4:5], 0x38
	s_mul_i32 s30, s6, 0xc00
	s_waitcnt lgkmcnt(0)
	s_cmp_ge_u32 s6, s50
	v_mbcnt_lo_u32_b32 v1, -1, 0
	s_cbranch_scc0 .LBB96_86
; %bb.1:
	s_load_dword s2, s[4:5], 0x20
	s_mulk_i32 s50, 0xf400
	s_mov_b32 s31, 0
	s_lshl_b64 s[0:1], s[30:31], 2
	v_and_b32_e32 v8, 0x3ff, v0
	s_waitcnt lgkmcnt(0)
	s_add_i32 s50, s50, s2
	s_add_u32 s0, s36, s0
	v_mbcnt_hi_u32_b32 v14, -1, v1
	s_addc_u32 s1, s37, s1
	v_and_b32_e32 v15, 0x1c0, v8
	v_lshlrev_b32_e32 v2, 2, v14
	v_mul_u32_u24_e32 v9, 6, v15
	v_mov_b32_e32 v3, s1
	v_add_co_u32_e32 v2, vcc, s0, v2
	v_addc_co_u32_e32 v3, vcc, 0, v3, vcc
	v_lshlrev_b32_e32 v4, 2, v9
	s_brev_b32 s8, -2
	v_add_co_u32_e32 v10, vcc, v2, v4
	s_mov_b32 s9, s8
	v_addc_co_u32_e32 v11, vcc, 0, v3, vcc
	v_or_b32_e32 v12, v14, v9
	s_mov_b32 s10, s8
	s_mov_b32 s11, s8
	;; [unrolled: 1-line block ×4, first 2 shown]
	v_pk_mov_b32 v[2:3], s[8:9], s[8:9] op_sel:[0,1]
	v_cmp_gt_u32_e32 vcc, s50, v12
	v_pk_mov_b32 v[4:5], s[10:11], s[10:11] op_sel:[0,1]
	v_pk_mov_b32 v[6:7], s[12:13], s[12:13] op_sel:[0,1]
	s_and_saveexec_b64 s[0:1], vcc
	s_cbranch_execz .LBB96_3
; %bb.2:
	global_load_dword v2, v[10:11], off
	v_bfrev_b32_e32 v3, -2
	v_mov_b32_e32 v4, v3
	v_mov_b32_e32 v5, v3
	;; [unrolled: 1-line block ×4, first 2 shown]
.LBB96_3:
	s_or_b64 exec, exec, s[0:1]
	v_add_u32_e32 v13, 64, v12
	v_cmp_gt_u32_e64 s[0:1], s50, v13
	s_and_saveexec_b64 s[2:3], s[0:1]
	s_cbranch_execz .LBB96_5
; %bb.4:
	global_load_dword v3, v[10:11], off offset:256
.LBB96_5:
	s_or_b64 exec, exec, s[2:3]
	v_add_u32_e32 v13, 0x80, v12
	v_cmp_gt_u32_e64 s[2:3], s50, v13
	s_and_saveexec_b64 s[8:9], s[2:3]
	s_cbranch_execz .LBB96_7
; %bb.6:
	global_load_dword v4, v[10:11], off offset:512
.LBB96_7:
	;; [unrolled: 8-line block ×5, first 2 shown]
	s_or_b64 exec, exec, s[12:13]
	s_load_dword s12, s[4:5], 0x5c
	s_load_dword s7, s[4:5], 0x50
	s_add_u32 s13, s4, 0x50
	s_addc_u32 s14, s5, 0
	v_mov_b32_e32 v10, 0
	s_waitcnt lgkmcnt(0)
	s_lshr_b32 s15, s12, 16
	s_cmp_lt_u32 s6, s7
	s_cselect_b32 s12, 12, 18
	s_add_u32 s12, s13, s12
	s_addc_u32 s13, s14, 0
	global_load_ushort v12, v10, s[12:13]
	s_waitcnt vmcnt(1)
	v_xor_b32_e32 v16, 0x80000000, v2
	v_mul_u32_u24_e32 v13, 5, v8
	s_lshl_b32 s12, -1, s49
	v_lshlrev_b32_e32 v17, 2, v13
	v_lshrrev_b32_e32 v13, s48, v16
	s_not_b32 s33, s12
	v_and_b32_e32 v13, s33, v13
	v_and_b32_e32 v19, 1, v13
	v_bfe_u32 v2, v0, 10, 10
	v_bfe_u32 v11, v0, 20, 10
	v_add_co_u32_e64 v20, s[12:13], -1, v19
	v_mad_u32_u24 v2, v11, s15, v2
	v_lshlrev_b32_e32 v11, 30, v13
	v_addc_co_u32_e64 v21, s[12:13], 0, -1, s[12:13]
	v_cmp_ne_u32_e64 s[12:13], 0, v19
	v_cmp_gt_i64_e64 s[14:15], 0, v[10:11]
	v_not_b32_e32 v19, v11
	v_lshlrev_b32_e32 v11, 29, v13
	v_xor_b32_e32 v21, s13, v21
	v_xor_b32_e32 v20, s12, v20
	v_ashrrev_i32_e32 v19, 31, v19
	v_cmp_gt_i64_e64 s[12:13], 0, v[10:11]
	v_not_b32_e32 v22, v11
	v_lshlrev_b32_e32 v11, 28, v13
	v_and_b32_e32 v21, exec_hi, v21
	v_and_b32_e32 v20, exec_lo, v20
	v_xor_b32_e32 v23, s15, v19
	v_xor_b32_e32 v19, s14, v19
	v_ashrrev_i32_e32 v22, 31, v22
	v_cmp_gt_i64_e64 s[14:15], 0, v[10:11]
	v_not_b32_e32 v24, v11
	v_lshlrev_b32_e32 v11, 27, v13
	v_and_b32_e32 v21, v21, v23
	v_and_b32_e32 v19, v20, v19
	v_xor_b32_e32 v20, s13, v22
	v_xor_b32_e32 v22, s12, v22
	v_ashrrev_i32_e32 v23, 31, v24
	v_cmp_gt_i64_e64 s[12:13], 0, v[10:11]
	v_not_b32_e32 v24, v11
	v_lshlrev_b32_e32 v11, 26, v13
	v_and_b32_e32 v20, v21, v20
	v_and_b32_e32 v19, v19, v22
	;; [unrolled: 8-line block ×3, first 2 shown]
	v_xor_b32_e32 v21, s13, v23
	v_xor_b32_e32 v22, s12, v23
	v_ashrrev_i32_e32 v23, 31, v24
	v_not_b32_e32 v24, v11
	v_lshl_add_u32 v18, v13, 3, v13
	v_cmp_gt_i64_e64 s[12:13], 0, v[10:11]
	v_lshlrev_b32_e32 v11, 24, v13
	v_and_b32_e32 v13, v20, v21
	v_and_b32_e32 v19, v19, v22
	v_xor_b32_e32 v20, s15, v23
	v_ashrrev_i32_e32 v22, 31, v24
	v_xor_b32_e32 v21, s14, v23
	v_cmp_gt_i64_e64 s[14:15], 0, v[10:11]
	v_not_b32_e32 v11, v11
	v_and_b32_e32 v13, v13, v20
	v_xor_b32_e32 v20, s13, v22
	v_and_b32_e32 v19, v19, v21
	v_xor_b32_e32 v21, s12, v22
	v_and_b32_e32 v20, v13, v20
	v_and_b32_e32 v21, v19, v21
	ds_write2_b32 v17, v10, v10 offset0:8 offset1:9
	ds_write2_b32 v17, v10, v10 offset0:10 offset1:11
	ds_write_b32 v17, v10 offset:48
	s_waitcnt lgkmcnt(0)
	s_barrier
	s_waitcnt lgkmcnt(0)
	; wave barrier
	s_waitcnt vmcnt(0)
	v_mad_u64_u32 v[12:13], s[12:13], v2, v12, v[8:9]
	v_ashrrev_i32_e32 v2, 31, v11
	v_xor_b32_e32 v11, s15, v2
	v_xor_b32_e32 v2, s14, v2
	v_lshrrev_b32_e32 v23, 6, v12
	v_and_b32_e32 v12, v21, v2
	v_and_b32_e32 v13, v20, v11
	v_mbcnt_lo_u32_b32 v2, v12, 0
	v_add_lshl_u32 v19, v23, v18, 2
	v_mbcnt_hi_u32_b32 v18, v13, v2
	v_cmp_eq_u32_e64 s[12:13], 0, v18
	v_cmp_ne_u64_e64 s[14:15], 0, v[12:13]
	s_and_b64 s[14:15], s[14:15], s[12:13]
	s_and_saveexec_b64 s[12:13], s[14:15]
	s_cbranch_execz .LBB96_15
; %bb.14:
	v_bcnt_u32_b32 v2, v12, 0
	v_bcnt_u32_b32 v2, v13, v2
	ds_write_b32 v19, v2 offset:32
.LBB96_15:
	s_or_b64 exec, exec, s[12:13]
	v_xor_b32_e32 v12, 0x80000000, v3
	v_lshrrev_b32_e32 v2, s48, v12
	v_and_b32_e32 v2, s33, v2
	v_lshl_add_u32 v3, v2, 3, v2
	v_add_lshl_u32 v20, v23, v3, 2
	v_and_b32_e32 v3, 1, v2
	v_add_co_u32_e64 v11, s[12:13], -1, v3
	v_addc_co_u32_e64 v21, s[12:13], 0, -1, s[12:13]
	v_cmp_ne_u32_e64 s[12:13], 0, v3
	v_xor_b32_e32 v11, s12, v11
	v_xor_b32_e32 v3, s13, v21
	v_and_b32_e32 v21, exec_lo, v11
	v_lshlrev_b32_e32 v11, 30, v2
	v_cmp_gt_i64_e64 s[12:13], 0, v[10:11]
	v_not_b32_e32 v11, v11
	v_ashrrev_i32_e32 v11, 31, v11
	v_xor_b32_e32 v22, s13, v11
	v_xor_b32_e32 v11, s12, v11
	v_and_b32_e32 v21, v21, v11
	v_lshlrev_b32_e32 v11, 29, v2
	v_cmp_gt_i64_e64 s[12:13], 0, v[10:11]
	v_not_b32_e32 v11, v11
	v_and_b32_e32 v3, exec_hi, v3
	v_ashrrev_i32_e32 v11, 31, v11
	v_and_b32_e32 v3, v3, v22
	v_xor_b32_e32 v22, s13, v11
	v_xor_b32_e32 v11, s12, v11
	v_and_b32_e32 v21, v21, v11
	v_lshlrev_b32_e32 v11, 28, v2
	v_cmp_gt_i64_e64 s[12:13], 0, v[10:11]
	v_not_b32_e32 v11, v11
	v_ashrrev_i32_e32 v11, 31, v11
	v_and_b32_e32 v3, v3, v22
	v_xor_b32_e32 v22, s13, v11
	v_xor_b32_e32 v11, s12, v11
	v_and_b32_e32 v21, v21, v11
	v_lshlrev_b32_e32 v11, 27, v2
	v_cmp_gt_i64_e64 s[12:13], 0, v[10:11]
	v_not_b32_e32 v11, v11
	;; [unrolled: 8-line block ×4, first 2 shown]
	v_ashrrev_i32_e32 v11, 31, v11
	v_and_b32_e32 v3, v3, v22
	v_xor_b32_e32 v22, s13, v11
	v_xor_b32_e32 v11, s12, v11
	v_and_b32_e32 v21, v21, v11
	v_lshlrev_b32_e32 v11, 24, v2
	v_not_b32_e32 v2, v11
	v_cmp_gt_i64_e64 s[12:13], 0, v[10:11]
	v_ashrrev_i32_e32 v2, 31, v2
	v_xor_b32_e32 v10, s13, v2
	v_xor_b32_e32 v2, s12, v2
	; wave barrier
	ds_read_b32 v13, v20 offset:32
	v_and_b32_e32 v3, v3, v22
	v_and_b32_e32 v2, v21, v2
	;; [unrolled: 1-line block ×3, first 2 shown]
	v_mbcnt_lo_u32_b32 v10, v2, 0
	v_mbcnt_hi_u32_b32 v21, v3, v10
	v_cmp_eq_u32_e64 s[12:13], 0, v21
	v_cmp_ne_u64_e64 s[14:15], 0, v[2:3]
	s_and_b64 s[14:15], s[14:15], s[12:13]
	; wave barrier
	s_and_saveexec_b64 s[12:13], s[14:15]
	s_cbranch_execz .LBB96_17
; %bb.16:
	v_bcnt_u32_b32 v2, v2, 0
	v_bcnt_u32_b32 v2, v3, v2
	s_waitcnt lgkmcnt(0)
	v_add_u32_e32 v2, v13, v2
	ds_write_b32 v20, v2 offset:32
.LBB96_17:
	s_or_b64 exec, exec, s[12:13]
	v_xor_b32_e32 v22, 0x80000000, v4
	v_lshrrev_b32_e32 v2, s48, v22
	v_and_b32_e32 v4, s33, v2
	v_and_b32_e32 v3, 1, v4
	v_add_co_u32_e64 v10, s[12:13], -1, v3
	v_addc_co_u32_e64 v11, s[12:13], 0, -1, s[12:13]
	v_cmp_ne_u32_e64 s[12:13], 0, v3
	v_lshl_add_u32 v2, v4, 3, v4
	v_xor_b32_e32 v3, s13, v11
	v_add_lshl_u32 v25, v23, v2, 2
	v_mov_b32_e32 v2, 0
	v_and_b32_e32 v11, exec_hi, v3
	v_lshlrev_b32_e32 v3, 30, v4
	v_xor_b32_e32 v10, s12, v10
	v_cmp_gt_i64_e64 s[12:13], 0, v[2:3]
	v_not_b32_e32 v3, v3
	v_ashrrev_i32_e32 v3, 31, v3
	v_and_b32_e32 v10, exec_lo, v10
	v_xor_b32_e32 v26, s13, v3
	v_xor_b32_e32 v3, s12, v3
	v_and_b32_e32 v10, v10, v3
	v_lshlrev_b32_e32 v3, 29, v4
	v_cmp_gt_i64_e64 s[12:13], 0, v[2:3]
	v_not_b32_e32 v3, v3
	v_ashrrev_i32_e32 v3, 31, v3
	v_and_b32_e32 v11, v11, v26
	v_xor_b32_e32 v26, s13, v3
	v_xor_b32_e32 v3, s12, v3
	v_and_b32_e32 v10, v10, v3
	v_lshlrev_b32_e32 v3, 28, v4
	v_cmp_gt_i64_e64 s[12:13], 0, v[2:3]
	v_not_b32_e32 v3, v3
	v_ashrrev_i32_e32 v3, 31, v3
	v_and_b32_e32 v11, v11, v26
	;; [unrolled: 8-line block ×5, first 2 shown]
	v_xor_b32_e32 v26, s13, v3
	v_xor_b32_e32 v3, s12, v3
	v_and_b32_e32 v10, v10, v3
	v_lshlrev_b32_e32 v3, 24, v4
	v_cmp_gt_i64_e64 s[12:13], 0, v[2:3]
	v_not_b32_e32 v3, v3
	v_ashrrev_i32_e32 v3, 31, v3
	v_xor_b32_e32 v4, s13, v3
	v_xor_b32_e32 v3, s12, v3
	; wave barrier
	ds_read_b32 v24, v25 offset:32
	v_and_b32_e32 v11, v11, v26
	v_and_b32_e32 v10, v10, v3
	;; [unrolled: 1-line block ×3, first 2 shown]
	v_mbcnt_lo_u32_b32 v3, v10, 0
	v_mbcnt_hi_u32_b32 v26, v11, v3
	v_cmp_eq_u32_e64 s[12:13], 0, v26
	v_cmp_ne_u64_e64 s[14:15], 0, v[10:11]
	s_and_b64 s[14:15], s[14:15], s[12:13]
	; wave barrier
	s_and_saveexec_b64 s[12:13], s[14:15]
	s_cbranch_execz .LBB96_19
; %bb.18:
	v_bcnt_u32_b32 v3, v10, 0
	v_bcnt_u32_b32 v3, v11, v3
	s_waitcnt lgkmcnt(0)
	v_add_u32_e32 v3, v24, v3
	ds_write_b32 v25, v3 offset:32
.LBB96_19:
	s_or_b64 exec, exec, s[12:13]
	v_xor_b32_e32 v10, 0x80000000, v5
	v_lshrrev_b32_e32 v3, s48, v10
	v_and_b32_e32 v4, s33, v3
	v_lshl_add_u32 v3, v4, 3, v4
	v_add_lshl_u32 v27, v23, v3, 2
	v_and_b32_e32 v3, 1, v4
	v_add_co_u32_e64 v5, s[12:13], -1, v3
	v_addc_co_u32_e64 v28, s[12:13], 0, -1, s[12:13]
	v_cmp_ne_u32_e64 s[12:13], 0, v3
	v_xor_b32_e32 v3, s13, v28
	v_and_b32_e32 v28, exec_hi, v3
	v_lshlrev_b32_e32 v3, 30, v4
	v_xor_b32_e32 v5, s12, v5
	v_cmp_gt_i64_e64 s[12:13], 0, v[2:3]
	v_not_b32_e32 v3, v3
	v_ashrrev_i32_e32 v3, 31, v3
	v_and_b32_e32 v5, exec_lo, v5
	v_xor_b32_e32 v29, s13, v3
	v_xor_b32_e32 v3, s12, v3
	v_and_b32_e32 v5, v5, v3
	v_lshlrev_b32_e32 v3, 29, v4
	v_cmp_gt_i64_e64 s[12:13], 0, v[2:3]
	v_not_b32_e32 v3, v3
	v_ashrrev_i32_e32 v3, 31, v3
	v_and_b32_e32 v28, v28, v29
	v_xor_b32_e32 v29, s13, v3
	v_xor_b32_e32 v3, s12, v3
	v_and_b32_e32 v5, v5, v3
	v_lshlrev_b32_e32 v3, 28, v4
	v_cmp_gt_i64_e64 s[12:13], 0, v[2:3]
	v_not_b32_e32 v3, v3
	v_ashrrev_i32_e32 v3, 31, v3
	v_and_b32_e32 v28, v28, v29
	;; [unrolled: 8-line block ×5, first 2 shown]
	v_xor_b32_e32 v29, s13, v3
	v_xor_b32_e32 v3, s12, v3
	v_and_b32_e32 v5, v5, v3
	v_lshlrev_b32_e32 v3, 24, v4
	v_cmp_gt_i64_e64 s[12:13], 0, v[2:3]
	v_not_b32_e32 v2, v3
	v_ashrrev_i32_e32 v2, 31, v2
	v_xor_b32_e32 v3, s13, v2
	v_xor_b32_e32 v2, s12, v2
	; wave barrier
	ds_read_b32 v11, v27 offset:32
	v_and_b32_e32 v28, v28, v29
	v_and_b32_e32 v2, v5, v2
	;; [unrolled: 1-line block ×3, first 2 shown]
	v_mbcnt_lo_u32_b32 v4, v2, 0
	v_mbcnt_hi_u32_b32 v29, v3, v4
	v_cmp_eq_u32_e64 s[12:13], 0, v29
	v_cmp_ne_u64_e64 s[14:15], 0, v[2:3]
	s_and_b64 s[14:15], s[14:15], s[12:13]
	; wave barrier
	s_and_saveexec_b64 s[12:13], s[14:15]
	s_cbranch_execz .LBB96_21
; %bb.20:
	v_bcnt_u32_b32 v2, v2, 0
	v_bcnt_u32_b32 v2, v3, v2
	s_waitcnt lgkmcnt(0)
	v_add_u32_e32 v2, v11, v2
	ds_write_b32 v27, v2 offset:32
.LBB96_21:
	s_or_b64 exec, exec, s[12:13]
	v_xor_b32_e32 v6, 0x80000000, v6
	v_lshrrev_b32_e32 v2, s48, v6
	v_and_b32_e32 v4, s33, v2
	v_and_b32_e32 v3, 1, v4
	v_add_co_u32_e64 v5, s[12:13], -1, v3
	v_addc_co_u32_e64 v31, s[12:13], 0, -1, s[12:13]
	v_cmp_ne_u32_e64 s[12:13], 0, v3
	v_lshl_add_u32 v2, v4, 3, v4
	v_xor_b32_e32 v3, s13, v31
	v_add_lshl_u32 v28, v23, v2, 2
	v_mov_b32_e32 v2, 0
	v_and_b32_e32 v31, exec_hi, v3
	v_lshlrev_b32_e32 v3, 30, v4
	v_xor_b32_e32 v5, s12, v5
	v_cmp_gt_i64_e64 s[12:13], 0, v[2:3]
	v_not_b32_e32 v3, v3
	v_ashrrev_i32_e32 v3, 31, v3
	v_and_b32_e32 v5, exec_lo, v5
	v_xor_b32_e32 v32, s13, v3
	v_xor_b32_e32 v3, s12, v3
	v_and_b32_e32 v5, v5, v3
	v_lshlrev_b32_e32 v3, 29, v4
	v_cmp_gt_i64_e64 s[12:13], 0, v[2:3]
	v_not_b32_e32 v3, v3
	v_ashrrev_i32_e32 v3, 31, v3
	v_and_b32_e32 v31, v31, v32
	v_xor_b32_e32 v32, s13, v3
	v_xor_b32_e32 v3, s12, v3
	v_and_b32_e32 v5, v5, v3
	v_lshlrev_b32_e32 v3, 28, v4
	v_cmp_gt_i64_e64 s[12:13], 0, v[2:3]
	v_not_b32_e32 v3, v3
	v_ashrrev_i32_e32 v3, 31, v3
	v_and_b32_e32 v31, v31, v32
	;; [unrolled: 8-line block ×5, first 2 shown]
	v_xor_b32_e32 v32, s13, v3
	v_xor_b32_e32 v3, s12, v3
	v_and_b32_e32 v31, v31, v32
	v_and_b32_e32 v32, v5, v3
	v_lshlrev_b32_e32 v3, 24, v4
	v_cmp_gt_i64_e64 s[12:13], 0, v[2:3]
	v_not_b32_e32 v3, v3
	v_ashrrev_i32_e32 v3, 31, v3
	v_xor_b32_e32 v4, s13, v3
	v_xor_b32_e32 v3, s12, v3
	; wave barrier
	ds_read_b32 v30, v28 offset:32
	v_and_b32_e32 v5, v31, v4
	v_and_b32_e32 v4, v32, v3
	v_mbcnt_lo_u32_b32 v3, v4, 0
	v_mbcnt_hi_u32_b32 v31, v5, v3
	v_cmp_eq_u32_e64 s[12:13], 0, v31
	v_cmp_ne_u64_e64 s[14:15], 0, v[4:5]
	s_and_b64 s[14:15], s[14:15], s[12:13]
	; wave barrier
	s_and_saveexec_b64 s[12:13], s[14:15]
	s_cbranch_execz .LBB96_23
; %bb.22:
	v_bcnt_u32_b32 v3, v4, 0
	v_bcnt_u32_b32 v3, v5, v3
	s_waitcnt lgkmcnt(0)
	v_add_u32_e32 v3, v30, v3
	ds_write_b32 v28, v3 offset:32
.LBB96_23:
	s_or_b64 exec, exec, s[12:13]
	v_xor_b32_e32 v7, 0x80000000, v7
	v_lshrrev_b32_e32 v3, s48, v7
	v_and_b32_e32 v4, s33, v3
	v_lshl_add_u32 v3, v4, 3, v4
	v_add_lshl_u32 v33, v23, v3, 2
	v_and_b32_e32 v3, 1, v4
	v_add_co_u32_e64 v5, s[12:13], -1, v3
	v_addc_co_u32_e64 v23, s[12:13], 0, -1, s[12:13]
	v_cmp_ne_u32_e64 s[12:13], 0, v3
	v_xor_b32_e32 v3, s13, v23
	v_and_b32_e32 v23, exec_hi, v3
	v_lshlrev_b32_e32 v3, 30, v4
	v_xor_b32_e32 v5, s12, v5
	v_cmp_gt_i64_e64 s[12:13], 0, v[2:3]
	v_not_b32_e32 v3, v3
	v_ashrrev_i32_e32 v3, 31, v3
	v_and_b32_e32 v5, exec_lo, v5
	v_xor_b32_e32 v35, s13, v3
	v_xor_b32_e32 v3, s12, v3
	v_and_b32_e32 v5, v5, v3
	v_lshlrev_b32_e32 v3, 29, v4
	v_cmp_gt_i64_e64 s[12:13], 0, v[2:3]
	v_not_b32_e32 v3, v3
	v_ashrrev_i32_e32 v3, 31, v3
	v_and_b32_e32 v23, v23, v35
	v_xor_b32_e32 v35, s13, v3
	v_xor_b32_e32 v3, s12, v3
	v_and_b32_e32 v5, v5, v3
	v_lshlrev_b32_e32 v3, 28, v4
	v_cmp_gt_i64_e64 s[12:13], 0, v[2:3]
	v_not_b32_e32 v3, v3
	v_ashrrev_i32_e32 v3, 31, v3
	v_and_b32_e32 v23, v23, v35
	;; [unrolled: 8-line block ×5, first 2 shown]
	v_xor_b32_e32 v35, s13, v3
	v_xor_b32_e32 v3, s12, v3
	v_and_b32_e32 v5, v5, v3
	v_lshlrev_b32_e32 v3, 24, v4
	v_cmp_gt_i64_e64 s[12:13], 0, v[2:3]
	v_not_b32_e32 v2, v3
	v_ashrrev_i32_e32 v2, 31, v2
	v_xor_b32_e32 v3, s13, v2
	v_xor_b32_e32 v2, s12, v2
	; wave barrier
	ds_read_b32 v32, v33 offset:32
	v_and_b32_e32 v23, v23, v35
	v_and_b32_e32 v2, v5, v2
	;; [unrolled: 1-line block ×3, first 2 shown]
	v_mbcnt_lo_u32_b32 v4, v2, 0
	v_mbcnt_hi_u32_b32 v35, v3, v4
	v_cmp_eq_u32_e64 s[12:13], 0, v35
	v_cmp_ne_u64_e64 s[14:15], 0, v[2:3]
	v_add_u32_e32 v34, 32, v17
	s_and_b64 s[14:15], s[14:15], s[12:13]
	; wave barrier
	s_and_saveexec_b64 s[12:13], s[14:15]
	s_cbranch_execz .LBB96_25
; %bb.24:
	v_bcnt_u32_b32 v2, v2, 0
	v_bcnt_u32_b32 v2, v3, v2
	s_waitcnt lgkmcnt(0)
	v_add_u32_e32 v2, v32, v2
	ds_write_b32 v33, v2 offset:32
.LBB96_25:
	s_or_b64 exec, exec, s[12:13]
	; wave barrier
	s_waitcnt lgkmcnt(0)
	s_barrier
	ds_read2_b32 v[4:5], v17 offset0:8 offset1:9
	ds_read2_b32 v[2:3], v34 offset0:2 offset1:3
	ds_read_b32 v23, v34 offset:16
	v_min_u32_e32 v15, 0x1c0, v15
	v_or_b32_e32 v15, 63, v15
	s_waitcnt lgkmcnt(1)
	v_add3_u32 v36, v5, v4, v2
	s_waitcnt lgkmcnt(0)
	v_add3_u32 v23, v36, v3, v23
	v_and_b32_e32 v36, 15, v14
	v_cmp_ne_u32_e64 s[12:13], 0, v36
	v_mov_b32_dpp v37, v23 row_shr:1 row_mask:0xf bank_mask:0xf
	v_cndmask_b32_e64 v37, 0, v37, s[12:13]
	v_add_u32_e32 v23, v37, v23
	v_cmp_lt_u32_e64 s[12:13], 1, v36
	s_nop 0
	v_mov_b32_dpp v37, v23 row_shr:2 row_mask:0xf bank_mask:0xf
	v_cndmask_b32_e64 v37, 0, v37, s[12:13]
	v_add_u32_e32 v23, v23, v37
	v_cmp_lt_u32_e64 s[12:13], 3, v36
	s_nop 0
	;; [unrolled: 5-line block ×3, first 2 shown]
	v_mov_b32_dpp v37, v23 row_shr:8 row_mask:0xf bank_mask:0xf
	v_cndmask_b32_e64 v36, 0, v37, s[12:13]
	v_add_u32_e32 v23, v23, v36
	v_bfe_i32 v37, v14, 4, 1
	v_cmp_lt_u32_e64 s[12:13], 31, v14
	v_mov_b32_dpp v36, v23 row_bcast:15 row_mask:0xf bank_mask:0xf
	v_and_b32_e32 v36, v37, v36
	v_add_u32_e32 v23, v23, v36
	v_lshrrev_b32_e32 v37, 6, v8
	s_nop 0
	v_mov_b32_dpp v36, v23 row_bcast:31 row_mask:0xf bank_mask:0xf
	v_cndmask_b32_e64 v36, 0, v36, s[12:13]
	v_add_u32_e32 v36, v23, v36
	v_cmp_eq_u32_e64 s[12:13], v15, v8
	s_and_saveexec_b64 s[14:15], s[12:13]
	s_cbranch_execz .LBB96_27
; %bb.26:
	v_lshlrev_b32_e32 v15, 2, v37
	ds_write_b32 v15, v36
.LBB96_27:
	s_or_b64 exec, exec, s[14:15]
	v_cmp_gt_u32_e64 s[12:13], 8, v8
	v_lshlrev_b32_e32 v23, 2, v8
	s_waitcnt lgkmcnt(0)
	s_barrier
	s_and_saveexec_b64 s[14:15], s[12:13]
	s_cbranch_execz .LBB96_29
; %bb.28:
	ds_read_b32 v15, v23
	v_and_b32_e32 v38, 7, v14
	v_cmp_ne_u32_e64 s[12:13], 0, v38
	s_waitcnt lgkmcnt(0)
	v_mov_b32_dpp v39, v15 row_shr:1 row_mask:0xf bank_mask:0xf
	v_cndmask_b32_e64 v39, 0, v39, s[12:13]
	v_add_u32_e32 v15, v39, v15
	v_cmp_lt_u32_e64 s[12:13], 1, v38
	s_nop 0
	v_mov_b32_dpp v39, v15 row_shr:2 row_mask:0xf bank_mask:0xf
	v_cndmask_b32_e64 v39, 0, v39, s[12:13]
	v_add_u32_e32 v15, v15, v39
	v_cmp_lt_u32_e64 s[12:13], 3, v38
	s_nop 0
	v_mov_b32_dpp v39, v15 row_shr:4 row_mask:0xf bank_mask:0xf
	v_cndmask_b32_e64 v38, 0, v39, s[12:13]
	v_add_u32_e32 v15, v15, v38
	ds_write_b32 v23, v15
.LBB96_29:
	s_or_b64 exec, exec, s[14:15]
	v_cmp_lt_u32_e64 s[12:13], 63, v8
	v_mov_b32_e32 v15, 0
	s_waitcnt lgkmcnt(0)
	s_barrier
	s_and_saveexec_b64 s[14:15], s[12:13]
	s_cbranch_execz .LBB96_31
; %bb.30:
	v_lshl_add_u32 v15, v37, 2, -4
	ds_read_b32 v15, v15
.LBB96_31:
	s_or_b64 exec, exec, s[14:15]
	v_add_u32_e32 v37, -1, v14
	v_and_b32_e32 v38, 64, v14
	v_cmp_lt_i32_e64 s[12:13], v37, v38
	v_cndmask_b32_e64 v37, v37, v14, s[12:13]
	s_waitcnt lgkmcnt(0)
	v_add_u32_e32 v36, v15, v36
	v_lshlrev_b32_e32 v37, 2, v37
	ds_bpermute_b32 v36, v37, v36
	v_cmp_eq_u32_e64 s[12:13], 0, v14
	s_waitcnt lgkmcnt(0)
	v_cndmask_b32_e64 v15, v36, v15, s[12:13]
	v_cmp_ne_u32_e64 s[12:13], 0, v8
	v_cndmask_b32_e64 v15, 0, v15, s[12:13]
	v_add_u32_e32 v4, v15, v4
	v_add_u32_e32 v5, v4, v5
	;; [unrolled: 1-line block ×4, first 2 shown]
	ds_write2_b32 v17, v15, v4 offset0:8 offset1:9
	ds_write2_b32 v34, v5, v2 offset0:2 offset1:3
	ds_write_b32 v34, v3 offset:16
	s_waitcnt lgkmcnt(0)
	s_barrier
	ds_read_b32 v4, v19 offset:32
	ds_read_b32 v5, v20 offset:32
	;; [unrolled: 1-line block ×6, first 2 shown]
	s_movk_i32 s12, 0x100
	v_cmp_gt_u32_e64 s[12:13], s12, v8
	v_pk_mov_b32 v[2:3], 0, 0
                                        ; implicit-def: $vgpr20
	s_and_saveexec_b64 s[16:17], s[12:13]
	s_cbranch_execz .LBB96_35
; %bb.32:
	v_mul_u32_u24_e32 v2, 9, v8
	v_lshlrev_b32_e32 v20, 2, v2
	ds_read_b32 v2, v20 offset:32
	s_movk_i32 s14, 0xff
	v_cmp_ne_u32_e64 s[14:15], s14, v8
	v_mov_b32_e32 v3, 0xc00
	s_and_saveexec_b64 s[18:19], s[14:15]
	s_cbranch_execz .LBB96_34
; %bb.33:
	ds_read_b32 v3, v20 offset:68
.LBB96_34:
	s_or_b64 exec, exec, s[18:19]
	s_waitcnt lgkmcnt(0)
	v_sub_u32_e32 v20, v3, v2
	v_mov_b32_e32 v3, 0
.LBB96_35:
	s_or_b64 exec, exec, s[16:17]
	s_waitcnt lgkmcnt(5)
	v_add_u32_e32 v28, v4, v18
	s_waitcnt lgkmcnt(4)
	v_add3_u32 v27, v21, v13, v5
	v_lshlrev_b32_e32 v4, 2, v28
	s_waitcnt lgkmcnt(3)
	v_add3_u32 v26, v26, v24, v15
	s_waitcnt lgkmcnt(0)
	s_barrier
	ds_write_b32 v4, v16 offset:2048
	v_lshlrev_b32_e32 v4, 2, v27
	v_add3_u32 v25, v29, v11, v17
	ds_write_b32 v4, v12 offset:2048
	v_lshlrev_b32_e32 v4, 2, v26
	v_add3_u32 v24, v31, v30, v19
	;; [unrolled: 3-line block ×3, first 2 shown]
	ds_write_b32 v4, v10 offset:2048
	v_lshlrev_b32_e32 v4, 2, v24
	ds_write_b32 v4, v6 offset:2048
	v_lshlrev_b32_e32 v4, 2, v21
	ds_write_b32 v4, v7 offset:2048
	s_waitcnt lgkmcnt(0)
	s_barrier
	s_and_saveexec_b64 s[16:17], s[12:13]
	s_cbranch_execz .LBB96_45
; %bb.36:
	v_lshl_or_b32 v4, s6, 8, v8
	v_mov_b32_e32 v5, 0
	v_lshlrev_b64 v[6:7], 2, v[4:5]
	v_mov_b32_e32 v12, s35
	v_add_co_u32_e64 v6, s[14:15], s34, v6
	v_addc_co_u32_e64 v7, s[14:15], v12, v7, s[14:15]
	v_or_b32_e32 v4, 2.0, v20
	s_mov_b64 s[18:19], 0
	s_brev_b32 s24, 1
	s_mov_b32 s25, s6
	v_mov_b32_e32 v13, 0
	global_store_dword v[6:7], v4, off
                                        ; implicit-def: $sgpr14_sgpr15
	s_branch .LBB96_38
.LBB96_37:                              ;   in Loop: Header=BB96_38 Depth=1
	s_or_b64 exec, exec, s[20:21]
	v_and_b32_e32 v10, 0x3fffffff, v15
	v_add_u32_e32 v13, v10, v13
	v_cmp_eq_u32_e64 s[14:15], s24, v4
	s_and_b64 s[20:21], exec, s[14:15]
	s_or_b64 s[18:19], s[20:21], s[18:19]
	s_andn2_b64 exec, exec, s[18:19]
	s_cbranch_execz .LBB96_44
.LBB96_38:                              ; =>This Loop Header: Depth=1
                                        ;     Child Loop BB96_41 Depth 2
	s_or_b64 s[14:15], s[14:15], exec
	s_cmp_eq_u32 s25, 0
	s_cbranch_scc1 .LBB96_43
; %bb.39:                               ;   in Loop: Header=BB96_38 Depth=1
	s_add_i32 s25, s25, -1
	v_lshl_or_b32 v4, s25, 8, v8
	v_lshlrev_b64 v[10:11], 2, v[4:5]
	v_add_co_u32_e64 v10, s[14:15], s34, v10
	v_addc_co_u32_e64 v11, s[14:15], v12, v11, s[14:15]
	global_load_dword v15, v[10:11], off glc
	s_waitcnt vmcnt(0)
	v_and_b32_e32 v4, -2.0, v15
	v_cmp_eq_u32_e64 s[14:15], 0, v4
	s_and_saveexec_b64 s[20:21], s[14:15]
	s_cbranch_execz .LBB96_37
; %bb.40:                               ;   in Loop: Header=BB96_38 Depth=1
	s_mov_b64 s[22:23], 0
.LBB96_41:                              ;   Parent Loop BB96_38 Depth=1
                                        ; =>  This Inner Loop Header: Depth=2
	global_load_dword v15, v[10:11], off glc
	s_waitcnt vmcnt(0)
	v_and_b32_e32 v4, -2.0, v15
	v_cmp_ne_u32_e64 s[14:15], 0, v4
	s_or_b64 s[22:23], s[14:15], s[22:23]
	s_andn2_b64 exec, exec, s[22:23]
	s_cbranch_execnz .LBB96_41
; %bb.42:                               ;   in Loop: Header=BB96_38 Depth=1
	s_or_b64 exec, exec, s[22:23]
	s_branch .LBB96_37
.LBB96_43:                              ;   in Loop: Header=BB96_38 Depth=1
                                        ; implicit-def: $sgpr25
	s_and_b64 s[20:21], exec, s[14:15]
	s_or_b64 s[18:19], s[20:21], s[18:19]
	s_andn2_b64 exec, exec, s[18:19]
	s_cbranch_execnz .LBB96_38
.LBB96_44:
	s_or_b64 exec, exec, s[18:19]
	v_add_u32_e32 v4, v13, v20
	v_or_b32_e32 v4, 0x80000000, v4
	global_store_dword v[6:7], v4, off
	v_lshlrev_b32_e32 v6, 3, v8
	global_load_dwordx2 v[4:5], v6, s[44:45]
	v_sub_co_u32_e64 v7, s[14:15], v13, v2
	v_subb_co_u32_e64 v10, s[14:15], 0, v3, s[14:15]
	s_waitcnt vmcnt(0)
	v_add_co_u32_e64 v4, s[14:15], v7, v4
	v_addc_co_u32_e64 v5, s[14:15], v10, v5, s[14:15]
	ds_write_b64 v6, v[4:5]
.LBB96_45:
	s_or_b64 exec, exec, s[16:17]
	v_cmp_gt_u32_e64 s[14:15], s50, v8
	s_waitcnt lgkmcnt(0)
	s_barrier
	s_and_saveexec_b64 s[18:19], s[14:15]
	s_cbranch_execz .LBB96_47
; %bb.46:
	ds_read_b32 v6, v23 offset:2048
	v_mov_b32_e32 v7, s39
	s_waitcnt lgkmcnt(0)
	v_lshrrev_b32_e32 v4, s48, v6
	v_and_b32_e32 v4, s33, v4
	v_lshlrev_b32_e32 v4, 3, v4
	ds_read_b64 v[4:5], v4
	v_xor_b32_e32 v6, 0x80000000, v6
	s_waitcnt lgkmcnt(0)
	v_lshlrev_b64 v[4:5], 2, v[4:5]
	v_add_co_u32_e64 v4, s[16:17], s38, v4
	v_addc_co_u32_e64 v5, s[16:17], v7, v5, s[16:17]
	v_add_co_u32_e64 v4, s[16:17], v4, v23
	v_addc_co_u32_e64 v5, s[16:17], 0, v5, s[16:17]
	global_store_dword v[4:5], v6, off
.LBB96_47:
	s_or_b64 exec, exec, s[18:19]
	v_add_u32_e32 v22, 0x200, v8
	v_cmp_gt_u32_e64 s[16:17], s50, v22
	s_and_saveexec_b64 s[20:21], s[16:17]
	s_cbranch_execz .LBB96_49
; %bb.48:
	ds_read_b32 v6, v23 offset:4096
	v_mov_b32_e32 v7, s39
	s_waitcnt lgkmcnt(0)
	v_lshrrev_b32_e32 v4, s48, v6
	v_and_b32_e32 v4, s33, v4
	v_lshlrev_b32_e32 v4, 3, v4
	ds_read_b64 v[4:5], v4
	v_xor_b32_e32 v6, 0x80000000, v6
	s_waitcnt lgkmcnt(0)
	v_lshlrev_b64 v[4:5], 2, v[4:5]
	v_add_co_u32_e64 v4, s[18:19], s38, v4
	v_addc_co_u32_e64 v5, s[18:19], v7, v5, s[18:19]
	v_add_co_u32_e64 v4, s[18:19], v4, v23
	v_addc_co_u32_e64 v5, s[18:19], 0, v5, s[18:19]
	global_store_dword v[4:5], v6, off offset:2048
.LBB96_49:
	s_or_b64 exec, exec, s[20:21]
	v_or_b32_e32 v29, 0x400, v8
	v_cmp_gt_u32_e64 s[18:19], s50, v29
	s_and_saveexec_b64 s[22:23], s[18:19]
	s_cbranch_execz .LBB96_51
; %bb.50:
	ds_read_b32 v6, v23 offset:6144
	v_mov_b32_e32 v7, s39
	v_lshlrev_b32_e32 v10, 2, v29
	s_waitcnt lgkmcnt(0)
	v_lshrrev_b32_e32 v4, s48, v6
	v_and_b32_e32 v4, s33, v4
	v_lshlrev_b32_e32 v4, 3, v4
	ds_read_b64 v[4:5], v4
	v_xor_b32_e32 v6, 0x80000000, v6
	s_waitcnt lgkmcnt(0)
	v_lshlrev_b64 v[4:5], 2, v[4:5]
	v_add_co_u32_e64 v4, s[20:21], s38, v4
	v_addc_co_u32_e64 v5, s[20:21], v7, v5, s[20:21]
	v_add_co_u32_e64 v4, s[20:21], v4, v10
	v_addc_co_u32_e64 v5, s[20:21], 0, v5, s[20:21]
	global_store_dword v[4:5], v6, off
.LBB96_51:
	s_or_b64 exec, exec, s[22:23]
	v_add_u32_e32 v30, 0x600, v8
	v_cmp_gt_u32_e64 s[20:21], s50, v30
	s_and_saveexec_b64 s[24:25], s[20:21]
	s_cbranch_execz .LBB96_53
; %bb.52:
	ds_read_b32 v6, v23 offset:8192
	v_mov_b32_e32 v7, s39
	v_lshlrev_b32_e32 v10, 2, v30
	s_waitcnt lgkmcnt(0)
	v_lshrrev_b32_e32 v4, s48, v6
	v_and_b32_e32 v4, s33, v4
	v_lshlrev_b32_e32 v4, 3, v4
	ds_read_b64 v[4:5], v4
	v_xor_b32_e32 v6, 0x80000000, v6
	s_waitcnt lgkmcnt(0)
	v_lshlrev_b64 v[4:5], 2, v[4:5]
	v_add_co_u32_e64 v4, s[22:23], s38, v4
	v_addc_co_u32_e64 v5, s[22:23], v7, v5, s[22:23]
	v_add_co_u32_e64 v4, s[22:23], v4, v10
	v_addc_co_u32_e64 v5, s[22:23], 0, v5, s[22:23]
	global_store_dword v[4:5], v6, off
.LBB96_53:
	s_or_b64 exec, exec, s[24:25]
	v_or_b32_e32 v31, 0x800, v8
	v_cmp_gt_u32_e64 s[22:23], s50, v31
	s_and_saveexec_b64 s[28:29], s[22:23]
	s_cbranch_execz .LBB96_55
; %bb.54:
	ds_read_b32 v6, v23 offset:10240
	v_mov_b32_e32 v7, s39
	v_lshlrev_b32_e32 v10, 2, v31
	s_waitcnt lgkmcnt(0)
	v_lshrrev_b32_e32 v4, s48, v6
	v_and_b32_e32 v4, s33, v4
	v_lshlrev_b32_e32 v4, 3, v4
	ds_read_b64 v[4:5], v4
	v_xor_b32_e32 v6, 0x80000000, v6
	s_waitcnt lgkmcnt(0)
	v_lshlrev_b64 v[4:5], 2, v[4:5]
	v_add_co_u32_e64 v4, s[24:25], s38, v4
	v_addc_co_u32_e64 v5, s[24:25], v7, v5, s[24:25]
	v_add_co_u32_e64 v4, s[24:25], v4, v10
	v_addc_co_u32_e64 v5, s[24:25], 0, v5, s[24:25]
	global_store_dword v[4:5], v6, off
.LBB96_55:
	s_or_b64 exec, exec, s[28:29]
	v_add_u32_e32 v32, 0xa00, v8
	v_cmp_gt_u32_e64 s[24:25], s50, v32
	s_and_saveexec_b64 s[50:51], s[24:25]
	s_cbranch_execz .LBB96_57
; %bb.56:
	ds_read_b32 v6, v23 offset:12288
	v_mov_b32_e32 v7, s39
	v_lshlrev_b32_e32 v10, 2, v32
	s_waitcnt lgkmcnt(0)
	v_lshrrev_b32_e32 v4, s48, v6
	v_and_b32_e32 v4, s33, v4
	v_lshlrev_b32_e32 v4, 3, v4
	ds_read_b64 v[4:5], v4
	v_xor_b32_e32 v6, 0x80000000, v6
	s_waitcnt lgkmcnt(0)
	v_lshlrev_b64 v[4:5], 2, v[4:5]
	v_add_co_u32_e64 v4, s[28:29], s38, v4
	v_addc_co_u32_e64 v5, s[28:29], v7, v5, s[28:29]
	v_add_co_u32_e64 v4, s[28:29], v4, v10
	v_addc_co_u32_e64 v5, s[28:29], 0, v5, s[28:29]
	global_store_dword v[4:5], v6, off
.LBB96_57:
	s_or_b64 exec, exec, s[50:51]
	s_lshl_b64 s[28:29], s[30:31], 3
	s_add_u32 s28, s40, s28
	s_addc_u32 s29, s41, s29
	v_lshlrev_b32_e32 v4, 3, v14
	v_mov_b32_e32 v5, s29
	v_add_co_u32_e64 v4, s[28:29], s28, v4
	v_addc_co_u32_e64 v5, s[28:29], 0, v5, s[28:29]
	v_lshlrev_b32_e32 v6, 3, v9
	v_add_co_u32_e64 v18, s[28:29], v4, v6
	v_addc_co_u32_e64 v19, s[28:29], 0, v5, s[28:29]
                                        ; implicit-def: $vgpr4_vgpr5
	s_and_saveexec_b64 s[28:29], vcc
	s_xor_b64 s[28:29], exec, s[28:29]
	s_cbranch_execnz .LBB96_127
; %bb.58:
	s_or_b64 exec, exec, s[28:29]
                                        ; implicit-def: $vgpr6_vgpr7
	s_and_saveexec_b64 s[28:29], s[0:1]
	s_cbranch_execnz .LBB96_128
.LBB96_59:
	s_or_b64 exec, exec, s[28:29]
                                        ; implicit-def: $vgpr10_vgpr11
	s_and_saveexec_b64 s[0:1], s[2:3]
	s_cbranch_execnz .LBB96_129
.LBB96_60:
	s_or_b64 exec, exec, s[0:1]
                                        ; implicit-def: $vgpr12_vgpr13
	s_and_saveexec_b64 s[0:1], s[26:27]
	s_cbranch_execnz .LBB96_130
.LBB96_61:
	s_or_b64 exec, exec, s[0:1]
                                        ; implicit-def: $vgpr14_vgpr15
	s_and_saveexec_b64 s[0:1], s[8:9]
	s_cbranch_execnz .LBB96_131
.LBB96_62:
	s_or_b64 exec, exec, s[0:1]
                                        ; implicit-def: $vgpr16_vgpr17
	s_and_saveexec_b64 s[0:1], s[10:11]
	s_cbranch_execz .LBB96_64
.LBB96_63:
	global_load_dwordx2 v[16:17], v[18:19], off offset:2560
.LBB96_64:
	s_or_b64 exec, exec, s[0:1]
	v_mov_b32_e32 v33, 0
	v_mov_b32_e32 v35, 0
	s_and_saveexec_b64 s[0:1], s[14:15]
	s_cbranch_execz .LBB96_66
; %bb.65:
	ds_read_b32 v9, v23 offset:2048
	s_waitcnt lgkmcnt(0)
	v_lshrrev_b32_e32 v9, s48, v9
	v_and_b32_e32 v35, s33, v9
.LBB96_66:
	s_or_b64 exec, exec, s[0:1]
	s_and_saveexec_b64 s[0:1], s[16:17]
	s_cbranch_execz .LBB96_68
; %bb.67:
	ds_read_b32 v9, v23 offset:4096
	s_waitcnt lgkmcnt(0)
	v_lshrrev_b32_e32 v9, s48, v9
	v_and_b32_e32 v33, s33, v9
.LBB96_68:
	s_or_b64 exec, exec, s[0:1]
	v_mov_b32_e32 v18, 0
	v_mov_b32_e32 v34, 0
	s_and_saveexec_b64 s[0:1], s[18:19]
	s_cbranch_execz .LBB96_70
; %bb.69:
	ds_read_b32 v9, v23 offset:6144
	s_waitcnt lgkmcnt(0)
	v_lshrrev_b32_e32 v9, s48, v9
	v_and_b32_e32 v34, s33, v9
.LBB96_70:
	s_or_b64 exec, exec, s[0:1]
	s_and_saveexec_b64 s[0:1], s[20:21]
	s_cbranch_execz .LBB96_72
; %bb.71:
	ds_read_b32 v9, v23 offset:8192
	s_waitcnt lgkmcnt(0)
	v_lshrrev_b32_e32 v9, s48, v9
	v_and_b32_e32 v18, s33, v9
.LBB96_72:
	;; [unrolled: 20-line block ×3, first 2 shown]
	s_or_b64 exec, exec, s[0:1]
	v_lshlrev_b32_e32 v23, 3, v28
	s_barrier
	s_waitcnt vmcnt(0)
	ds_write_b64 v23, v[4:5] offset:2048
	v_lshlrev_b32_e32 v4, 3, v27
	ds_write_b64 v4, v[6:7] offset:2048
	v_lshlrev_b32_e32 v4, 3, v26
	;; [unrolled: 2-line block ×6, first 2 shown]
	s_waitcnt lgkmcnt(0)
	s_barrier
	s_and_saveexec_b64 s[0:1], s[14:15]
	s_cbranch_execnz .LBB96_132
; %bb.77:
	s_or_b64 exec, exec, s[0:1]
	s_and_saveexec_b64 s[0:1], s[16:17]
	s_cbranch_execnz .LBB96_133
.LBB96_78:
	s_or_b64 exec, exec, s[0:1]
	s_and_saveexec_b64 s[0:1], s[18:19]
	s_cbranch_execnz .LBB96_134
.LBB96_79:
	s_or_b64 exec, exec, s[0:1]
	s_and_saveexec_b64 s[0:1], s[20:21]
	s_cbranch_execnz .LBB96_135
.LBB96_80:
	s_or_b64 exec, exec, s[0:1]
	s_and_saveexec_b64 s[0:1], s[22:23]
	s_cbranch_execnz .LBB96_136
.LBB96_81:
	s_or_b64 exec, exec, s[0:1]
	s_and_saveexec_b64 s[0:1], s[24:25]
	s_cbranch_execz .LBB96_83
.LBB96_82:
	v_lshlrev_b32_e32 v5, 3, v9
	ds_read_b64 v[6:7], v5
	ds_read_b64 v[4:5], v4 offset:22528
	v_mov_b32_e32 v9, s43
	s_waitcnt lgkmcnt(1)
	v_lshlrev_b64 v[6:7], 3, v[6:7]
	v_add_co_u32_e32 v6, vcc, s42, v6
	v_addc_co_u32_e32 v7, vcc, v9, v7, vcc
	v_lshlrev_b32_e32 v9, 3, v32
	v_add_co_u32_e32 v6, vcc, v6, v9
	v_addc_co_u32_e32 v7, vcc, 0, v7, vcc
	s_waitcnt lgkmcnt(0)
	global_store_dwordx2 v[6:7], v[4:5], off
.LBB96_83:
	s_or_b64 exec, exec, s[0:1]
	s_add_i32 s7, s7, -1
	s_cmp_eq_u32 s6, s7
	s_cselect_b64 s[0:1], -1, 0
	s_and_b64 s[2:3], s[12:13], s[0:1]
	s_mov_b64 s[0:1], 0
	s_mov_b64 s[8:9], 0
                                        ; implicit-def: $vgpr4_vgpr5
	s_and_saveexec_b64 s[10:11], s[2:3]
	s_xor_b64 s[2:3], exec, s[10:11]
; %bb.84:
	v_add_co_u32_e32 v4, vcc, v2, v20
	s_mov_b64 s[8:9], exec
	v_mov_b32_e32 v9, 0
	v_addc_co_u32_e32 v5, vcc, 0, v3, vcc
; %bb.85:
	s_or_b64 exec, exec, s[2:3]
	s_and_b64 vcc, exec, s[0:1]
	s_cbranch_vccnz .LBB96_87
	s_branch .LBB96_124
.LBB96_86:
	s_mov_b64 s[8:9], 0
                                        ; implicit-def: $vgpr4_vgpr5
                                        ; implicit-def: $vgpr8_vgpr9
	s_cbranch_execz .LBB96_124
.LBB96_87:
	s_mov_b32 s31, 0
	s_lshl_b64 s[0:1], s[30:31], 2
	v_mbcnt_hi_u32_b32 v11, -1, v1
	s_add_u32 s0, s36, s0
	v_lshlrev_b32_e32 v1, 2, v11
	v_add_co_u32_e32 v1, vcc, s0, v1
	s_load_dword s7, s[4:5], 0x50
	s_load_dword s0, s[4:5], 0x5c
	v_and_b32_e32 v8, 0x3ff, v0
	s_addc_u32 s1, s37, s1
	v_and_b32_e32 v6, 0x1c0, v8
	v_mul_u32_u24_e32 v10, 6, v6
	v_mov_b32_e32 v3, s1
	v_addc_co_u32_e32 v3, vcc, 0, v3, vcc
	v_lshlrev_b32_e32 v4, 2, v10
	s_add_u32 s1, s4, 0x50
	v_add_co_u32_e32 v14, vcc, v1, v4
	s_addc_u32 s2, s5, 0
	s_waitcnt lgkmcnt(0)
	s_lshr_b32 s3, s0, 16
	v_addc_co_u32_e32 v15, vcc, 0, v3, vcc
	s_cmp_lt_u32 s6, s7
	global_load_dword v1, v[14:15], off
	s_cselect_b32 s0, 12, 18
	s_add_u32 s0, s1, s0
	v_mov_b32_e32 v2, 0
	s_addc_u32 s1, s2, 0
	global_load_ushort v3, v2, s[0:1]
	v_mul_u32_u24_e32 v5, 5, v8
	v_lshlrev_b32_e32 v5, 2, v5
	ds_write2_b32 v5, v2, v2 offset0:8 offset1:9
	ds_write2_b32 v5, v2, v2 offset0:10 offset1:11
	ds_write_b32 v5, v2 offset:48
	global_load_dword v12, v[14:15], off offset:256
	global_load_dword v16, v[14:15], off offset:512
	global_load_dword v22, v[14:15], off offset:768
	global_load_dword v24, v[14:15], off offset:1024
	global_load_dword v18, v[14:15], off offset:1280
	v_bfe_u32 v4, v0, 10, 10
	v_bfe_u32 v0, v0, 20, 10
	v_mad_u32_u24 v0, v0, s3, v4
	s_lshl_b32 s0, -1, s49
	s_not_b32 s14, s0
	s_waitcnt lgkmcnt(0)
	s_barrier
	s_waitcnt lgkmcnt(0)
	; wave barrier
	s_waitcnt vmcnt(6)
	v_xor_b32_e32 v4, 0x80000000, v1
	v_lshrrev_b32_e32 v1, s48, v4
	v_and_b32_e32 v9, s14, v1
	v_and_b32_e32 v7, 1, v9
	s_waitcnt vmcnt(5)
	v_mad_u64_u32 v[0:1], s[0:1], v0, v3, v[8:9]
	v_lshrrev_b32_e32 v19, 6, v0
	v_add_co_u32_e32 v0, vcc, -1, v7
	v_lshlrev_b32_e32 v3, 30, v9
	v_addc_co_u32_e64 v13, s[0:1], 0, -1, vcc
	v_lshl_add_u32 v1, v9, 3, v9
	v_cmp_ne_u32_e32 vcc, 0, v7
	v_cmp_gt_i64_e64 s[0:1], 0, v[2:3]
	v_not_b32_e32 v14, v3
	v_lshlrev_b32_e32 v3, 29, v9
	v_add_lshl_u32 v7, v19, v1, 2
	v_xor_b32_e32 v1, vcc_hi, v13
	v_xor_b32_e32 v0, vcc_lo, v0
	v_ashrrev_i32_e32 v13, 31, v14
	v_cmp_gt_i64_e32 vcc, 0, v[2:3]
	v_not_b32_e32 v14, v3
	v_lshlrev_b32_e32 v3, 28, v9
	v_and_b32_e32 v1, exec_hi, v1
	v_and_b32_e32 v0, exec_lo, v0
	v_xor_b32_e32 v15, s1, v13
	v_xor_b32_e32 v13, s0, v13
	v_ashrrev_i32_e32 v14, 31, v14
	v_cmp_gt_i64_e64 s[0:1], 0, v[2:3]
	v_not_b32_e32 v17, v3
	v_lshlrev_b32_e32 v3, 27, v9
	v_and_b32_e32 v1, v1, v15
	v_and_b32_e32 v0, v0, v13
	v_xor_b32_e32 v13, vcc_hi, v14
	v_xor_b32_e32 v14, vcc_lo, v14
	v_ashrrev_i32_e32 v15, 31, v17
	v_cmp_gt_i64_e32 vcc, 0, v[2:3]
	v_not_b32_e32 v3, v3
	v_and_b32_e32 v1, v1, v13
	v_and_b32_e32 v0, v0, v14
	v_xor_b32_e32 v13, s1, v15
	v_xor_b32_e32 v14, s0, v15
	v_ashrrev_i32_e32 v3, 31, v3
	v_and_b32_e32 v1, v1, v13
	v_and_b32_e32 v0, v0, v14
	v_xor_b32_e32 v13, vcc_hi, v3
	v_xor_b32_e32 v3, vcc_lo, v3
	v_and_b32_e32 v0, v0, v3
	v_lshlrev_b32_e32 v3, 26, v9
	v_cmp_gt_i64_e32 vcc, 0, v[2:3]
	v_not_b32_e32 v3, v3
	v_ashrrev_i32_e32 v3, 31, v3
	v_and_b32_e32 v1, v1, v13
	v_xor_b32_e32 v13, vcc_hi, v3
	v_xor_b32_e32 v3, vcc_lo, v3
	v_and_b32_e32 v0, v0, v3
	v_lshlrev_b32_e32 v3, 25, v9
	v_cmp_gt_i64_e32 vcc, 0, v[2:3]
	v_not_b32_e32 v3, v3
	v_ashrrev_i32_e32 v3, 31, v3
	;; [unrolled: 8-line block ×3, first 2 shown]
	v_xor_b32_e32 v9, vcc_hi, v3
	v_xor_b32_e32 v3, vcc_lo, v3
	v_and_b32_e32 v1, v1, v13
	v_and_b32_e32 v0, v0, v3
	;; [unrolled: 1-line block ×3, first 2 shown]
	v_mbcnt_lo_u32_b32 v3, v0, 0
	v_mbcnt_hi_u32_b32 v9, v1, v3
	v_cmp_eq_u32_e32 vcc, 0, v9
	v_cmp_ne_u64_e64 s[0:1], 0, v[0:1]
	s_and_b64 s[2:3], s[0:1], vcc
	s_and_saveexec_b64 s[0:1], s[2:3]
	s_cbranch_execz .LBB96_89
; %bb.88:
	v_bcnt_u32_b32 v0, v0, 0
	v_bcnt_u32_b32 v0, v1, v0
	ds_write_b32 v7, v0 offset:32
.LBB96_89:
	s_or_b64 exec, exec, s[0:1]
	s_waitcnt vmcnt(4)
	v_xor_b32_e32 v12, 0x80000000, v12
	v_lshrrev_b32_e32 v0, s48, v12
	v_and_b32_e32 v0, s14, v0
	v_lshl_add_u32 v1, v0, 3, v0
	v_add_lshl_u32 v14, v19, v1, 2
	v_and_b32_e32 v1, 1, v0
	v_add_co_u32_e32 v3, vcc, -1, v1
	v_addc_co_u32_e64 v15, s[0:1], 0, -1, vcc
	v_cmp_ne_u32_e32 vcc, 0, v1
	v_xor_b32_e32 v3, vcc_lo, v3
	v_xor_b32_e32 v1, vcc_hi, v15
	v_and_b32_e32 v15, exec_lo, v3
	v_lshlrev_b32_e32 v3, 30, v0
	v_cmp_gt_i64_e32 vcc, 0, v[2:3]
	v_not_b32_e32 v3, v3
	v_ashrrev_i32_e32 v3, 31, v3
	v_xor_b32_e32 v17, vcc_hi, v3
	v_xor_b32_e32 v3, vcc_lo, v3
	v_and_b32_e32 v15, v15, v3
	v_lshlrev_b32_e32 v3, 29, v0
	v_cmp_gt_i64_e32 vcc, 0, v[2:3]
	v_not_b32_e32 v3, v3
	v_and_b32_e32 v1, exec_hi, v1
	v_ashrrev_i32_e32 v3, 31, v3
	v_and_b32_e32 v1, v1, v17
	v_xor_b32_e32 v17, vcc_hi, v3
	v_xor_b32_e32 v3, vcc_lo, v3
	v_and_b32_e32 v15, v15, v3
	v_lshlrev_b32_e32 v3, 28, v0
	v_cmp_gt_i64_e32 vcc, 0, v[2:3]
	v_not_b32_e32 v3, v3
	v_ashrrev_i32_e32 v3, 31, v3
	v_and_b32_e32 v1, v1, v17
	v_xor_b32_e32 v17, vcc_hi, v3
	v_xor_b32_e32 v3, vcc_lo, v3
	v_and_b32_e32 v15, v15, v3
	v_lshlrev_b32_e32 v3, 27, v0
	v_cmp_gt_i64_e32 vcc, 0, v[2:3]
	v_not_b32_e32 v3, v3
	;; [unrolled: 8-line block ×4, first 2 shown]
	v_ashrrev_i32_e32 v3, 31, v3
	v_and_b32_e32 v1, v1, v17
	v_xor_b32_e32 v17, vcc_hi, v3
	v_xor_b32_e32 v3, vcc_lo, v3
	v_and_b32_e32 v15, v15, v3
	v_lshlrev_b32_e32 v3, 24, v0
	v_not_b32_e32 v0, v3
	v_cmp_gt_i64_e32 vcc, 0, v[2:3]
	v_ashrrev_i32_e32 v0, 31, v0
	v_xor_b32_e32 v2, vcc_hi, v0
	v_xor_b32_e32 v0, vcc_lo, v0
	; wave barrier
	ds_read_b32 v13, v14 offset:32
	v_and_b32_e32 v1, v1, v17
	v_and_b32_e32 v0, v15, v0
	;; [unrolled: 1-line block ×3, first 2 shown]
	v_mbcnt_lo_u32_b32 v2, v0, 0
	v_mbcnt_hi_u32_b32 v15, v1, v2
	v_cmp_eq_u32_e32 vcc, 0, v15
	v_cmp_ne_u64_e64 s[0:1], 0, v[0:1]
	s_and_b64 s[2:3], s[0:1], vcc
	; wave barrier
	s_and_saveexec_b64 s[0:1], s[2:3]
	s_cbranch_execz .LBB96_91
; %bb.90:
	v_bcnt_u32_b32 v0, v0, 0
	v_bcnt_u32_b32 v0, v1, v0
	s_waitcnt lgkmcnt(0)
	v_add_u32_e32 v0, v13, v0
	ds_write_b32 v14, v0 offset:32
.LBB96_91:
	s_or_b64 exec, exec, s[0:1]
	s_waitcnt vmcnt(3)
	v_xor_b32_e32 v16, 0x80000000, v16
	v_lshrrev_b32_e32 v0, s48, v16
	v_and_b32_e32 v2, s14, v0
	v_and_b32_e32 v1, 1, v2
	v_add_co_u32_e32 v3, vcc, -1, v1
	v_addc_co_u32_e64 v21, s[0:1], 0, -1, vcc
	v_cmp_ne_u32_e32 vcc, 0, v1
	v_lshl_add_u32 v0, v2, 3, v2
	v_xor_b32_e32 v1, vcc_hi, v21
	v_add_lshl_u32 v20, v19, v0, 2
	v_mov_b32_e32 v0, 0
	v_and_b32_e32 v21, exec_hi, v1
	v_lshlrev_b32_e32 v1, 30, v2
	v_xor_b32_e32 v3, vcc_lo, v3
	v_cmp_gt_i64_e32 vcc, 0, v[0:1]
	v_not_b32_e32 v1, v1
	v_ashrrev_i32_e32 v1, 31, v1
	v_and_b32_e32 v3, exec_lo, v3
	v_xor_b32_e32 v23, vcc_hi, v1
	v_xor_b32_e32 v1, vcc_lo, v1
	v_and_b32_e32 v3, v3, v1
	v_lshlrev_b32_e32 v1, 29, v2
	v_cmp_gt_i64_e32 vcc, 0, v[0:1]
	v_not_b32_e32 v1, v1
	v_ashrrev_i32_e32 v1, 31, v1
	v_and_b32_e32 v21, v21, v23
	v_xor_b32_e32 v23, vcc_hi, v1
	v_xor_b32_e32 v1, vcc_lo, v1
	v_and_b32_e32 v3, v3, v1
	v_lshlrev_b32_e32 v1, 28, v2
	v_cmp_gt_i64_e32 vcc, 0, v[0:1]
	v_not_b32_e32 v1, v1
	v_ashrrev_i32_e32 v1, 31, v1
	v_and_b32_e32 v21, v21, v23
	;; [unrolled: 8-line block ×5, first 2 shown]
	v_xor_b32_e32 v23, vcc_hi, v1
	v_xor_b32_e32 v1, vcc_lo, v1
	v_and_b32_e32 v21, v21, v23
	v_and_b32_e32 v23, v3, v1
	v_lshlrev_b32_e32 v1, 24, v2
	v_cmp_gt_i64_e32 vcc, 0, v[0:1]
	v_not_b32_e32 v1, v1
	v_ashrrev_i32_e32 v1, 31, v1
	v_xor_b32_e32 v2, vcc_hi, v1
	v_xor_b32_e32 v1, vcc_lo, v1
	; wave barrier
	ds_read_b32 v17, v20 offset:32
	v_and_b32_e32 v3, v21, v2
	v_and_b32_e32 v2, v23, v1
	v_mbcnt_lo_u32_b32 v1, v2, 0
	v_mbcnt_hi_u32_b32 v21, v3, v1
	v_cmp_eq_u32_e32 vcc, 0, v21
	v_cmp_ne_u64_e64 s[0:1], 0, v[2:3]
	s_and_b64 s[2:3], s[0:1], vcc
	; wave barrier
	s_and_saveexec_b64 s[0:1], s[2:3]
	s_cbranch_execz .LBB96_93
; %bb.92:
	v_bcnt_u32_b32 v1, v2, 0
	v_bcnt_u32_b32 v1, v3, v1
	s_waitcnt lgkmcnt(0)
	v_add_u32_e32 v1, v17, v1
	ds_write_b32 v20, v1 offset:32
.LBB96_93:
	s_or_b64 exec, exec, s[0:1]
	s_waitcnt vmcnt(2)
	v_xor_b32_e32 v22, 0x80000000, v22
	v_lshrrev_b32_e32 v1, s48, v22
	v_and_b32_e32 v2, s14, v1
	v_lshl_add_u32 v1, v2, 3, v2
	v_add_lshl_u32 v25, v19, v1, 2
	v_and_b32_e32 v1, 1, v2
	v_add_co_u32_e32 v3, vcc, -1, v1
	v_addc_co_u32_e64 v26, s[0:1], 0, -1, vcc
	v_cmp_ne_u32_e32 vcc, 0, v1
	v_xor_b32_e32 v1, vcc_hi, v26
	v_and_b32_e32 v26, exec_hi, v1
	v_lshlrev_b32_e32 v1, 30, v2
	v_xor_b32_e32 v3, vcc_lo, v3
	v_cmp_gt_i64_e32 vcc, 0, v[0:1]
	v_not_b32_e32 v1, v1
	v_ashrrev_i32_e32 v1, 31, v1
	v_and_b32_e32 v3, exec_lo, v3
	v_xor_b32_e32 v27, vcc_hi, v1
	v_xor_b32_e32 v1, vcc_lo, v1
	v_and_b32_e32 v3, v3, v1
	v_lshlrev_b32_e32 v1, 29, v2
	v_cmp_gt_i64_e32 vcc, 0, v[0:1]
	v_not_b32_e32 v1, v1
	v_ashrrev_i32_e32 v1, 31, v1
	v_and_b32_e32 v26, v26, v27
	v_xor_b32_e32 v27, vcc_hi, v1
	v_xor_b32_e32 v1, vcc_lo, v1
	v_and_b32_e32 v3, v3, v1
	v_lshlrev_b32_e32 v1, 28, v2
	v_cmp_gt_i64_e32 vcc, 0, v[0:1]
	v_not_b32_e32 v1, v1
	v_ashrrev_i32_e32 v1, 31, v1
	v_and_b32_e32 v26, v26, v27
	;; [unrolled: 8-line block ×5, first 2 shown]
	v_xor_b32_e32 v27, vcc_hi, v1
	v_xor_b32_e32 v1, vcc_lo, v1
	v_and_b32_e32 v3, v3, v1
	v_lshlrev_b32_e32 v1, 24, v2
	v_cmp_gt_i64_e32 vcc, 0, v[0:1]
	v_not_b32_e32 v0, v1
	v_ashrrev_i32_e32 v0, 31, v0
	v_xor_b32_e32 v1, vcc_hi, v0
	v_xor_b32_e32 v0, vcc_lo, v0
	; wave barrier
	ds_read_b32 v23, v25 offset:32
	v_and_b32_e32 v26, v26, v27
	v_and_b32_e32 v0, v3, v0
	;; [unrolled: 1-line block ×3, first 2 shown]
	v_mbcnt_lo_u32_b32 v2, v0, 0
	v_mbcnt_hi_u32_b32 v26, v1, v2
	v_cmp_eq_u32_e32 vcc, 0, v26
	v_cmp_ne_u64_e64 s[0:1], 0, v[0:1]
	s_and_b64 s[2:3], s[0:1], vcc
	; wave barrier
	s_and_saveexec_b64 s[0:1], s[2:3]
	s_cbranch_execz .LBB96_95
; %bb.94:
	v_bcnt_u32_b32 v0, v0, 0
	v_bcnt_u32_b32 v0, v1, v0
	s_waitcnt lgkmcnt(0)
	v_add_u32_e32 v0, v23, v0
	ds_write_b32 v25, v0 offset:32
.LBB96_95:
	s_or_b64 exec, exec, s[0:1]
	s_waitcnt vmcnt(1)
	v_xor_b32_e32 v24, 0x80000000, v24
	v_lshrrev_b32_e32 v0, s48, v24
	v_and_b32_e32 v2, s14, v0
	v_and_b32_e32 v1, 1, v2
	v_add_co_u32_e32 v3, vcc, -1, v1
	v_addc_co_u32_e64 v29, s[0:1], 0, -1, vcc
	v_cmp_ne_u32_e32 vcc, 0, v1
	v_lshl_add_u32 v0, v2, 3, v2
	v_xor_b32_e32 v1, vcc_hi, v29
	v_add_lshl_u32 v28, v19, v0, 2
	v_mov_b32_e32 v0, 0
	v_and_b32_e32 v29, exec_hi, v1
	v_lshlrev_b32_e32 v1, 30, v2
	v_xor_b32_e32 v3, vcc_lo, v3
	v_cmp_gt_i64_e32 vcc, 0, v[0:1]
	v_not_b32_e32 v1, v1
	v_ashrrev_i32_e32 v1, 31, v1
	v_and_b32_e32 v3, exec_lo, v3
	v_xor_b32_e32 v30, vcc_hi, v1
	v_xor_b32_e32 v1, vcc_lo, v1
	v_and_b32_e32 v3, v3, v1
	v_lshlrev_b32_e32 v1, 29, v2
	v_cmp_gt_i64_e32 vcc, 0, v[0:1]
	v_not_b32_e32 v1, v1
	v_ashrrev_i32_e32 v1, 31, v1
	v_and_b32_e32 v29, v29, v30
	v_xor_b32_e32 v30, vcc_hi, v1
	v_xor_b32_e32 v1, vcc_lo, v1
	v_and_b32_e32 v3, v3, v1
	v_lshlrev_b32_e32 v1, 28, v2
	v_cmp_gt_i64_e32 vcc, 0, v[0:1]
	v_not_b32_e32 v1, v1
	v_ashrrev_i32_e32 v1, 31, v1
	v_and_b32_e32 v29, v29, v30
	;; [unrolled: 8-line block ×5, first 2 shown]
	v_xor_b32_e32 v30, vcc_hi, v1
	v_xor_b32_e32 v1, vcc_lo, v1
	v_and_b32_e32 v29, v29, v30
	v_and_b32_e32 v30, v3, v1
	v_lshlrev_b32_e32 v1, 24, v2
	v_cmp_gt_i64_e32 vcc, 0, v[0:1]
	v_not_b32_e32 v1, v1
	v_ashrrev_i32_e32 v1, 31, v1
	v_xor_b32_e32 v2, vcc_hi, v1
	v_xor_b32_e32 v1, vcc_lo, v1
	; wave barrier
	ds_read_b32 v27, v28 offset:32
	v_and_b32_e32 v3, v29, v2
	v_and_b32_e32 v2, v30, v1
	v_mbcnt_lo_u32_b32 v1, v2, 0
	v_mbcnt_hi_u32_b32 v29, v3, v1
	v_cmp_eq_u32_e32 vcc, 0, v29
	v_cmp_ne_u64_e64 s[0:1], 0, v[2:3]
	s_and_b64 s[2:3], s[0:1], vcc
	; wave barrier
	s_and_saveexec_b64 s[0:1], s[2:3]
	s_cbranch_execz .LBB96_97
; %bb.96:
	v_bcnt_u32_b32 v1, v2, 0
	v_bcnt_u32_b32 v1, v3, v1
	s_waitcnt lgkmcnt(0)
	v_add_u32_e32 v1, v27, v1
	ds_write_b32 v28, v1 offset:32
.LBB96_97:
	s_or_b64 exec, exec, s[0:1]
	s_waitcnt vmcnt(0)
	v_xor_b32_e32 v30, 0x80000000, v18
	v_lshrrev_b32_e32 v1, s48, v30
	v_and_b32_e32 v2, s14, v1
	v_lshl_add_u32 v1, v2, 3, v2
	v_add_lshl_u32 v19, v19, v1, 2
	v_and_b32_e32 v1, 1, v2
	v_add_co_u32_e32 v3, vcc, -1, v1
	v_addc_co_u32_e64 v18, s[0:1], 0, -1, vcc
	v_cmp_ne_u32_e32 vcc, 0, v1
	v_xor_b32_e32 v1, vcc_hi, v18
	v_and_b32_e32 v18, exec_hi, v1
	v_lshlrev_b32_e32 v1, 30, v2
	v_xor_b32_e32 v3, vcc_lo, v3
	v_cmp_gt_i64_e32 vcc, 0, v[0:1]
	v_not_b32_e32 v1, v1
	v_ashrrev_i32_e32 v1, 31, v1
	v_and_b32_e32 v3, exec_lo, v3
	v_xor_b32_e32 v33, vcc_hi, v1
	v_xor_b32_e32 v1, vcc_lo, v1
	v_and_b32_e32 v3, v3, v1
	v_lshlrev_b32_e32 v1, 29, v2
	v_cmp_gt_i64_e32 vcc, 0, v[0:1]
	v_not_b32_e32 v1, v1
	v_ashrrev_i32_e32 v1, 31, v1
	v_and_b32_e32 v18, v18, v33
	v_xor_b32_e32 v33, vcc_hi, v1
	v_xor_b32_e32 v1, vcc_lo, v1
	v_and_b32_e32 v3, v3, v1
	v_lshlrev_b32_e32 v1, 28, v2
	v_cmp_gt_i64_e32 vcc, 0, v[0:1]
	v_not_b32_e32 v1, v1
	v_ashrrev_i32_e32 v1, 31, v1
	v_and_b32_e32 v18, v18, v33
	;; [unrolled: 8-line block ×5, first 2 shown]
	v_xor_b32_e32 v33, vcc_hi, v1
	v_xor_b32_e32 v1, vcc_lo, v1
	v_and_b32_e32 v3, v3, v1
	v_lshlrev_b32_e32 v1, 24, v2
	v_cmp_gt_i64_e32 vcc, 0, v[0:1]
	v_not_b32_e32 v0, v1
	v_ashrrev_i32_e32 v0, 31, v0
	v_xor_b32_e32 v1, vcc_hi, v0
	v_xor_b32_e32 v0, vcc_lo, v0
	; wave barrier
	ds_read_b32 v31, v19 offset:32
	v_and_b32_e32 v18, v18, v33
	v_and_b32_e32 v0, v3, v0
	;; [unrolled: 1-line block ×3, first 2 shown]
	v_mbcnt_lo_u32_b32 v2, v0, 0
	v_mbcnt_hi_u32_b32 v33, v1, v2
	v_cmp_eq_u32_e32 vcc, 0, v33
	v_cmp_ne_u64_e64 s[0:1], 0, v[0:1]
	v_add_u32_e32 v32, 32, v5
	s_and_b64 s[2:3], s[0:1], vcc
	; wave barrier
	s_and_saveexec_b64 s[0:1], s[2:3]
	s_cbranch_execz .LBB96_99
; %bb.98:
	v_bcnt_u32_b32 v0, v0, 0
	v_bcnt_u32_b32 v0, v1, v0
	s_waitcnt lgkmcnt(0)
	v_add_u32_e32 v0, v31, v0
	ds_write_b32 v19, v0 offset:32
.LBB96_99:
	s_or_b64 exec, exec, s[0:1]
	; wave barrier
	s_waitcnt lgkmcnt(0)
	s_barrier
	ds_read2_b32 v[2:3], v5 offset0:8 offset1:9
	ds_read2_b32 v[0:1], v32 offset0:2 offset1:3
	ds_read_b32 v18, v32 offset:16
	v_min_u32_e32 v6, 0x1c0, v6
	v_or_b32_e32 v6, 63, v6
	s_waitcnt lgkmcnt(1)
	v_add3_u32 v34, v3, v2, v0
	s_waitcnt lgkmcnt(0)
	v_add3_u32 v18, v34, v1, v18
	v_and_b32_e32 v34, 15, v11
	v_cmp_ne_u32_e32 vcc, 0, v34
	v_mov_b32_dpp v35, v18 row_shr:1 row_mask:0xf bank_mask:0xf
	v_cndmask_b32_e32 v35, 0, v35, vcc
	v_add_u32_e32 v18, v35, v18
	v_cmp_lt_u32_e32 vcc, 1, v34
	s_nop 0
	v_mov_b32_dpp v35, v18 row_shr:2 row_mask:0xf bank_mask:0xf
	v_cndmask_b32_e32 v35, 0, v35, vcc
	v_add_u32_e32 v18, v18, v35
	v_cmp_lt_u32_e32 vcc, 3, v34
	s_nop 0
	v_mov_b32_dpp v35, v18 row_shr:4 row_mask:0xf bank_mask:0xf
	v_cndmask_b32_e32 v35, 0, v35, vcc
	v_add_u32_e32 v18, v18, v35
	v_cmp_lt_u32_e32 vcc, 7, v34
	s_nop 0
	v_mov_b32_dpp v35, v18 row_shr:8 row_mask:0xf bank_mask:0xf
	v_cndmask_b32_e32 v34, 0, v35, vcc
	v_add_u32_e32 v18, v18, v34
	v_bfe_i32 v35, v11, 4, 1
	v_cmp_lt_u32_e32 vcc, 31, v11
	v_mov_b32_dpp v34, v18 row_bcast:15 row_mask:0xf bank_mask:0xf
	v_and_b32_e32 v34, v35, v34
	v_add_u32_e32 v18, v18, v34
	v_lshrrev_b32_e32 v35, 6, v8
	s_nop 0
	v_mov_b32_dpp v34, v18 row_bcast:31 row_mask:0xf bank_mask:0xf
	v_cndmask_b32_e32 v34, 0, v34, vcc
	v_add_u32_e32 v34, v18, v34
	v_cmp_eq_u32_e32 vcc, v6, v8
	s_and_saveexec_b64 s[0:1], vcc
	s_cbranch_execz .LBB96_101
; %bb.100:
	v_lshlrev_b32_e32 v6, 2, v35
	ds_write_b32 v6, v34
.LBB96_101:
	s_or_b64 exec, exec, s[0:1]
	v_cmp_gt_u32_e32 vcc, 8, v8
	v_lshlrev_b32_e32 v18, 2, v8
	s_waitcnt lgkmcnt(0)
	s_barrier
	s_and_saveexec_b64 s[0:1], vcc
	s_cbranch_execz .LBB96_103
; %bb.102:
	ds_read_b32 v6, v18
	v_and_b32_e32 v36, 7, v11
	v_cmp_ne_u32_e32 vcc, 0, v36
	s_waitcnt lgkmcnt(0)
	v_mov_b32_dpp v37, v6 row_shr:1 row_mask:0xf bank_mask:0xf
	v_cndmask_b32_e32 v37, 0, v37, vcc
	v_add_u32_e32 v6, v37, v6
	v_cmp_lt_u32_e32 vcc, 1, v36
	s_nop 0
	v_mov_b32_dpp v37, v6 row_shr:2 row_mask:0xf bank_mask:0xf
	v_cndmask_b32_e32 v37, 0, v37, vcc
	v_add_u32_e32 v6, v6, v37
	v_cmp_lt_u32_e32 vcc, 3, v36
	s_nop 0
	v_mov_b32_dpp v37, v6 row_shr:4 row_mask:0xf bank_mask:0xf
	v_cndmask_b32_e32 v36, 0, v37, vcc
	v_add_u32_e32 v6, v6, v36
	ds_write_b32 v18, v6
.LBB96_103:
	s_or_b64 exec, exec, s[0:1]
	v_cmp_lt_u32_e32 vcc, 63, v8
	v_mov_b32_e32 v6, 0
	s_waitcnt lgkmcnt(0)
	s_barrier
	s_and_saveexec_b64 s[0:1], vcc
	s_cbranch_execz .LBB96_105
; %bb.104:
	v_lshl_add_u32 v6, v35, 2, -4
	ds_read_b32 v6, v6
.LBB96_105:
	s_or_b64 exec, exec, s[0:1]
	v_add_u32_e32 v35, -1, v11
	v_and_b32_e32 v36, 64, v11
	v_cmp_lt_i32_e32 vcc, v35, v36
	v_cndmask_b32_e32 v35, v35, v11, vcc
	s_waitcnt lgkmcnt(0)
	v_add_u32_e32 v34, v6, v34
	v_lshlrev_b32_e32 v35, 2, v35
	ds_bpermute_b32 v34, v35, v34
	v_cmp_eq_u32_e32 vcc, 0, v11
	s_movk_i32 s2, 0xff
	s_movk_i32 s3, 0x100
	v_cmp_lt_u32_e64 s[0:1], s2, v8
	s_waitcnt lgkmcnt(0)
	v_cndmask_b32_e32 v6, v34, v6, vcc
	v_cmp_ne_u32_e32 vcc, 0, v8
	v_cndmask_b32_e32 v6, 0, v6, vcc
	v_add_u32_e32 v2, v6, v2
	v_add_u32_e32 v3, v2, v3
	;; [unrolled: 1-line block ×4, first 2 shown]
	ds_write2_b32 v5, v6, v2 offset0:8 offset1:9
	ds_write2_b32 v32, v3, v0 offset0:2 offset1:3
	ds_write_b32 v32, v1 offset:16
	s_waitcnt lgkmcnt(0)
	s_barrier
	ds_read_b32 v2, v7 offset:32
	ds_read_b32 v3, v14 offset:32
	;; [unrolled: 1-line block ×6, first 2 shown]
	v_cmp_gt_u32_e32 vcc, s3, v8
	v_pk_mov_b32 v[0:1], 0, 0
                                        ; implicit-def: $vgpr14
	s_and_saveexec_b64 s[4:5], vcc
	s_cbranch_execz .LBB96_109
; %bb.106:
	v_mul_u32_u24_e32 v0, 9, v8
	v_lshlrev_b32_e32 v14, 2, v0
	ds_read_b32 v0, v14 offset:32
	v_cmp_ne_u32_e64 s[2:3], s2, v8
	v_mov_b32_e32 v1, 0xc00
	s_and_saveexec_b64 s[10:11], s[2:3]
	s_cbranch_execz .LBB96_108
; %bb.107:
	ds_read_b32 v1, v14 offset:68
.LBB96_108:
	s_or_b64 exec, exec, s[10:11]
	s_waitcnt lgkmcnt(0)
	v_sub_u32_e32 v14, v1, v0
	v_mov_b32_e32 v1, 0
.LBB96_109:
	s_or_b64 exec, exec, s[4:5]
	s_waitcnt lgkmcnt(5)
	v_add_u32_e32 v25, v2, v9
	s_waitcnt lgkmcnt(4)
	v_add3_u32 v20, v15, v13, v3
	v_lshlrev_b32_e32 v2, 2, v25
	s_waitcnt lgkmcnt(3)
	v_add3_u32 v19, v21, v17, v5
	s_waitcnt lgkmcnt(0)
	s_barrier
	ds_write_b32 v2, v4 offset:2048
	v_lshlrev_b32_e32 v2, 2, v20
	v_add3_u32 v17, v26, v23, v6
	ds_write_b32 v2, v12 offset:2048
	v_lshlrev_b32_e32 v2, 2, v19
	v_add3_u32 v15, v29, v27, v7
	;; [unrolled: 3-line block ×3, first 2 shown]
	ds_write_b32 v2, v22 offset:2048
	v_lshlrev_b32_e32 v2, 2, v15
	ds_write_b32 v2, v24 offset:2048
	v_lshlrev_b32_e32 v2, 2, v13
	ds_write_b32 v2, v30 offset:2048
	s_waitcnt lgkmcnt(0)
	s_barrier
	s_and_saveexec_b64 s[2:3], s[0:1]
	s_xor_b64 s[0:1], exec, s[2:3]
; %bb.110:
	v_mov_b32_e32 v9, 0
; %bb.111:
	s_andn2_saveexec_b64 s[2:3], s[0:1]
	s_cbranch_execz .LBB96_121
; %bb.112:
	v_lshl_or_b32 v2, s6, 8, v8
	v_mov_b32_e32 v3, 0
	v_lshlrev_b64 v[4:5], 2, v[2:3]
	v_mov_b32_e32 v9, s35
	v_add_co_u32_e64 v4, s[0:1], s34, v4
	v_addc_co_u32_e64 v5, s[0:1], v9, v5, s[0:1]
	v_or_b32_e32 v2, 2.0, v14
	s_mov_b64 s[4:5], 0
	s_brev_b32 s15, 1
	s_mov_b32 s16, s6
	v_mov_b32_e32 v12, 0
	global_store_dword v[4:5], v2, off
                                        ; implicit-def: $sgpr0_sgpr1
	s_branch .LBB96_115
.LBB96_113:                             ;   in Loop: Header=BB96_115 Depth=1
	s_or_b64 exec, exec, s[12:13]
.LBB96_114:                             ;   in Loop: Header=BB96_115 Depth=1
	s_or_b64 exec, exec, s[10:11]
	v_and_b32_e32 v6, 0x3fffffff, v16
	v_add_u32_e32 v12, v6, v12
	v_cmp_eq_u32_e64 s[0:1], s15, v2
	s_and_b64 s[10:11], exec, s[0:1]
	s_or_b64 s[4:5], s[10:11], s[4:5]
	s_andn2_b64 exec, exec, s[4:5]
	s_cbranch_execz .LBB96_120
.LBB96_115:                             ; =>This Loop Header: Depth=1
                                        ;     Child Loop BB96_118 Depth 2
	s_or_b64 s[0:1], s[0:1], exec
	s_cmp_eq_u32 s16, 0
	s_cbranch_scc1 .LBB96_119
; %bb.116:                              ;   in Loop: Header=BB96_115 Depth=1
	s_add_i32 s16, s16, -1
	v_lshl_or_b32 v2, s16, 8, v8
	v_lshlrev_b64 v[6:7], 2, v[2:3]
	v_add_co_u32_e64 v6, s[0:1], s34, v6
	v_addc_co_u32_e64 v7, s[0:1], v9, v7, s[0:1]
	global_load_dword v16, v[6:7], off glc
	s_waitcnt vmcnt(0)
	v_and_b32_e32 v2, -2.0, v16
	v_cmp_eq_u32_e64 s[0:1], 0, v2
	s_and_saveexec_b64 s[10:11], s[0:1]
	s_cbranch_execz .LBB96_114
; %bb.117:                              ;   in Loop: Header=BB96_115 Depth=1
	s_mov_b64 s[12:13], 0
.LBB96_118:                             ;   Parent Loop BB96_115 Depth=1
                                        ; =>  This Inner Loop Header: Depth=2
	global_load_dword v16, v[6:7], off glc
	s_waitcnt vmcnt(0)
	v_and_b32_e32 v2, -2.0, v16
	v_cmp_ne_u32_e64 s[0:1], 0, v2
	s_or_b64 s[12:13], s[0:1], s[12:13]
	s_andn2_b64 exec, exec, s[12:13]
	s_cbranch_execnz .LBB96_118
	s_branch .LBB96_113
.LBB96_119:                             ;   in Loop: Header=BB96_115 Depth=1
                                        ; implicit-def: $sgpr16
	s_and_b64 s[10:11], exec, s[0:1]
	s_or_b64 s[4:5], s[10:11], s[4:5]
	s_andn2_b64 exec, exec, s[4:5]
	s_cbranch_execnz .LBB96_115
.LBB96_120:
	s_or_b64 exec, exec, s[4:5]
	v_add_u32_e32 v2, v12, v14
	v_or_b32_e32 v2, 0x80000000, v2
	global_store_dword v[4:5], v2, off
	v_lshlrev_b32_e32 v4, 3, v8
	global_load_dwordx2 v[2:3], v4, s[44:45]
	v_sub_co_u32_e64 v5, s[0:1], v12, v0
	v_subb_co_u32_e64 v6, s[0:1], 0, v1, s[0:1]
	v_mov_b32_e32 v9, 0
	s_waitcnt vmcnt(0)
	v_add_co_u32_e64 v2, s[0:1], v5, v2
	v_addc_co_u32_e64 v3, s[0:1], v6, v3, s[0:1]
	ds_write_b64 v4, v[2:3]
.LBB96_121:
	s_or_b64 exec, exec, s[2:3]
	s_waitcnt lgkmcnt(0)
	s_barrier
	ds_read2st64_b32 v[2:3], v18 offset0:16 offset1:24
	v_lshlrev_b32_e32 v6, 2, v8
	ds_read2st64_b32 v[4:5], v18 offset0:32 offset1:40
	ds_read_b32 v12, v18 offset:12288
	ds_read_b32 v24, v6 offset:2048
	s_waitcnt lgkmcnt(3)
	v_lshrrev_b32_e32 v7, s48, v2
	v_and_b32_e32 v7, s14, v7
	v_lshlrev_b32_e32 v16, 3, v7
	s_waitcnt lgkmcnt(2)
	v_lshrrev_b32_e32 v7, s48, v4
	s_waitcnt lgkmcnt(0)
	v_lshrrev_b32_e32 v28, s48, v24
	v_and_b32_e32 v7, s14, v7
	v_and_b32_e32 v28, s14, v28
	v_lshlrev_b32_e32 v21, 3, v7
	v_lshrrev_b32_e32 v7, s48, v12
	v_lshlrev_b32_e32 v47, 3, v28
	v_lshrrev_b32_e32 v28, s48, v3
	v_and_b32_e32 v7, s14, v7
	v_and_b32_e32 v28, s14, v28
	v_lshlrev_b32_e32 v46, 3, v7
	ds_read_b64 v[6:7], v16
	ds_read_b64 v[22:23], v21
	ds_read_b64 v[26:27], v46
	v_lshlrev_b32_e32 v48, 3, v28
	ds_read_b64 v[28:29], v47
	v_mov_b32_e32 v34, s39
	v_lshlrev_b32_e32 v11, 3, v11
	v_lshlrev_b32_e32 v10, 3, v10
	v_lshrrev_b32_e32 v30, s48, v5
	s_waitcnt lgkmcnt(0)
	v_lshlrev_b64 v[28:29], 2, v[28:29]
	v_add_co_u32_e64 v35, s[0:1], s38, v28
	v_addc_co_u32_e64 v36, s[0:1], v34, v29, s[0:1]
	v_lshlrev_b64 v[28:29], 2, v[8:9]
	v_add_co_u32_e64 v34, s[0:1], v35, v28
	v_addc_co_u32_e64 v35, s[0:1], v36, v29, s[0:1]
	s_lshl_b64 s[0:1], s[30:31], 3
	s_add_u32 s0, s40, s0
	s_addc_u32 s1, s41, s1
	v_mov_b32_e32 v36, s1
	v_add_co_u32_e64 v11, s[0:1], s0, v11
	v_addc_co_u32_e64 v36, s[0:1], 0, v36, s[0:1]
	v_add_co_u32_e64 v10, s[0:1], v11, v10
	v_and_b32_e32 v30, s14, v30
	v_addc_co_u32_e64 v11, s[0:1], 0, v36, s[0:1]
	v_xor_b32_e32 v24, 0x80000000, v24
	v_lshlrev_b32_e32 v49, 3, v30
	ds_read_b64 v[30:31], v48
	ds_read_b64 v[32:33], v49
	global_load_dwordx2 v[36:37], v[10:11], off
	global_load_dwordx2 v[38:39], v[10:11], off offset:1024
	global_load_dwordx2 v[40:41], v[10:11], off offset:1536
	v_lshlrev_b64 v[6:7], 2, v[6:7]
	global_store_dword v[34:35], v24, off
	global_load_dwordx2 v[34:35], v[10:11], off offset:512
	s_nop 0
	global_load_dwordx2 v[42:43], v[10:11], off offset:2048
	global_load_dwordx2 v[44:45], v[10:11], off offset:2560
	v_mov_b32_e32 v24, s39
	v_add_co_u32_e64 v6, s[0:1], s38, v6
	v_addc_co_u32_e64 v7, s[0:1], v24, v7, s[0:1]
	v_add_co_u32_e64 v6, s[0:1], v6, v28
	v_xor_b32_e32 v2, 0x80000000, v2
	v_addc_co_u32_e64 v7, s[0:1], v7, v29, s[0:1]
	global_store_dword v[6:7], v2, off offset:2048
	v_xor_b32_e32 v6, 0x80000000, v3
	s_waitcnt lgkmcnt(1)
	v_lshlrev_b64 v[2:3], 2, v[30:31]
	v_or_b32_e32 v24, 0x400, v8
	v_mov_b32_e32 v7, s39
	v_add_co_u32_e64 v2, s[0:1], s38, v2
	v_addc_co_u32_e64 v3, s[0:1], v7, v3, s[0:1]
	v_lshlrev_b32_e32 v7, 2, v24
	v_add_co_u32_e64 v2, s[0:1], v2, v7
	v_addc_co_u32_e64 v3, s[0:1], 0, v3, s[0:1]
	global_store_dword v[2:3], v6, off
	v_lshlrev_b64 v[2:3], 2, v[22:23]
	v_add_u32_e32 v28, 0x600, v8
	v_mov_b32_e32 v6, s39
	v_add_co_u32_e64 v2, s[0:1], s38, v2
	v_addc_co_u32_e64 v3, s[0:1], v6, v3, s[0:1]
	v_lshlrev_b32_e32 v6, 2, v28
	v_add_co_u32_e64 v2, s[0:1], v2, v6
	v_xor_b32_e32 v4, 0x80000000, v4
	v_addc_co_u32_e64 v3, s[0:1], 0, v3, s[0:1]
	global_store_dword v[2:3], v4, off
	s_waitcnt lgkmcnt(0)
	v_lshlrev_b64 v[2:3], 2, v[32:33]
	v_or_b32_e32 v22, 0x800, v8
	v_xor_b32_e32 v4, 0x80000000, v5
	v_mov_b32_e32 v5, s39
	v_add_co_u32_e64 v2, s[0:1], s38, v2
	v_addc_co_u32_e64 v3, s[0:1], v5, v3, s[0:1]
	v_lshlrev_b32_e32 v5, 2, v22
	v_add_co_u32_e64 v2, s[0:1], v2, v5
	v_addc_co_u32_e64 v3, s[0:1], 0, v3, s[0:1]
	global_store_dword v[2:3], v4, off
	v_lshlrev_b64 v[2:3], 2, v[26:27]
	v_add_u32_e32 v23, 0xa00, v8
	v_mov_b32_e32 v5, s39
	v_add_co_u32_e64 v2, s[0:1], s38, v2
	v_addc_co_u32_e64 v3, s[0:1], v5, v3, s[0:1]
	v_lshlrev_b32_e32 v5, 2, v23
	v_add_co_u32_e64 v2, s[0:1], v2, v5
	v_xor_b32_e32 v4, 0x80000000, v12
	v_addc_co_u32_e64 v3, s[0:1], 0, v3, s[0:1]
	global_store_dword v[2:3], v4, off
	v_lshlrev_b32_e32 v2, 3, v25
	s_barrier
	v_mov_b32_e32 v5, s43
	v_lshlrev_b32_e32 v4, 3, v8
	s_waitcnt vmcnt(11)
	ds_write_b64 v2, v[36:37] offset:2048
	v_lshlrev_b32_e32 v2, 3, v20
	s_movk_i32 s2, 0x800
	v_mov_b32_e32 v25, s43
	s_add_i32 s7, s7, -1
	s_waitcnt vmcnt(7)
	ds_write_b64 v2, v[34:35] offset:2048
	v_lshlrev_b32_e32 v2, 3, v19
	ds_write_b64 v2, v[38:39] offset:2048
	v_lshlrev_b32_e32 v2, 3, v17
	;; [unrolled: 2-line block ×3, first 2 shown]
	s_waitcnt vmcnt(6)
	ds_write_b64 v2, v[42:43] offset:2048
	v_lshlrev_b32_e32 v2, 3, v13
	s_waitcnt vmcnt(5)
	ds_write_b64 v2, v[44:45] offset:2048
	s_waitcnt lgkmcnt(0)
	s_barrier
	ds_read_b64 v[2:3], v47
	ds_read_b64 v[6:7], v16
	;; [unrolled: 1-line block ×4, first 2 shown]
	s_cmp_eq_u32 s6, s7
	s_waitcnt lgkmcnt(2)
	v_lshlrev_b64 v[6:7], 3, v[6:7]
	v_lshlrev_b64 v[2:3], 3, v[2:3]
	v_add_co_u32_e64 v15, s[0:1], s42, v2
	v_addc_co_u32_e64 v5, s[0:1], v5, v3, s[0:1]
	v_lshlrev_b64 v[2:3], 3, v[8:9]
	v_add_co_u32_e64 v2, s[0:1], v15, v2
	v_addc_co_u32_e64 v3, s[0:1], v5, v3, s[0:1]
	ds_read_b64 v[4:5], v4 offset:2048
	v_add3_u32 v15, v18, s2, v18
	ds_read_b64 v[16:17], v49
	ds_read_b64 v[18:19], v15 offset:20480
	ds_read_b64 v[20:21], v46
	v_add_co_u32_e64 v6, s[0:1], s42, v6
	s_waitcnt lgkmcnt(3)
	global_store_dwordx2 v[2:3], v[4:5], off
	ds_read2st64_b64 v[2:5], v15 offset0:8 offset1:16
	v_addc_co_u32_e64 v7, s[0:1], v25, v7, s[0:1]
	v_mov_b32_e32 v25, 0x1000
	v_lshl_add_u32 v25, v8, 3, v25
	v_add_co_u32_e64 v6, s[0:1], v6, v25
	v_addc_co_u32_e64 v7, s[0:1], 0, v7, s[0:1]
	s_waitcnt lgkmcnt(0)
	global_store_dwordx2 v[6:7], v[2:3], off
	v_lshlrev_b64 v[2:3], 3, v[10:11]
	v_mov_b32_e32 v6, s43
	v_add_co_u32_e64 v2, s[0:1], s42, v2
	v_addc_co_u32_e64 v3, s[0:1], v6, v3, s[0:1]
	v_lshlrev_b32_e32 v6, 3, v24
	v_add_co_u32_e64 v2, s[0:1], v2, v6
	v_addc_co_u32_e64 v3, s[0:1], 0, v3, s[0:1]
	global_store_dwordx2 v[2:3], v[4:5], off
	ds_read2st64_b64 v[2:5], v15 offset0:24 offset1:32
	v_lshlrev_b64 v[6:7], 3, v[12:13]
	v_mov_b32_e32 v10, s43
	v_add_co_u32_e64 v6, s[0:1], s42, v6
	v_addc_co_u32_e64 v7, s[0:1], v10, v7, s[0:1]
	v_lshlrev_b32_e32 v10, 3, v28
	v_add_co_u32_e64 v6, s[0:1], v6, v10
	v_addc_co_u32_e64 v7, s[0:1], 0, v7, s[0:1]
	s_waitcnt lgkmcnt(0)
	global_store_dwordx2 v[6:7], v[2:3], off
	v_lshlrev_b64 v[2:3], 3, v[16:17]
	v_mov_b32_e32 v6, s43
	v_add_co_u32_e64 v2, s[0:1], s42, v2
	v_addc_co_u32_e64 v3, s[0:1], v6, v3, s[0:1]
	v_lshlrev_b32_e32 v6, 3, v22
	v_add_co_u32_e64 v2, s[0:1], v2, v6
	v_addc_co_u32_e64 v3, s[0:1], 0, v3, s[0:1]
	global_store_dwordx2 v[2:3], v[4:5], off
	v_lshlrev_b64 v[2:3], 3, v[20:21]
	v_mov_b32_e32 v4, s43
	v_add_co_u32_e64 v2, s[0:1], s42, v2
	v_addc_co_u32_e64 v3, s[0:1], v4, v3, s[0:1]
	v_lshlrev_b32_e32 v4, 3, v23
	v_add_co_u32_e64 v2, s[0:1], v2, v4
	v_addc_co_u32_e64 v3, s[0:1], 0, v3, s[0:1]
	s_cselect_b64 s[0:1], -1, 0
	s_and_b64 s[2:3], vcc, s[0:1]
	global_store_dwordx2 v[2:3], v[18:19], off
                                        ; implicit-def: $vgpr4_vgpr5
	s_and_saveexec_b64 s[0:1], s[2:3]
; %bb.122:
	v_add_co_u32_e32 v4, vcc, v0, v14
	v_addc_co_u32_e32 v5, vcc, 0, v1, vcc
	s_or_b64 s[8:9], s[8:9], exec
; %bb.123:
	s_or_b64 exec, exec, s[0:1]
.LBB96_124:
	s_and_saveexec_b64 s[0:1], s[8:9]
	s_cbranch_execnz .LBB96_126
; %bb.125:
	s_endpgm
.LBB96_126:
	v_lshlrev_b32_e32 v2, 3, v8
	ds_read_b64 v[2:3], v2
	v_lshlrev_b64 v[0:1], 3, v[8:9]
	v_mov_b32_e32 v6, s47
	v_add_co_u32_e32 v0, vcc, s46, v0
	v_addc_co_u32_e32 v1, vcc, v6, v1, vcc
	s_waitcnt lgkmcnt(0)
	v_add_co_u32_e32 v2, vcc, v2, v4
	v_addc_co_u32_e32 v3, vcc, v3, v5, vcc
	global_store_dwordx2 v[0:1], v[2:3], off
	s_endpgm
.LBB96_127:
	global_load_dwordx2 v[4:5], v[18:19], off
	s_or_b64 exec, exec, s[28:29]
                                        ; implicit-def: $vgpr6_vgpr7
	s_and_saveexec_b64 s[28:29], s[0:1]
	s_cbranch_execz .LBB96_59
.LBB96_128:
	global_load_dwordx2 v[6:7], v[18:19], off offset:512
	s_or_b64 exec, exec, s[28:29]
                                        ; implicit-def: $vgpr10_vgpr11
	s_and_saveexec_b64 s[0:1], s[2:3]
	s_cbranch_execz .LBB96_60
.LBB96_129:
	global_load_dwordx2 v[10:11], v[18:19], off offset:1024
	s_or_b64 exec, exec, s[0:1]
                                        ; implicit-def: $vgpr12_vgpr13
	s_and_saveexec_b64 s[0:1], s[26:27]
	s_cbranch_execz .LBB96_61
.LBB96_130:
	global_load_dwordx2 v[12:13], v[18:19], off offset:1536
	s_or_b64 exec, exec, s[0:1]
                                        ; implicit-def: $vgpr14_vgpr15
	s_and_saveexec_b64 s[0:1], s[8:9]
	s_cbranch_execz .LBB96_62
.LBB96_131:
	global_load_dwordx2 v[14:15], v[18:19], off offset:2048
	s_or_b64 exec, exec, s[0:1]
                                        ; implicit-def: $vgpr16_vgpr17
	s_and_saveexec_b64 s[0:1], s[10:11]
	s_cbranch_execnz .LBB96_63
	s_branch .LBB96_64
.LBB96_132:
	v_lshlrev_b32_e32 v5, 3, v35
	ds_read_b64 v[6:7], v5
	ds_read_b64 v[10:11], v4 offset:2048
	v_mov_b32_e32 v5, s43
	s_waitcnt lgkmcnt(1)
	v_lshlrev_b64 v[6:7], 3, v[6:7]
	v_add_co_u32_e32 v6, vcc, s42, v6
	v_addc_co_u32_e32 v5, vcc, v5, v7, vcc
	v_add_co_u32_e32 v6, vcc, v6, v4
	v_addc_co_u32_e32 v7, vcc, 0, v5, vcc
	s_waitcnt lgkmcnt(0)
	global_store_dwordx2 v[6:7], v[10:11], off
	s_or_b64 exec, exec, s[0:1]
	s_and_saveexec_b64 s[0:1], s[16:17]
	s_cbranch_execz .LBB96_78
.LBB96_133:
	v_lshlrev_b32_e32 v5, 3, v33
	ds_read_b64 v[6:7], v5
	ds_read_b64 v[10:11], v4 offset:6144
	v_mov_b32_e32 v5, s43
	s_waitcnt lgkmcnt(1)
	v_lshlrev_b64 v[6:7], 3, v[6:7]
	v_add_co_u32_e32 v6, vcc, s42, v6
	v_addc_co_u32_e32 v5, vcc, v5, v7, vcc
	v_lshlrev_b32_e32 v7, 3, v22
	v_add_co_u32_e32 v6, vcc, v6, v7
	v_addc_co_u32_e32 v7, vcc, 0, v5, vcc
	s_waitcnt lgkmcnt(0)
	global_store_dwordx2 v[6:7], v[10:11], off
	s_or_b64 exec, exec, s[0:1]
	s_and_saveexec_b64 s[0:1], s[18:19]
	s_cbranch_execz .LBB96_79
.LBB96_134:
	v_lshlrev_b32_e32 v5, 3, v34
	ds_read_b64 v[6:7], v5
	ds_read_b64 v[10:11], v4 offset:10240
	v_mov_b32_e32 v5, s43
	s_waitcnt lgkmcnt(1)
	v_lshlrev_b64 v[6:7], 3, v[6:7]
	v_add_co_u32_e32 v6, vcc, s42, v6
	v_addc_co_u32_e32 v5, vcc, v5, v7, vcc
	v_lshlrev_b32_e32 v7, 3, v29
	v_add_co_u32_e32 v6, vcc, v6, v7
	v_addc_co_u32_e32 v7, vcc, 0, v5, vcc
	s_waitcnt lgkmcnt(0)
	global_store_dwordx2 v[6:7], v[10:11], off
	s_or_b64 exec, exec, s[0:1]
	s_and_saveexec_b64 s[0:1], s[20:21]
	s_cbranch_execz .LBB96_80
.LBB96_135:
	v_lshlrev_b32_e32 v5, 3, v18
	ds_read_b64 v[6:7], v5
	ds_read_b64 v[10:11], v4 offset:14336
	v_mov_b32_e32 v5, s43
	s_waitcnt lgkmcnt(1)
	v_lshlrev_b64 v[6:7], 3, v[6:7]
	v_add_co_u32_e32 v6, vcc, s42, v6
	v_addc_co_u32_e32 v5, vcc, v5, v7, vcc
	v_lshlrev_b32_e32 v7, 3, v30
	v_add_co_u32_e32 v6, vcc, v6, v7
	v_addc_co_u32_e32 v7, vcc, 0, v5, vcc
	s_waitcnt lgkmcnt(0)
	global_store_dwordx2 v[6:7], v[10:11], off
	s_or_b64 exec, exec, s[0:1]
	s_and_saveexec_b64 s[0:1], s[22:23]
	s_cbranch_execz .LBB96_81
.LBB96_136:
	v_lshlrev_b32_e32 v5, 3, v19
	ds_read_b64 v[6:7], v5
	ds_read_b64 v[10:11], v4 offset:18432
	v_mov_b32_e32 v5, s43
	s_waitcnt lgkmcnt(1)
	v_lshlrev_b64 v[6:7], 3, v[6:7]
	v_add_co_u32_e32 v6, vcc, s42, v6
	v_addc_co_u32_e32 v5, vcc, v5, v7, vcc
	v_lshlrev_b32_e32 v7, 3, v31
	v_add_co_u32_e32 v6, vcc, v6, v7
	v_addc_co_u32_e32 v7, vcc, 0, v5, vcc
	s_waitcnt lgkmcnt(0)
	global_store_dwordx2 v[6:7], v[10:11], off
	s_or_b64 exec, exec, s[0:1]
	s_and_saveexec_b64 s[0:1], s[24:25]
	s_cbranch_execnz .LBB96_82
	s_branch .LBB96_83
	.section	.rodata,"a",@progbits
	.p2align	6, 0x0
	.amdhsa_kernel _ZN7rocprim17ROCPRIM_304000_NS6detail25onesweep_iteration_kernelINS1_34wrapped_radix_sort_onesweep_configINS0_14default_configEiN2at4cuda3cub6detail10OpaqueTypeILi8EEEEELb0EPKiPiPKSA_PSA_mNS0_19identity_decomposerEEEvT1_T2_T3_T4_jPT5_SO_PNS1_23onesweep_lookback_stateET6_jjj
		.amdhsa_group_segment_fixed_size 26624
		.amdhsa_private_segment_fixed_size 0
		.amdhsa_kernarg_size 336
		.amdhsa_user_sgpr_count 6
		.amdhsa_user_sgpr_private_segment_buffer 1
		.amdhsa_user_sgpr_dispatch_ptr 0
		.amdhsa_user_sgpr_queue_ptr 0
		.amdhsa_user_sgpr_kernarg_segment_ptr 1
		.amdhsa_user_sgpr_dispatch_id 0
		.amdhsa_user_sgpr_flat_scratch_init 0
		.amdhsa_user_sgpr_kernarg_preload_length 0
		.amdhsa_user_sgpr_kernarg_preload_offset 0
		.amdhsa_user_sgpr_private_segment_size 0
		.amdhsa_uses_dynamic_stack 0
		.amdhsa_system_sgpr_private_segment_wavefront_offset 0
		.amdhsa_system_sgpr_workgroup_id_x 1
		.amdhsa_system_sgpr_workgroup_id_y 0
		.amdhsa_system_sgpr_workgroup_id_z 0
		.amdhsa_system_sgpr_workgroup_info 0
		.amdhsa_system_vgpr_workitem_id 2
		.amdhsa_next_free_vgpr 50
		.amdhsa_next_free_sgpr 52
		.amdhsa_accum_offset 52
		.amdhsa_reserve_vcc 1
		.amdhsa_reserve_flat_scratch 0
		.amdhsa_float_round_mode_32 0
		.amdhsa_float_round_mode_16_64 0
		.amdhsa_float_denorm_mode_32 3
		.amdhsa_float_denorm_mode_16_64 3
		.amdhsa_dx10_clamp 1
		.amdhsa_ieee_mode 1
		.amdhsa_fp16_overflow 0
		.amdhsa_tg_split 0
		.amdhsa_exception_fp_ieee_invalid_op 0
		.amdhsa_exception_fp_denorm_src 0
		.amdhsa_exception_fp_ieee_div_zero 0
		.amdhsa_exception_fp_ieee_overflow 0
		.amdhsa_exception_fp_ieee_underflow 0
		.amdhsa_exception_fp_ieee_inexact 0
		.amdhsa_exception_int_div_zero 0
	.end_amdhsa_kernel
	.section	.text._ZN7rocprim17ROCPRIM_304000_NS6detail25onesweep_iteration_kernelINS1_34wrapped_radix_sort_onesweep_configINS0_14default_configEiN2at4cuda3cub6detail10OpaqueTypeILi8EEEEELb0EPKiPiPKSA_PSA_mNS0_19identity_decomposerEEEvT1_T2_T3_T4_jPT5_SO_PNS1_23onesweep_lookback_stateET6_jjj,"axG",@progbits,_ZN7rocprim17ROCPRIM_304000_NS6detail25onesweep_iteration_kernelINS1_34wrapped_radix_sort_onesweep_configINS0_14default_configEiN2at4cuda3cub6detail10OpaqueTypeILi8EEEEELb0EPKiPiPKSA_PSA_mNS0_19identity_decomposerEEEvT1_T2_T3_T4_jPT5_SO_PNS1_23onesweep_lookback_stateET6_jjj,comdat
.Lfunc_end96:
	.size	_ZN7rocprim17ROCPRIM_304000_NS6detail25onesweep_iteration_kernelINS1_34wrapped_radix_sort_onesweep_configINS0_14default_configEiN2at4cuda3cub6detail10OpaqueTypeILi8EEEEELb0EPKiPiPKSA_PSA_mNS0_19identity_decomposerEEEvT1_T2_T3_T4_jPT5_SO_PNS1_23onesweep_lookback_stateET6_jjj, .Lfunc_end96-_ZN7rocprim17ROCPRIM_304000_NS6detail25onesweep_iteration_kernelINS1_34wrapped_radix_sort_onesweep_configINS0_14default_configEiN2at4cuda3cub6detail10OpaqueTypeILi8EEEEELb0EPKiPiPKSA_PSA_mNS0_19identity_decomposerEEEvT1_T2_T3_T4_jPT5_SO_PNS1_23onesweep_lookback_stateET6_jjj
                                        ; -- End function
	.section	.AMDGPU.csdata,"",@progbits
; Kernel info:
; codeLenInByte = 11364
; NumSgprs: 56
; NumVgprs: 50
; NumAgprs: 0
; TotalNumVgprs: 50
; ScratchSize: 0
; MemoryBound: 0
; FloatMode: 240
; IeeeMode: 1
; LDSByteSize: 26624 bytes/workgroup (compile time only)
; SGPRBlocks: 6
; VGPRBlocks: 6
; NumSGPRsForWavesPerEU: 56
; NumVGPRsForWavesPerEU: 50
; AccumOffset: 52
; Occupancy: 4
; WaveLimiterHint : 1
; COMPUTE_PGM_RSRC2:SCRATCH_EN: 0
; COMPUTE_PGM_RSRC2:USER_SGPR: 6
; COMPUTE_PGM_RSRC2:TRAP_HANDLER: 0
; COMPUTE_PGM_RSRC2:TGID_X_EN: 1
; COMPUTE_PGM_RSRC2:TGID_Y_EN: 0
; COMPUTE_PGM_RSRC2:TGID_Z_EN: 0
; COMPUTE_PGM_RSRC2:TIDIG_COMP_CNT: 2
; COMPUTE_PGM_RSRC3_GFX90A:ACCUM_OFFSET: 12
; COMPUTE_PGM_RSRC3_GFX90A:TG_SPLIT: 0
	.section	.text._ZN7rocprim17ROCPRIM_304000_NS6detail25onesweep_iteration_kernelINS1_34wrapped_radix_sort_onesweep_configINS0_14default_configEiN2at4cuda3cub6detail10OpaqueTypeILi8EEEEELb0EPiSC_PSA_SD_mNS0_19identity_decomposerEEEvT1_T2_T3_T4_jPT5_SK_PNS1_23onesweep_lookback_stateET6_jjj,"axG",@progbits,_ZN7rocprim17ROCPRIM_304000_NS6detail25onesweep_iteration_kernelINS1_34wrapped_radix_sort_onesweep_configINS0_14default_configEiN2at4cuda3cub6detail10OpaqueTypeILi8EEEEELb0EPiSC_PSA_SD_mNS0_19identity_decomposerEEEvT1_T2_T3_T4_jPT5_SK_PNS1_23onesweep_lookback_stateET6_jjj,comdat
	.protected	_ZN7rocprim17ROCPRIM_304000_NS6detail25onesweep_iteration_kernelINS1_34wrapped_radix_sort_onesweep_configINS0_14default_configEiN2at4cuda3cub6detail10OpaqueTypeILi8EEEEELb0EPiSC_PSA_SD_mNS0_19identity_decomposerEEEvT1_T2_T3_T4_jPT5_SK_PNS1_23onesweep_lookback_stateET6_jjj ; -- Begin function _ZN7rocprim17ROCPRIM_304000_NS6detail25onesweep_iteration_kernelINS1_34wrapped_radix_sort_onesweep_configINS0_14default_configEiN2at4cuda3cub6detail10OpaqueTypeILi8EEEEELb0EPiSC_PSA_SD_mNS0_19identity_decomposerEEEvT1_T2_T3_T4_jPT5_SK_PNS1_23onesweep_lookback_stateET6_jjj
	.globl	_ZN7rocprim17ROCPRIM_304000_NS6detail25onesweep_iteration_kernelINS1_34wrapped_radix_sort_onesweep_configINS0_14default_configEiN2at4cuda3cub6detail10OpaqueTypeILi8EEEEELb0EPiSC_PSA_SD_mNS0_19identity_decomposerEEEvT1_T2_T3_T4_jPT5_SK_PNS1_23onesweep_lookback_stateET6_jjj
	.p2align	8
	.type	_ZN7rocprim17ROCPRIM_304000_NS6detail25onesweep_iteration_kernelINS1_34wrapped_radix_sort_onesweep_configINS0_14default_configEiN2at4cuda3cub6detail10OpaqueTypeILi8EEEEELb0EPiSC_PSA_SD_mNS0_19identity_decomposerEEEvT1_T2_T3_T4_jPT5_SK_PNS1_23onesweep_lookback_stateET6_jjj,@function
_ZN7rocprim17ROCPRIM_304000_NS6detail25onesweep_iteration_kernelINS1_34wrapped_radix_sort_onesweep_configINS0_14default_configEiN2at4cuda3cub6detail10OpaqueTypeILi8EEEEELb0EPiSC_PSA_SD_mNS0_19identity_decomposerEEEvT1_T2_T3_T4_jPT5_SK_PNS1_23onesweep_lookback_stateET6_jjj: ; @_ZN7rocprim17ROCPRIM_304000_NS6detail25onesweep_iteration_kernelINS1_34wrapped_radix_sort_onesweep_configINS0_14default_configEiN2at4cuda3cub6detail10OpaqueTypeILi8EEEEELb0EPiSC_PSA_SD_mNS0_19identity_decomposerEEEvT1_T2_T3_T4_jPT5_SK_PNS1_23onesweep_lookback_stateET6_jjj
; %bb.0:
	s_load_dwordx4 s[48:51], s[4:5], 0x44
	s_load_dwordx8 s[36:43], s[4:5], 0x0
	s_load_dwordx4 s[44:47], s[4:5], 0x28
	s_load_dwordx2 s[34:35], s[4:5], 0x38
	s_mul_i32 s30, s6, 0xc00
	s_waitcnt lgkmcnt(0)
	s_cmp_ge_u32 s6, s50
	v_mbcnt_lo_u32_b32 v1, -1, 0
	s_cbranch_scc0 .LBB97_86
; %bb.1:
	s_load_dword s2, s[4:5], 0x20
	s_mulk_i32 s50, 0xf400
	s_mov_b32 s31, 0
	s_lshl_b64 s[0:1], s[30:31], 2
	v_and_b32_e32 v8, 0x3ff, v0
	s_waitcnt lgkmcnt(0)
	s_add_i32 s50, s50, s2
	s_add_u32 s0, s36, s0
	v_mbcnt_hi_u32_b32 v14, -1, v1
	s_addc_u32 s1, s37, s1
	v_and_b32_e32 v15, 0x1c0, v8
	v_lshlrev_b32_e32 v2, 2, v14
	v_mul_u32_u24_e32 v9, 6, v15
	v_mov_b32_e32 v3, s1
	v_add_co_u32_e32 v2, vcc, s0, v2
	v_addc_co_u32_e32 v3, vcc, 0, v3, vcc
	v_lshlrev_b32_e32 v4, 2, v9
	s_brev_b32 s8, -2
	v_add_co_u32_e32 v10, vcc, v2, v4
	s_mov_b32 s9, s8
	v_addc_co_u32_e32 v11, vcc, 0, v3, vcc
	v_or_b32_e32 v12, v14, v9
	s_mov_b32 s10, s8
	s_mov_b32 s11, s8
	;; [unrolled: 1-line block ×4, first 2 shown]
	v_pk_mov_b32 v[2:3], s[8:9], s[8:9] op_sel:[0,1]
	v_cmp_gt_u32_e32 vcc, s50, v12
	v_pk_mov_b32 v[4:5], s[10:11], s[10:11] op_sel:[0,1]
	v_pk_mov_b32 v[6:7], s[12:13], s[12:13] op_sel:[0,1]
	s_and_saveexec_b64 s[0:1], vcc
	s_cbranch_execz .LBB97_3
; %bb.2:
	global_load_dword v2, v[10:11], off
	v_bfrev_b32_e32 v3, -2
	v_mov_b32_e32 v4, v3
	v_mov_b32_e32 v5, v3
	;; [unrolled: 1-line block ×4, first 2 shown]
.LBB97_3:
	s_or_b64 exec, exec, s[0:1]
	v_add_u32_e32 v13, 64, v12
	v_cmp_gt_u32_e64 s[0:1], s50, v13
	s_and_saveexec_b64 s[2:3], s[0:1]
	s_cbranch_execz .LBB97_5
; %bb.4:
	global_load_dword v3, v[10:11], off offset:256
.LBB97_5:
	s_or_b64 exec, exec, s[2:3]
	v_add_u32_e32 v13, 0x80, v12
	v_cmp_gt_u32_e64 s[2:3], s50, v13
	s_and_saveexec_b64 s[8:9], s[2:3]
	s_cbranch_execz .LBB97_7
; %bb.6:
	global_load_dword v4, v[10:11], off offset:512
.LBB97_7:
	;; [unrolled: 8-line block ×5, first 2 shown]
	s_or_b64 exec, exec, s[12:13]
	s_load_dword s12, s[4:5], 0x5c
	s_load_dword s7, s[4:5], 0x50
	s_add_u32 s13, s4, 0x50
	s_addc_u32 s14, s5, 0
	v_mov_b32_e32 v10, 0
	s_waitcnt lgkmcnt(0)
	s_lshr_b32 s15, s12, 16
	s_cmp_lt_u32 s6, s7
	s_cselect_b32 s12, 12, 18
	s_add_u32 s12, s13, s12
	s_addc_u32 s13, s14, 0
	global_load_ushort v12, v10, s[12:13]
	s_waitcnt vmcnt(1)
	v_xor_b32_e32 v16, 0x80000000, v2
	v_mul_u32_u24_e32 v13, 5, v8
	s_lshl_b32 s12, -1, s49
	v_lshlrev_b32_e32 v17, 2, v13
	v_lshrrev_b32_e32 v13, s48, v16
	s_not_b32 s33, s12
	v_and_b32_e32 v13, s33, v13
	v_and_b32_e32 v19, 1, v13
	v_bfe_u32 v2, v0, 10, 10
	v_bfe_u32 v11, v0, 20, 10
	v_add_co_u32_e64 v20, s[12:13], -1, v19
	v_mad_u32_u24 v2, v11, s15, v2
	v_lshlrev_b32_e32 v11, 30, v13
	v_addc_co_u32_e64 v21, s[12:13], 0, -1, s[12:13]
	v_cmp_ne_u32_e64 s[12:13], 0, v19
	v_cmp_gt_i64_e64 s[14:15], 0, v[10:11]
	v_not_b32_e32 v19, v11
	v_lshlrev_b32_e32 v11, 29, v13
	v_xor_b32_e32 v21, s13, v21
	v_xor_b32_e32 v20, s12, v20
	v_ashrrev_i32_e32 v19, 31, v19
	v_cmp_gt_i64_e64 s[12:13], 0, v[10:11]
	v_not_b32_e32 v22, v11
	v_lshlrev_b32_e32 v11, 28, v13
	v_and_b32_e32 v21, exec_hi, v21
	v_and_b32_e32 v20, exec_lo, v20
	v_xor_b32_e32 v23, s15, v19
	v_xor_b32_e32 v19, s14, v19
	v_ashrrev_i32_e32 v22, 31, v22
	v_cmp_gt_i64_e64 s[14:15], 0, v[10:11]
	v_not_b32_e32 v24, v11
	v_lshlrev_b32_e32 v11, 27, v13
	v_and_b32_e32 v21, v21, v23
	v_and_b32_e32 v19, v20, v19
	v_xor_b32_e32 v20, s13, v22
	v_xor_b32_e32 v22, s12, v22
	v_ashrrev_i32_e32 v23, 31, v24
	v_cmp_gt_i64_e64 s[12:13], 0, v[10:11]
	v_not_b32_e32 v24, v11
	v_lshlrev_b32_e32 v11, 26, v13
	v_and_b32_e32 v20, v21, v20
	v_and_b32_e32 v19, v19, v22
	;; [unrolled: 8-line block ×3, first 2 shown]
	v_xor_b32_e32 v21, s13, v23
	v_xor_b32_e32 v22, s12, v23
	v_ashrrev_i32_e32 v23, 31, v24
	v_not_b32_e32 v24, v11
	v_lshl_add_u32 v18, v13, 3, v13
	v_cmp_gt_i64_e64 s[12:13], 0, v[10:11]
	v_lshlrev_b32_e32 v11, 24, v13
	v_and_b32_e32 v13, v20, v21
	v_and_b32_e32 v19, v19, v22
	v_xor_b32_e32 v20, s15, v23
	v_ashrrev_i32_e32 v22, 31, v24
	v_xor_b32_e32 v21, s14, v23
	v_cmp_gt_i64_e64 s[14:15], 0, v[10:11]
	v_not_b32_e32 v11, v11
	v_and_b32_e32 v13, v13, v20
	v_xor_b32_e32 v20, s13, v22
	v_and_b32_e32 v19, v19, v21
	v_xor_b32_e32 v21, s12, v22
	v_and_b32_e32 v20, v13, v20
	v_and_b32_e32 v21, v19, v21
	ds_write2_b32 v17, v10, v10 offset0:8 offset1:9
	ds_write2_b32 v17, v10, v10 offset0:10 offset1:11
	ds_write_b32 v17, v10 offset:48
	s_waitcnt lgkmcnt(0)
	s_barrier
	s_waitcnt lgkmcnt(0)
	; wave barrier
	s_waitcnt vmcnt(0)
	v_mad_u64_u32 v[12:13], s[12:13], v2, v12, v[8:9]
	v_ashrrev_i32_e32 v2, 31, v11
	v_xor_b32_e32 v11, s15, v2
	v_xor_b32_e32 v2, s14, v2
	v_lshrrev_b32_e32 v23, 6, v12
	v_and_b32_e32 v12, v21, v2
	v_and_b32_e32 v13, v20, v11
	v_mbcnt_lo_u32_b32 v2, v12, 0
	v_add_lshl_u32 v19, v23, v18, 2
	v_mbcnt_hi_u32_b32 v18, v13, v2
	v_cmp_eq_u32_e64 s[12:13], 0, v18
	v_cmp_ne_u64_e64 s[14:15], 0, v[12:13]
	s_and_b64 s[14:15], s[14:15], s[12:13]
	s_and_saveexec_b64 s[12:13], s[14:15]
	s_cbranch_execz .LBB97_15
; %bb.14:
	v_bcnt_u32_b32 v2, v12, 0
	v_bcnt_u32_b32 v2, v13, v2
	ds_write_b32 v19, v2 offset:32
.LBB97_15:
	s_or_b64 exec, exec, s[12:13]
	v_xor_b32_e32 v12, 0x80000000, v3
	v_lshrrev_b32_e32 v2, s48, v12
	v_and_b32_e32 v2, s33, v2
	v_lshl_add_u32 v3, v2, 3, v2
	v_add_lshl_u32 v20, v23, v3, 2
	v_and_b32_e32 v3, 1, v2
	v_add_co_u32_e64 v11, s[12:13], -1, v3
	v_addc_co_u32_e64 v21, s[12:13], 0, -1, s[12:13]
	v_cmp_ne_u32_e64 s[12:13], 0, v3
	v_xor_b32_e32 v11, s12, v11
	v_xor_b32_e32 v3, s13, v21
	v_and_b32_e32 v21, exec_lo, v11
	v_lshlrev_b32_e32 v11, 30, v2
	v_cmp_gt_i64_e64 s[12:13], 0, v[10:11]
	v_not_b32_e32 v11, v11
	v_ashrrev_i32_e32 v11, 31, v11
	v_xor_b32_e32 v22, s13, v11
	v_xor_b32_e32 v11, s12, v11
	v_and_b32_e32 v21, v21, v11
	v_lshlrev_b32_e32 v11, 29, v2
	v_cmp_gt_i64_e64 s[12:13], 0, v[10:11]
	v_not_b32_e32 v11, v11
	v_and_b32_e32 v3, exec_hi, v3
	v_ashrrev_i32_e32 v11, 31, v11
	v_and_b32_e32 v3, v3, v22
	v_xor_b32_e32 v22, s13, v11
	v_xor_b32_e32 v11, s12, v11
	v_and_b32_e32 v21, v21, v11
	v_lshlrev_b32_e32 v11, 28, v2
	v_cmp_gt_i64_e64 s[12:13], 0, v[10:11]
	v_not_b32_e32 v11, v11
	v_ashrrev_i32_e32 v11, 31, v11
	v_and_b32_e32 v3, v3, v22
	v_xor_b32_e32 v22, s13, v11
	v_xor_b32_e32 v11, s12, v11
	v_and_b32_e32 v21, v21, v11
	v_lshlrev_b32_e32 v11, 27, v2
	v_cmp_gt_i64_e64 s[12:13], 0, v[10:11]
	v_not_b32_e32 v11, v11
	;; [unrolled: 8-line block ×4, first 2 shown]
	v_ashrrev_i32_e32 v11, 31, v11
	v_and_b32_e32 v3, v3, v22
	v_xor_b32_e32 v22, s13, v11
	v_xor_b32_e32 v11, s12, v11
	v_and_b32_e32 v21, v21, v11
	v_lshlrev_b32_e32 v11, 24, v2
	v_not_b32_e32 v2, v11
	v_cmp_gt_i64_e64 s[12:13], 0, v[10:11]
	v_ashrrev_i32_e32 v2, 31, v2
	v_xor_b32_e32 v10, s13, v2
	v_xor_b32_e32 v2, s12, v2
	; wave barrier
	ds_read_b32 v13, v20 offset:32
	v_and_b32_e32 v3, v3, v22
	v_and_b32_e32 v2, v21, v2
	;; [unrolled: 1-line block ×3, first 2 shown]
	v_mbcnt_lo_u32_b32 v10, v2, 0
	v_mbcnt_hi_u32_b32 v21, v3, v10
	v_cmp_eq_u32_e64 s[12:13], 0, v21
	v_cmp_ne_u64_e64 s[14:15], 0, v[2:3]
	s_and_b64 s[14:15], s[14:15], s[12:13]
	; wave barrier
	s_and_saveexec_b64 s[12:13], s[14:15]
	s_cbranch_execz .LBB97_17
; %bb.16:
	v_bcnt_u32_b32 v2, v2, 0
	v_bcnt_u32_b32 v2, v3, v2
	s_waitcnt lgkmcnt(0)
	v_add_u32_e32 v2, v13, v2
	ds_write_b32 v20, v2 offset:32
.LBB97_17:
	s_or_b64 exec, exec, s[12:13]
	v_xor_b32_e32 v22, 0x80000000, v4
	v_lshrrev_b32_e32 v2, s48, v22
	v_and_b32_e32 v4, s33, v2
	v_and_b32_e32 v3, 1, v4
	v_add_co_u32_e64 v10, s[12:13], -1, v3
	v_addc_co_u32_e64 v11, s[12:13], 0, -1, s[12:13]
	v_cmp_ne_u32_e64 s[12:13], 0, v3
	v_lshl_add_u32 v2, v4, 3, v4
	v_xor_b32_e32 v3, s13, v11
	v_add_lshl_u32 v25, v23, v2, 2
	v_mov_b32_e32 v2, 0
	v_and_b32_e32 v11, exec_hi, v3
	v_lshlrev_b32_e32 v3, 30, v4
	v_xor_b32_e32 v10, s12, v10
	v_cmp_gt_i64_e64 s[12:13], 0, v[2:3]
	v_not_b32_e32 v3, v3
	v_ashrrev_i32_e32 v3, 31, v3
	v_and_b32_e32 v10, exec_lo, v10
	v_xor_b32_e32 v26, s13, v3
	v_xor_b32_e32 v3, s12, v3
	v_and_b32_e32 v10, v10, v3
	v_lshlrev_b32_e32 v3, 29, v4
	v_cmp_gt_i64_e64 s[12:13], 0, v[2:3]
	v_not_b32_e32 v3, v3
	v_ashrrev_i32_e32 v3, 31, v3
	v_and_b32_e32 v11, v11, v26
	v_xor_b32_e32 v26, s13, v3
	v_xor_b32_e32 v3, s12, v3
	v_and_b32_e32 v10, v10, v3
	v_lshlrev_b32_e32 v3, 28, v4
	v_cmp_gt_i64_e64 s[12:13], 0, v[2:3]
	v_not_b32_e32 v3, v3
	v_ashrrev_i32_e32 v3, 31, v3
	v_and_b32_e32 v11, v11, v26
	;; [unrolled: 8-line block ×5, first 2 shown]
	v_xor_b32_e32 v26, s13, v3
	v_xor_b32_e32 v3, s12, v3
	v_and_b32_e32 v10, v10, v3
	v_lshlrev_b32_e32 v3, 24, v4
	v_cmp_gt_i64_e64 s[12:13], 0, v[2:3]
	v_not_b32_e32 v3, v3
	v_ashrrev_i32_e32 v3, 31, v3
	v_xor_b32_e32 v4, s13, v3
	v_xor_b32_e32 v3, s12, v3
	; wave barrier
	ds_read_b32 v24, v25 offset:32
	v_and_b32_e32 v11, v11, v26
	v_and_b32_e32 v10, v10, v3
	;; [unrolled: 1-line block ×3, first 2 shown]
	v_mbcnt_lo_u32_b32 v3, v10, 0
	v_mbcnt_hi_u32_b32 v26, v11, v3
	v_cmp_eq_u32_e64 s[12:13], 0, v26
	v_cmp_ne_u64_e64 s[14:15], 0, v[10:11]
	s_and_b64 s[14:15], s[14:15], s[12:13]
	; wave barrier
	s_and_saveexec_b64 s[12:13], s[14:15]
	s_cbranch_execz .LBB97_19
; %bb.18:
	v_bcnt_u32_b32 v3, v10, 0
	v_bcnt_u32_b32 v3, v11, v3
	s_waitcnt lgkmcnt(0)
	v_add_u32_e32 v3, v24, v3
	ds_write_b32 v25, v3 offset:32
.LBB97_19:
	s_or_b64 exec, exec, s[12:13]
	v_xor_b32_e32 v10, 0x80000000, v5
	v_lshrrev_b32_e32 v3, s48, v10
	v_and_b32_e32 v4, s33, v3
	v_lshl_add_u32 v3, v4, 3, v4
	v_add_lshl_u32 v27, v23, v3, 2
	v_and_b32_e32 v3, 1, v4
	v_add_co_u32_e64 v5, s[12:13], -1, v3
	v_addc_co_u32_e64 v28, s[12:13], 0, -1, s[12:13]
	v_cmp_ne_u32_e64 s[12:13], 0, v3
	v_xor_b32_e32 v3, s13, v28
	v_and_b32_e32 v28, exec_hi, v3
	v_lshlrev_b32_e32 v3, 30, v4
	v_xor_b32_e32 v5, s12, v5
	v_cmp_gt_i64_e64 s[12:13], 0, v[2:3]
	v_not_b32_e32 v3, v3
	v_ashrrev_i32_e32 v3, 31, v3
	v_and_b32_e32 v5, exec_lo, v5
	v_xor_b32_e32 v29, s13, v3
	v_xor_b32_e32 v3, s12, v3
	v_and_b32_e32 v5, v5, v3
	v_lshlrev_b32_e32 v3, 29, v4
	v_cmp_gt_i64_e64 s[12:13], 0, v[2:3]
	v_not_b32_e32 v3, v3
	v_ashrrev_i32_e32 v3, 31, v3
	v_and_b32_e32 v28, v28, v29
	v_xor_b32_e32 v29, s13, v3
	v_xor_b32_e32 v3, s12, v3
	v_and_b32_e32 v5, v5, v3
	v_lshlrev_b32_e32 v3, 28, v4
	v_cmp_gt_i64_e64 s[12:13], 0, v[2:3]
	v_not_b32_e32 v3, v3
	v_ashrrev_i32_e32 v3, 31, v3
	v_and_b32_e32 v28, v28, v29
	;; [unrolled: 8-line block ×5, first 2 shown]
	v_xor_b32_e32 v29, s13, v3
	v_xor_b32_e32 v3, s12, v3
	v_and_b32_e32 v5, v5, v3
	v_lshlrev_b32_e32 v3, 24, v4
	v_cmp_gt_i64_e64 s[12:13], 0, v[2:3]
	v_not_b32_e32 v2, v3
	v_ashrrev_i32_e32 v2, 31, v2
	v_xor_b32_e32 v3, s13, v2
	v_xor_b32_e32 v2, s12, v2
	; wave barrier
	ds_read_b32 v11, v27 offset:32
	v_and_b32_e32 v28, v28, v29
	v_and_b32_e32 v2, v5, v2
	;; [unrolled: 1-line block ×3, first 2 shown]
	v_mbcnt_lo_u32_b32 v4, v2, 0
	v_mbcnt_hi_u32_b32 v29, v3, v4
	v_cmp_eq_u32_e64 s[12:13], 0, v29
	v_cmp_ne_u64_e64 s[14:15], 0, v[2:3]
	s_and_b64 s[14:15], s[14:15], s[12:13]
	; wave barrier
	s_and_saveexec_b64 s[12:13], s[14:15]
	s_cbranch_execz .LBB97_21
; %bb.20:
	v_bcnt_u32_b32 v2, v2, 0
	v_bcnt_u32_b32 v2, v3, v2
	s_waitcnt lgkmcnt(0)
	v_add_u32_e32 v2, v11, v2
	ds_write_b32 v27, v2 offset:32
.LBB97_21:
	s_or_b64 exec, exec, s[12:13]
	v_xor_b32_e32 v6, 0x80000000, v6
	v_lshrrev_b32_e32 v2, s48, v6
	v_and_b32_e32 v4, s33, v2
	v_and_b32_e32 v3, 1, v4
	v_add_co_u32_e64 v5, s[12:13], -1, v3
	v_addc_co_u32_e64 v31, s[12:13], 0, -1, s[12:13]
	v_cmp_ne_u32_e64 s[12:13], 0, v3
	v_lshl_add_u32 v2, v4, 3, v4
	v_xor_b32_e32 v3, s13, v31
	v_add_lshl_u32 v28, v23, v2, 2
	v_mov_b32_e32 v2, 0
	v_and_b32_e32 v31, exec_hi, v3
	v_lshlrev_b32_e32 v3, 30, v4
	v_xor_b32_e32 v5, s12, v5
	v_cmp_gt_i64_e64 s[12:13], 0, v[2:3]
	v_not_b32_e32 v3, v3
	v_ashrrev_i32_e32 v3, 31, v3
	v_and_b32_e32 v5, exec_lo, v5
	v_xor_b32_e32 v32, s13, v3
	v_xor_b32_e32 v3, s12, v3
	v_and_b32_e32 v5, v5, v3
	v_lshlrev_b32_e32 v3, 29, v4
	v_cmp_gt_i64_e64 s[12:13], 0, v[2:3]
	v_not_b32_e32 v3, v3
	v_ashrrev_i32_e32 v3, 31, v3
	v_and_b32_e32 v31, v31, v32
	v_xor_b32_e32 v32, s13, v3
	v_xor_b32_e32 v3, s12, v3
	v_and_b32_e32 v5, v5, v3
	v_lshlrev_b32_e32 v3, 28, v4
	v_cmp_gt_i64_e64 s[12:13], 0, v[2:3]
	v_not_b32_e32 v3, v3
	v_ashrrev_i32_e32 v3, 31, v3
	v_and_b32_e32 v31, v31, v32
	;; [unrolled: 8-line block ×5, first 2 shown]
	v_xor_b32_e32 v32, s13, v3
	v_xor_b32_e32 v3, s12, v3
	v_and_b32_e32 v31, v31, v32
	v_and_b32_e32 v32, v5, v3
	v_lshlrev_b32_e32 v3, 24, v4
	v_cmp_gt_i64_e64 s[12:13], 0, v[2:3]
	v_not_b32_e32 v3, v3
	v_ashrrev_i32_e32 v3, 31, v3
	v_xor_b32_e32 v4, s13, v3
	v_xor_b32_e32 v3, s12, v3
	; wave barrier
	ds_read_b32 v30, v28 offset:32
	v_and_b32_e32 v5, v31, v4
	v_and_b32_e32 v4, v32, v3
	v_mbcnt_lo_u32_b32 v3, v4, 0
	v_mbcnt_hi_u32_b32 v31, v5, v3
	v_cmp_eq_u32_e64 s[12:13], 0, v31
	v_cmp_ne_u64_e64 s[14:15], 0, v[4:5]
	s_and_b64 s[14:15], s[14:15], s[12:13]
	; wave barrier
	s_and_saveexec_b64 s[12:13], s[14:15]
	s_cbranch_execz .LBB97_23
; %bb.22:
	v_bcnt_u32_b32 v3, v4, 0
	v_bcnt_u32_b32 v3, v5, v3
	s_waitcnt lgkmcnt(0)
	v_add_u32_e32 v3, v30, v3
	ds_write_b32 v28, v3 offset:32
.LBB97_23:
	s_or_b64 exec, exec, s[12:13]
	v_xor_b32_e32 v7, 0x80000000, v7
	v_lshrrev_b32_e32 v3, s48, v7
	v_and_b32_e32 v4, s33, v3
	v_lshl_add_u32 v3, v4, 3, v4
	v_add_lshl_u32 v33, v23, v3, 2
	v_and_b32_e32 v3, 1, v4
	v_add_co_u32_e64 v5, s[12:13], -1, v3
	v_addc_co_u32_e64 v23, s[12:13], 0, -1, s[12:13]
	v_cmp_ne_u32_e64 s[12:13], 0, v3
	v_xor_b32_e32 v3, s13, v23
	v_and_b32_e32 v23, exec_hi, v3
	v_lshlrev_b32_e32 v3, 30, v4
	v_xor_b32_e32 v5, s12, v5
	v_cmp_gt_i64_e64 s[12:13], 0, v[2:3]
	v_not_b32_e32 v3, v3
	v_ashrrev_i32_e32 v3, 31, v3
	v_and_b32_e32 v5, exec_lo, v5
	v_xor_b32_e32 v35, s13, v3
	v_xor_b32_e32 v3, s12, v3
	v_and_b32_e32 v5, v5, v3
	v_lshlrev_b32_e32 v3, 29, v4
	v_cmp_gt_i64_e64 s[12:13], 0, v[2:3]
	v_not_b32_e32 v3, v3
	v_ashrrev_i32_e32 v3, 31, v3
	v_and_b32_e32 v23, v23, v35
	v_xor_b32_e32 v35, s13, v3
	v_xor_b32_e32 v3, s12, v3
	v_and_b32_e32 v5, v5, v3
	v_lshlrev_b32_e32 v3, 28, v4
	v_cmp_gt_i64_e64 s[12:13], 0, v[2:3]
	v_not_b32_e32 v3, v3
	v_ashrrev_i32_e32 v3, 31, v3
	v_and_b32_e32 v23, v23, v35
	;; [unrolled: 8-line block ×5, first 2 shown]
	v_xor_b32_e32 v35, s13, v3
	v_xor_b32_e32 v3, s12, v3
	v_and_b32_e32 v5, v5, v3
	v_lshlrev_b32_e32 v3, 24, v4
	v_cmp_gt_i64_e64 s[12:13], 0, v[2:3]
	v_not_b32_e32 v2, v3
	v_ashrrev_i32_e32 v2, 31, v2
	v_xor_b32_e32 v3, s13, v2
	v_xor_b32_e32 v2, s12, v2
	; wave barrier
	ds_read_b32 v32, v33 offset:32
	v_and_b32_e32 v23, v23, v35
	v_and_b32_e32 v2, v5, v2
	;; [unrolled: 1-line block ×3, first 2 shown]
	v_mbcnt_lo_u32_b32 v4, v2, 0
	v_mbcnt_hi_u32_b32 v35, v3, v4
	v_cmp_eq_u32_e64 s[12:13], 0, v35
	v_cmp_ne_u64_e64 s[14:15], 0, v[2:3]
	v_add_u32_e32 v34, 32, v17
	s_and_b64 s[14:15], s[14:15], s[12:13]
	; wave barrier
	s_and_saveexec_b64 s[12:13], s[14:15]
	s_cbranch_execz .LBB97_25
; %bb.24:
	v_bcnt_u32_b32 v2, v2, 0
	v_bcnt_u32_b32 v2, v3, v2
	s_waitcnt lgkmcnt(0)
	v_add_u32_e32 v2, v32, v2
	ds_write_b32 v33, v2 offset:32
.LBB97_25:
	s_or_b64 exec, exec, s[12:13]
	; wave barrier
	s_waitcnt lgkmcnt(0)
	s_barrier
	ds_read2_b32 v[4:5], v17 offset0:8 offset1:9
	ds_read2_b32 v[2:3], v34 offset0:2 offset1:3
	ds_read_b32 v23, v34 offset:16
	v_min_u32_e32 v15, 0x1c0, v15
	v_or_b32_e32 v15, 63, v15
	s_waitcnt lgkmcnt(1)
	v_add3_u32 v36, v5, v4, v2
	s_waitcnt lgkmcnt(0)
	v_add3_u32 v23, v36, v3, v23
	v_and_b32_e32 v36, 15, v14
	v_cmp_ne_u32_e64 s[12:13], 0, v36
	v_mov_b32_dpp v37, v23 row_shr:1 row_mask:0xf bank_mask:0xf
	v_cndmask_b32_e64 v37, 0, v37, s[12:13]
	v_add_u32_e32 v23, v37, v23
	v_cmp_lt_u32_e64 s[12:13], 1, v36
	s_nop 0
	v_mov_b32_dpp v37, v23 row_shr:2 row_mask:0xf bank_mask:0xf
	v_cndmask_b32_e64 v37, 0, v37, s[12:13]
	v_add_u32_e32 v23, v23, v37
	v_cmp_lt_u32_e64 s[12:13], 3, v36
	s_nop 0
	;; [unrolled: 5-line block ×3, first 2 shown]
	v_mov_b32_dpp v37, v23 row_shr:8 row_mask:0xf bank_mask:0xf
	v_cndmask_b32_e64 v36, 0, v37, s[12:13]
	v_add_u32_e32 v23, v23, v36
	v_bfe_i32 v37, v14, 4, 1
	v_cmp_lt_u32_e64 s[12:13], 31, v14
	v_mov_b32_dpp v36, v23 row_bcast:15 row_mask:0xf bank_mask:0xf
	v_and_b32_e32 v36, v37, v36
	v_add_u32_e32 v23, v23, v36
	v_lshrrev_b32_e32 v37, 6, v8
	s_nop 0
	v_mov_b32_dpp v36, v23 row_bcast:31 row_mask:0xf bank_mask:0xf
	v_cndmask_b32_e64 v36, 0, v36, s[12:13]
	v_add_u32_e32 v36, v23, v36
	v_cmp_eq_u32_e64 s[12:13], v15, v8
	s_and_saveexec_b64 s[14:15], s[12:13]
	s_cbranch_execz .LBB97_27
; %bb.26:
	v_lshlrev_b32_e32 v15, 2, v37
	ds_write_b32 v15, v36
.LBB97_27:
	s_or_b64 exec, exec, s[14:15]
	v_cmp_gt_u32_e64 s[12:13], 8, v8
	v_lshlrev_b32_e32 v23, 2, v8
	s_waitcnt lgkmcnt(0)
	s_barrier
	s_and_saveexec_b64 s[14:15], s[12:13]
	s_cbranch_execz .LBB97_29
; %bb.28:
	ds_read_b32 v15, v23
	v_and_b32_e32 v38, 7, v14
	v_cmp_ne_u32_e64 s[12:13], 0, v38
	s_waitcnt lgkmcnt(0)
	v_mov_b32_dpp v39, v15 row_shr:1 row_mask:0xf bank_mask:0xf
	v_cndmask_b32_e64 v39, 0, v39, s[12:13]
	v_add_u32_e32 v15, v39, v15
	v_cmp_lt_u32_e64 s[12:13], 1, v38
	s_nop 0
	v_mov_b32_dpp v39, v15 row_shr:2 row_mask:0xf bank_mask:0xf
	v_cndmask_b32_e64 v39, 0, v39, s[12:13]
	v_add_u32_e32 v15, v15, v39
	v_cmp_lt_u32_e64 s[12:13], 3, v38
	s_nop 0
	v_mov_b32_dpp v39, v15 row_shr:4 row_mask:0xf bank_mask:0xf
	v_cndmask_b32_e64 v38, 0, v39, s[12:13]
	v_add_u32_e32 v15, v15, v38
	ds_write_b32 v23, v15
.LBB97_29:
	s_or_b64 exec, exec, s[14:15]
	v_cmp_lt_u32_e64 s[12:13], 63, v8
	v_mov_b32_e32 v15, 0
	s_waitcnt lgkmcnt(0)
	s_barrier
	s_and_saveexec_b64 s[14:15], s[12:13]
	s_cbranch_execz .LBB97_31
; %bb.30:
	v_lshl_add_u32 v15, v37, 2, -4
	ds_read_b32 v15, v15
.LBB97_31:
	s_or_b64 exec, exec, s[14:15]
	v_add_u32_e32 v37, -1, v14
	v_and_b32_e32 v38, 64, v14
	v_cmp_lt_i32_e64 s[12:13], v37, v38
	v_cndmask_b32_e64 v37, v37, v14, s[12:13]
	s_waitcnt lgkmcnt(0)
	v_add_u32_e32 v36, v15, v36
	v_lshlrev_b32_e32 v37, 2, v37
	ds_bpermute_b32 v36, v37, v36
	v_cmp_eq_u32_e64 s[12:13], 0, v14
	s_waitcnt lgkmcnt(0)
	v_cndmask_b32_e64 v15, v36, v15, s[12:13]
	v_cmp_ne_u32_e64 s[12:13], 0, v8
	v_cndmask_b32_e64 v15, 0, v15, s[12:13]
	v_add_u32_e32 v4, v15, v4
	v_add_u32_e32 v5, v4, v5
	;; [unrolled: 1-line block ×4, first 2 shown]
	ds_write2_b32 v17, v15, v4 offset0:8 offset1:9
	ds_write2_b32 v34, v5, v2 offset0:2 offset1:3
	ds_write_b32 v34, v3 offset:16
	s_waitcnt lgkmcnt(0)
	s_barrier
	ds_read_b32 v4, v19 offset:32
	ds_read_b32 v5, v20 offset:32
	;; [unrolled: 1-line block ×6, first 2 shown]
	s_movk_i32 s12, 0x100
	v_cmp_gt_u32_e64 s[12:13], s12, v8
	v_pk_mov_b32 v[2:3], 0, 0
                                        ; implicit-def: $vgpr20
	s_and_saveexec_b64 s[16:17], s[12:13]
	s_cbranch_execz .LBB97_35
; %bb.32:
	v_mul_u32_u24_e32 v2, 9, v8
	v_lshlrev_b32_e32 v20, 2, v2
	ds_read_b32 v2, v20 offset:32
	s_movk_i32 s14, 0xff
	v_cmp_ne_u32_e64 s[14:15], s14, v8
	v_mov_b32_e32 v3, 0xc00
	s_and_saveexec_b64 s[18:19], s[14:15]
	s_cbranch_execz .LBB97_34
; %bb.33:
	ds_read_b32 v3, v20 offset:68
.LBB97_34:
	s_or_b64 exec, exec, s[18:19]
	s_waitcnt lgkmcnt(0)
	v_sub_u32_e32 v20, v3, v2
	v_mov_b32_e32 v3, 0
.LBB97_35:
	s_or_b64 exec, exec, s[16:17]
	s_waitcnt lgkmcnt(5)
	v_add_u32_e32 v28, v4, v18
	s_waitcnt lgkmcnt(4)
	v_add3_u32 v27, v21, v13, v5
	v_lshlrev_b32_e32 v4, 2, v28
	s_waitcnt lgkmcnt(3)
	v_add3_u32 v26, v26, v24, v15
	s_waitcnt lgkmcnt(0)
	s_barrier
	ds_write_b32 v4, v16 offset:2048
	v_lshlrev_b32_e32 v4, 2, v27
	v_add3_u32 v25, v29, v11, v17
	ds_write_b32 v4, v12 offset:2048
	v_lshlrev_b32_e32 v4, 2, v26
	v_add3_u32 v24, v31, v30, v19
	;; [unrolled: 3-line block ×3, first 2 shown]
	ds_write_b32 v4, v10 offset:2048
	v_lshlrev_b32_e32 v4, 2, v24
	ds_write_b32 v4, v6 offset:2048
	v_lshlrev_b32_e32 v4, 2, v21
	ds_write_b32 v4, v7 offset:2048
	s_waitcnt lgkmcnt(0)
	s_barrier
	s_and_saveexec_b64 s[16:17], s[12:13]
	s_cbranch_execz .LBB97_45
; %bb.36:
	v_lshl_or_b32 v4, s6, 8, v8
	v_mov_b32_e32 v5, 0
	v_lshlrev_b64 v[6:7], 2, v[4:5]
	v_mov_b32_e32 v12, s35
	v_add_co_u32_e64 v6, s[14:15], s34, v6
	v_addc_co_u32_e64 v7, s[14:15], v12, v7, s[14:15]
	v_or_b32_e32 v4, 2.0, v20
	s_mov_b64 s[18:19], 0
	s_brev_b32 s24, 1
	s_mov_b32 s25, s6
	v_mov_b32_e32 v13, 0
	global_store_dword v[6:7], v4, off
                                        ; implicit-def: $sgpr14_sgpr15
	s_branch .LBB97_38
.LBB97_37:                              ;   in Loop: Header=BB97_38 Depth=1
	s_or_b64 exec, exec, s[20:21]
	v_and_b32_e32 v10, 0x3fffffff, v15
	v_add_u32_e32 v13, v10, v13
	v_cmp_eq_u32_e64 s[14:15], s24, v4
	s_and_b64 s[20:21], exec, s[14:15]
	s_or_b64 s[18:19], s[20:21], s[18:19]
	s_andn2_b64 exec, exec, s[18:19]
	s_cbranch_execz .LBB97_44
.LBB97_38:                              ; =>This Loop Header: Depth=1
                                        ;     Child Loop BB97_41 Depth 2
	s_or_b64 s[14:15], s[14:15], exec
	s_cmp_eq_u32 s25, 0
	s_cbranch_scc1 .LBB97_43
; %bb.39:                               ;   in Loop: Header=BB97_38 Depth=1
	s_add_i32 s25, s25, -1
	v_lshl_or_b32 v4, s25, 8, v8
	v_lshlrev_b64 v[10:11], 2, v[4:5]
	v_add_co_u32_e64 v10, s[14:15], s34, v10
	v_addc_co_u32_e64 v11, s[14:15], v12, v11, s[14:15]
	global_load_dword v15, v[10:11], off glc
	s_waitcnt vmcnt(0)
	v_and_b32_e32 v4, -2.0, v15
	v_cmp_eq_u32_e64 s[14:15], 0, v4
	s_and_saveexec_b64 s[20:21], s[14:15]
	s_cbranch_execz .LBB97_37
; %bb.40:                               ;   in Loop: Header=BB97_38 Depth=1
	s_mov_b64 s[22:23], 0
.LBB97_41:                              ;   Parent Loop BB97_38 Depth=1
                                        ; =>  This Inner Loop Header: Depth=2
	global_load_dword v15, v[10:11], off glc
	s_waitcnt vmcnt(0)
	v_and_b32_e32 v4, -2.0, v15
	v_cmp_ne_u32_e64 s[14:15], 0, v4
	s_or_b64 s[22:23], s[14:15], s[22:23]
	s_andn2_b64 exec, exec, s[22:23]
	s_cbranch_execnz .LBB97_41
; %bb.42:                               ;   in Loop: Header=BB97_38 Depth=1
	s_or_b64 exec, exec, s[22:23]
	s_branch .LBB97_37
.LBB97_43:                              ;   in Loop: Header=BB97_38 Depth=1
                                        ; implicit-def: $sgpr25
	s_and_b64 s[20:21], exec, s[14:15]
	s_or_b64 s[18:19], s[20:21], s[18:19]
	s_andn2_b64 exec, exec, s[18:19]
	s_cbranch_execnz .LBB97_38
.LBB97_44:
	s_or_b64 exec, exec, s[18:19]
	v_add_u32_e32 v4, v13, v20
	v_or_b32_e32 v4, 0x80000000, v4
	global_store_dword v[6:7], v4, off
	v_lshlrev_b32_e32 v6, 3, v8
	global_load_dwordx2 v[4:5], v6, s[44:45]
	v_sub_co_u32_e64 v7, s[14:15], v13, v2
	v_subb_co_u32_e64 v10, s[14:15], 0, v3, s[14:15]
	s_waitcnt vmcnt(0)
	v_add_co_u32_e64 v4, s[14:15], v7, v4
	v_addc_co_u32_e64 v5, s[14:15], v10, v5, s[14:15]
	ds_write_b64 v6, v[4:5]
.LBB97_45:
	s_or_b64 exec, exec, s[16:17]
	v_cmp_gt_u32_e64 s[14:15], s50, v8
	s_waitcnt lgkmcnt(0)
	s_barrier
	s_and_saveexec_b64 s[18:19], s[14:15]
	s_cbranch_execz .LBB97_47
; %bb.46:
	ds_read_b32 v6, v23 offset:2048
	v_mov_b32_e32 v7, s39
	s_waitcnt lgkmcnt(0)
	v_lshrrev_b32_e32 v4, s48, v6
	v_and_b32_e32 v4, s33, v4
	v_lshlrev_b32_e32 v4, 3, v4
	ds_read_b64 v[4:5], v4
	v_xor_b32_e32 v6, 0x80000000, v6
	s_waitcnt lgkmcnt(0)
	v_lshlrev_b64 v[4:5], 2, v[4:5]
	v_add_co_u32_e64 v4, s[16:17], s38, v4
	v_addc_co_u32_e64 v5, s[16:17], v7, v5, s[16:17]
	v_add_co_u32_e64 v4, s[16:17], v4, v23
	v_addc_co_u32_e64 v5, s[16:17], 0, v5, s[16:17]
	global_store_dword v[4:5], v6, off
.LBB97_47:
	s_or_b64 exec, exec, s[18:19]
	v_add_u32_e32 v22, 0x200, v8
	v_cmp_gt_u32_e64 s[16:17], s50, v22
	s_and_saveexec_b64 s[20:21], s[16:17]
	s_cbranch_execz .LBB97_49
; %bb.48:
	ds_read_b32 v6, v23 offset:4096
	v_mov_b32_e32 v7, s39
	s_waitcnt lgkmcnt(0)
	v_lshrrev_b32_e32 v4, s48, v6
	v_and_b32_e32 v4, s33, v4
	v_lshlrev_b32_e32 v4, 3, v4
	ds_read_b64 v[4:5], v4
	v_xor_b32_e32 v6, 0x80000000, v6
	s_waitcnt lgkmcnt(0)
	v_lshlrev_b64 v[4:5], 2, v[4:5]
	v_add_co_u32_e64 v4, s[18:19], s38, v4
	v_addc_co_u32_e64 v5, s[18:19], v7, v5, s[18:19]
	v_add_co_u32_e64 v4, s[18:19], v4, v23
	v_addc_co_u32_e64 v5, s[18:19], 0, v5, s[18:19]
	global_store_dword v[4:5], v6, off offset:2048
.LBB97_49:
	s_or_b64 exec, exec, s[20:21]
	v_or_b32_e32 v29, 0x400, v8
	v_cmp_gt_u32_e64 s[18:19], s50, v29
	s_and_saveexec_b64 s[22:23], s[18:19]
	s_cbranch_execz .LBB97_51
; %bb.50:
	ds_read_b32 v6, v23 offset:6144
	v_mov_b32_e32 v7, s39
	v_lshlrev_b32_e32 v10, 2, v29
	s_waitcnt lgkmcnt(0)
	v_lshrrev_b32_e32 v4, s48, v6
	v_and_b32_e32 v4, s33, v4
	v_lshlrev_b32_e32 v4, 3, v4
	ds_read_b64 v[4:5], v4
	v_xor_b32_e32 v6, 0x80000000, v6
	s_waitcnt lgkmcnt(0)
	v_lshlrev_b64 v[4:5], 2, v[4:5]
	v_add_co_u32_e64 v4, s[20:21], s38, v4
	v_addc_co_u32_e64 v5, s[20:21], v7, v5, s[20:21]
	v_add_co_u32_e64 v4, s[20:21], v4, v10
	v_addc_co_u32_e64 v5, s[20:21], 0, v5, s[20:21]
	global_store_dword v[4:5], v6, off
.LBB97_51:
	s_or_b64 exec, exec, s[22:23]
	v_add_u32_e32 v30, 0x600, v8
	v_cmp_gt_u32_e64 s[20:21], s50, v30
	s_and_saveexec_b64 s[24:25], s[20:21]
	s_cbranch_execz .LBB97_53
; %bb.52:
	ds_read_b32 v6, v23 offset:8192
	v_mov_b32_e32 v7, s39
	v_lshlrev_b32_e32 v10, 2, v30
	s_waitcnt lgkmcnt(0)
	v_lshrrev_b32_e32 v4, s48, v6
	v_and_b32_e32 v4, s33, v4
	v_lshlrev_b32_e32 v4, 3, v4
	ds_read_b64 v[4:5], v4
	v_xor_b32_e32 v6, 0x80000000, v6
	s_waitcnt lgkmcnt(0)
	v_lshlrev_b64 v[4:5], 2, v[4:5]
	v_add_co_u32_e64 v4, s[22:23], s38, v4
	v_addc_co_u32_e64 v5, s[22:23], v7, v5, s[22:23]
	v_add_co_u32_e64 v4, s[22:23], v4, v10
	v_addc_co_u32_e64 v5, s[22:23], 0, v5, s[22:23]
	global_store_dword v[4:5], v6, off
.LBB97_53:
	s_or_b64 exec, exec, s[24:25]
	v_or_b32_e32 v31, 0x800, v8
	v_cmp_gt_u32_e64 s[22:23], s50, v31
	s_and_saveexec_b64 s[28:29], s[22:23]
	s_cbranch_execz .LBB97_55
; %bb.54:
	ds_read_b32 v6, v23 offset:10240
	v_mov_b32_e32 v7, s39
	v_lshlrev_b32_e32 v10, 2, v31
	s_waitcnt lgkmcnt(0)
	v_lshrrev_b32_e32 v4, s48, v6
	v_and_b32_e32 v4, s33, v4
	v_lshlrev_b32_e32 v4, 3, v4
	ds_read_b64 v[4:5], v4
	v_xor_b32_e32 v6, 0x80000000, v6
	s_waitcnt lgkmcnt(0)
	v_lshlrev_b64 v[4:5], 2, v[4:5]
	v_add_co_u32_e64 v4, s[24:25], s38, v4
	v_addc_co_u32_e64 v5, s[24:25], v7, v5, s[24:25]
	v_add_co_u32_e64 v4, s[24:25], v4, v10
	v_addc_co_u32_e64 v5, s[24:25], 0, v5, s[24:25]
	global_store_dword v[4:5], v6, off
.LBB97_55:
	s_or_b64 exec, exec, s[28:29]
	v_add_u32_e32 v32, 0xa00, v8
	v_cmp_gt_u32_e64 s[24:25], s50, v32
	s_and_saveexec_b64 s[50:51], s[24:25]
	s_cbranch_execz .LBB97_57
; %bb.56:
	ds_read_b32 v6, v23 offset:12288
	v_mov_b32_e32 v7, s39
	v_lshlrev_b32_e32 v10, 2, v32
	s_waitcnt lgkmcnt(0)
	v_lshrrev_b32_e32 v4, s48, v6
	v_and_b32_e32 v4, s33, v4
	v_lshlrev_b32_e32 v4, 3, v4
	ds_read_b64 v[4:5], v4
	v_xor_b32_e32 v6, 0x80000000, v6
	s_waitcnt lgkmcnt(0)
	v_lshlrev_b64 v[4:5], 2, v[4:5]
	v_add_co_u32_e64 v4, s[28:29], s38, v4
	v_addc_co_u32_e64 v5, s[28:29], v7, v5, s[28:29]
	v_add_co_u32_e64 v4, s[28:29], v4, v10
	v_addc_co_u32_e64 v5, s[28:29], 0, v5, s[28:29]
	global_store_dword v[4:5], v6, off
.LBB97_57:
	s_or_b64 exec, exec, s[50:51]
	s_lshl_b64 s[28:29], s[30:31], 3
	s_add_u32 s28, s40, s28
	s_addc_u32 s29, s41, s29
	v_lshlrev_b32_e32 v4, 3, v14
	v_mov_b32_e32 v5, s29
	v_add_co_u32_e64 v4, s[28:29], s28, v4
	v_addc_co_u32_e64 v5, s[28:29], 0, v5, s[28:29]
	v_lshlrev_b32_e32 v6, 3, v9
	v_add_co_u32_e64 v18, s[28:29], v4, v6
	v_addc_co_u32_e64 v19, s[28:29], 0, v5, s[28:29]
                                        ; implicit-def: $vgpr4_vgpr5
	s_and_saveexec_b64 s[28:29], vcc
	s_xor_b64 s[28:29], exec, s[28:29]
	s_cbranch_execnz .LBB97_127
; %bb.58:
	s_or_b64 exec, exec, s[28:29]
                                        ; implicit-def: $vgpr6_vgpr7
	s_and_saveexec_b64 s[28:29], s[0:1]
	s_cbranch_execnz .LBB97_128
.LBB97_59:
	s_or_b64 exec, exec, s[28:29]
                                        ; implicit-def: $vgpr10_vgpr11
	s_and_saveexec_b64 s[0:1], s[2:3]
	s_cbranch_execnz .LBB97_129
.LBB97_60:
	s_or_b64 exec, exec, s[0:1]
                                        ; implicit-def: $vgpr12_vgpr13
	s_and_saveexec_b64 s[0:1], s[26:27]
	s_cbranch_execnz .LBB97_130
.LBB97_61:
	s_or_b64 exec, exec, s[0:1]
                                        ; implicit-def: $vgpr14_vgpr15
	s_and_saveexec_b64 s[0:1], s[8:9]
	s_cbranch_execnz .LBB97_131
.LBB97_62:
	s_or_b64 exec, exec, s[0:1]
                                        ; implicit-def: $vgpr16_vgpr17
	s_and_saveexec_b64 s[0:1], s[10:11]
	s_cbranch_execz .LBB97_64
.LBB97_63:
	global_load_dwordx2 v[16:17], v[18:19], off offset:2560
.LBB97_64:
	s_or_b64 exec, exec, s[0:1]
	v_mov_b32_e32 v33, 0
	v_mov_b32_e32 v35, 0
	s_and_saveexec_b64 s[0:1], s[14:15]
	s_cbranch_execz .LBB97_66
; %bb.65:
	ds_read_b32 v9, v23 offset:2048
	s_waitcnt lgkmcnt(0)
	v_lshrrev_b32_e32 v9, s48, v9
	v_and_b32_e32 v35, s33, v9
.LBB97_66:
	s_or_b64 exec, exec, s[0:1]
	s_and_saveexec_b64 s[0:1], s[16:17]
	s_cbranch_execz .LBB97_68
; %bb.67:
	ds_read_b32 v9, v23 offset:4096
	s_waitcnt lgkmcnt(0)
	v_lshrrev_b32_e32 v9, s48, v9
	v_and_b32_e32 v33, s33, v9
.LBB97_68:
	s_or_b64 exec, exec, s[0:1]
	v_mov_b32_e32 v18, 0
	v_mov_b32_e32 v34, 0
	s_and_saveexec_b64 s[0:1], s[18:19]
	s_cbranch_execz .LBB97_70
; %bb.69:
	ds_read_b32 v9, v23 offset:6144
	s_waitcnt lgkmcnt(0)
	v_lshrrev_b32_e32 v9, s48, v9
	v_and_b32_e32 v34, s33, v9
.LBB97_70:
	s_or_b64 exec, exec, s[0:1]
	s_and_saveexec_b64 s[0:1], s[20:21]
	s_cbranch_execz .LBB97_72
; %bb.71:
	ds_read_b32 v9, v23 offset:8192
	s_waitcnt lgkmcnt(0)
	v_lshrrev_b32_e32 v9, s48, v9
	v_and_b32_e32 v18, s33, v9
.LBB97_72:
	s_or_b64 exec, exec, s[0:1]
	v_mov_b32_e32 v9, 0
	v_mov_b32_e32 v19, 0
	s_and_saveexec_b64 s[0:1], s[22:23]
	s_cbranch_execz .LBB97_74
; %bb.73:
	ds_read_b32 v19, v23 offset:10240
	s_waitcnt lgkmcnt(0)
	v_lshrrev_b32_e32 v19, s48, v19
	v_and_b32_e32 v19, s33, v19
.LBB97_74:
	s_or_b64 exec, exec, s[0:1]
	s_and_saveexec_b64 s[0:1], s[24:25]
	s_cbranch_execz .LBB97_76
; %bb.75:
	ds_read_b32 v9, v23 offset:12288
	s_waitcnt lgkmcnt(0)
	v_lshrrev_b32_e32 v9, s48, v9
	v_and_b32_e32 v9, s33, v9
.LBB97_76:
	s_or_b64 exec, exec, s[0:1]
	v_lshlrev_b32_e32 v23, 3, v28
	s_barrier
	s_waitcnt vmcnt(0)
	ds_write_b64 v23, v[4:5] offset:2048
	v_lshlrev_b32_e32 v4, 3, v27
	ds_write_b64 v4, v[6:7] offset:2048
	v_lshlrev_b32_e32 v4, 3, v26
	;; [unrolled: 2-line block ×6, first 2 shown]
	s_waitcnt lgkmcnt(0)
	s_barrier
	s_and_saveexec_b64 s[0:1], s[14:15]
	s_cbranch_execnz .LBB97_132
; %bb.77:
	s_or_b64 exec, exec, s[0:1]
	s_and_saveexec_b64 s[0:1], s[16:17]
	s_cbranch_execnz .LBB97_133
.LBB97_78:
	s_or_b64 exec, exec, s[0:1]
	s_and_saveexec_b64 s[0:1], s[18:19]
	s_cbranch_execnz .LBB97_134
.LBB97_79:
	s_or_b64 exec, exec, s[0:1]
	s_and_saveexec_b64 s[0:1], s[20:21]
	s_cbranch_execnz .LBB97_135
.LBB97_80:
	s_or_b64 exec, exec, s[0:1]
	s_and_saveexec_b64 s[0:1], s[22:23]
	s_cbranch_execnz .LBB97_136
.LBB97_81:
	s_or_b64 exec, exec, s[0:1]
	s_and_saveexec_b64 s[0:1], s[24:25]
	s_cbranch_execz .LBB97_83
.LBB97_82:
	v_lshlrev_b32_e32 v5, 3, v9
	ds_read_b64 v[6:7], v5
	ds_read_b64 v[4:5], v4 offset:22528
	v_mov_b32_e32 v9, s43
	s_waitcnt lgkmcnt(1)
	v_lshlrev_b64 v[6:7], 3, v[6:7]
	v_add_co_u32_e32 v6, vcc, s42, v6
	v_addc_co_u32_e32 v7, vcc, v9, v7, vcc
	v_lshlrev_b32_e32 v9, 3, v32
	v_add_co_u32_e32 v6, vcc, v6, v9
	v_addc_co_u32_e32 v7, vcc, 0, v7, vcc
	s_waitcnt lgkmcnt(0)
	global_store_dwordx2 v[6:7], v[4:5], off
.LBB97_83:
	s_or_b64 exec, exec, s[0:1]
	s_add_i32 s7, s7, -1
	s_cmp_eq_u32 s6, s7
	s_cselect_b64 s[0:1], -1, 0
	s_and_b64 s[2:3], s[12:13], s[0:1]
	s_mov_b64 s[0:1], 0
	s_mov_b64 s[8:9], 0
                                        ; implicit-def: $vgpr4_vgpr5
	s_and_saveexec_b64 s[10:11], s[2:3]
	s_xor_b64 s[2:3], exec, s[10:11]
; %bb.84:
	v_add_co_u32_e32 v4, vcc, v2, v20
	s_mov_b64 s[8:9], exec
	v_mov_b32_e32 v9, 0
	v_addc_co_u32_e32 v5, vcc, 0, v3, vcc
; %bb.85:
	s_or_b64 exec, exec, s[2:3]
	s_and_b64 vcc, exec, s[0:1]
	s_cbranch_vccnz .LBB97_87
	s_branch .LBB97_124
.LBB97_86:
	s_mov_b64 s[8:9], 0
                                        ; implicit-def: $vgpr4_vgpr5
                                        ; implicit-def: $vgpr8_vgpr9
	s_cbranch_execz .LBB97_124
.LBB97_87:
	s_mov_b32 s31, 0
	s_lshl_b64 s[0:1], s[30:31], 2
	v_mbcnt_hi_u32_b32 v11, -1, v1
	s_add_u32 s0, s36, s0
	v_lshlrev_b32_e32 v1, 2, v11
	v_add_co_u32_e32 v1, vcc, s0, v1
	s_load_dword s7, s[4:5], 0x50
	s_load_dword s0, s[4:5], 0x5c
	v_and_b32_e32 v8, 0x3ff, v0
	s_addc_u32 s1, s37, s1
	v_and_b32_e32 v6, 0x1c0, v8
	v_mul_u32_u24_e32 v10, 6, v6
	v_mov_b32_e32 v3, s1
	v_addc_co_u32_e32 v3, vcc, 0, v3, vcc
	v_lshlrev_b32_e32 v4, 2, v10
	s_add_u32 s1, s4, 0x50
	v_add_co_u32_e32 v14, vcc, v1, v4
	s_addc_u32 s2, s5, 0
	s_waitcnt lgkmcnt(0)
	s_lshr_b32 s3, s0, 16
	v_addc_co_u32_e32 v15, vcc, 0, v3, vcc
	s_cmp_lt_u32 s6, s7
	global_load_dword v1, v[14:15], off
	s_cselect_b32 s0, 12, 18
	s_add_u32 s0, s1, s0
	v_mov_b32_e32 v2, 0
	s_addc_u32 s1, s2, 0
	global_load_ushort v3, v2, s[0:1]
	v_mul_u32_u24_e32 v5, 5, v8
	v_lshlrev_b32_e32 v5, 2, v5
	ds_write2_b32 v5, v2, v2 offset0:8 offset1:9
	ds_write2_b32 v5, v2, v2 offset0:10 offset1:11
	ds_write_b32 v5, v2 offset:48
	global_load_dword v12, v[14:15], off offset:256
	global_load_dword v16, v[14:15], off offset:512
	;; [unrolled: 1-line block ×5, first 2 shown]
	v_bfe_u32 v4, v0, 10, 10
	v_bfe_u32 v0, v0, 20, 10
	v_mad_u32_u24 v0, v0, s3, v4
	s_lshl_b32 s0, -1, s49
	s_not_b32 s14, s0
	s_waitcnt lgkmcnt(0)
	s_barrier
	s_waitcnt lgkmcnt(0)
	; wave barrier
	s_waitcnt vmcnt(6)
	v_xor_b32_e32 v4, 0x80000000, v1
	v_lshrrev_b32_e32 v1, s48, v4
	v_and_b32_e32 v9, s14, v1
	v_and_b32_e32 v7, 1, v9
	s_waitcnt vmcnt(5)
	v_mad_u64_u32 v[0:1], s[0:1], v0, v3, v[8:9]
	v_lshrrev_b32_e32 v19, 6, v0
	v_add_co_u32_e32 v0, vcc, -1, v7
	v_lshlrev_b32_e32 v3, 30, v9
	v_addc_co_u32_e64 v13, s[0:1], 0, -1, vcc
	v_lshl_add_u32 v1, v9, 3, v9
	v_cmp_ne_u32_e32 vcc, 0, v7
	v_cmp_gt_i64_e64 s[0:1], 0, v[2:3]
	v_not_b32_e32 v14, v3
	v_lshlrev_b32_e32 v3, 29, v9
	v_add_lshl_u32 v7, v19, v1, 2
	v_xor_b32_e32 v1, vcc_hi, v13
	v_xor_b32_e32 v0, vcc_lo, v0
	v_ashrrev_i32_e32 v13, 31, v14
	v_cmp_gt_i64_e32 vcc, 0, v[2:3]
	v_not_b32_e32 v14, v3
	v_lshlrev_b32_e32 v3, 28, v9
	v_and_b32_e32 v1, exec_hi, v1
	v_and_b32_e32 v0, exec_lo, v0
	v_xor_b32_e32 v15, s1, v13
	v_xor_b32_e32 v13, s0, v13
	v_ashrrev_i32_e32 v14, 31, v14
	v_cmp_gt_i64_e64 s[0:1], 0, v[2:3]
	v_not_b32_e32 v17, v3
	v_lshlrev_b32_e32 v3, 27, v9
	v_and_b32_e32 v1, v1, v15
	v_and_b32_e32 v0, v0, v13
	v_xor_b32_e32 v13, vcc_hi, v14
	v_xor_b32_e32 v14, vcc_lo, v14
	v_ashrrev_i32_e32 v15, 31, v17
	v_cmp_gt_i64_e32 vcc, 0, v[2:3]
	v_not_b32_e32 v3, v3
	v_and_b32_e32 v1, v1, v13
	v_and_b32_e32 v0, v0, v14
	v_xor_b32_e32 v13, s1, v15
	v_xor_b32_e32 v14, s0, v15
	v_ashrrev_i32_e32 v3, 31, v3
	v_and_b32_e32 v1, v1, v13
	v_and_b32_e32 v0, v0, v14
	v_xor_b32_e32 v13, vcc_hi, v3
	v_xor_b32_e32 v3, vcc_lo, v3
	v_and_b32_e32 v0, v0, v3
	v_lshlrev_b32_e32 v3, 26, v9
	v_cmp_gt_i64_e32 vcc, 0, v[2:3]
	v_not_b32_e32 v3, v3
	v_ashrrev_i32_e32 v3, 31, v3
	v_and_b32_e32 v1, v1, v13
	v_xor_b32_e32 v13, vcc_hi, v3
	v_xor_b32_e32 v3, vcc_lo, v3
	v_and_b32_e32 v0, v0, v3
	v_lshlrev_b32_e32 v3, 25, v9
	v_cmp_gt_i64_e32 vcc, 0, v[2:3]
	v_not_b32_e32 v3, v3
	v_ashrrev_i32_e32 v3, 31, v3
	;; [unrolled: 8-line block ×3, first 2 shown]
	v_xor_b32_e32 v9, vcc_hi, v3
	v_xor_b32_e32 v3, vcc_lo, v3
	v_and_b32_e32 v1, v1, v13
	v_and_b32_e32 v0, v0, v3
	;; [unrolled: 1-line block ×3, first 2 shown]
	v_mbcnt_lo_u32_b32 v3, v0, 0
	v_mbcnt_hi_u32_b32 v9, v1, v3
	v_cmp_eq_u32_e32 vcc, 0, v9
	v_cmp_ne_u64_e64 s[0:1], 0, v[0:1]
	s_and_b64 s[2:3], s[0:1], vcc
	s_and_saveexec_b64 s[0:1], s[2:3]
	s_cbranch_execz .LBB97_89
; %bb.88:
	v_bcnt_u32_b32 v0, v0, 0
	v_bcnt_u32_b32 v0, v1, v0
	ds_write_b32 v7, v0 offset:32
.LBB97_89:
	s_or_b64 exec, exec, s[0:1]
	s_waitcnt vmcnt(4)
	v_xor_b32_e32 v12, 0x80000000, v12
	v_lshrrev_b32_e32 v0, s48, v12
	v_and_b32_e32 v0, s14, v0
	v_lshl_add_u32 v1, v0, 3, v0
	v_add_lshl_u32 v14, v19, v1, 2
	v_and_b32_e32 v1, 1, v0
	v_add_co_u32_e32 v3, vcc, -1, v1
	v_addc_co_u32_e64 v15, s[0:1], 0, -1, vcc
	v_cmp_ne_u32_e32 vcc, 0, v1
	v_xor_b32_e32 v3, vcc_lo, v3
	v_xor_b32_e32 v1, vcc_hi, v15
	v_and_b32_e32 v15, exec_lo, v3
	v_lshlrev_b32_e32 v3, 30, v0
	v_cmp_gt_i64_e32 vcc, 0, v[2:3]
	v_not_b32_e32 v3, v3
	v_ashrrev_i32_e32 v3, 31, v3
	v_xor_b32_e32 v17, vcc_hi, v3
	v_xor_b32_e32 v3, vcc_lo, v3
	v_and_b32_e32 v15, v15, v3
	v_lshlrev_b32_e32 v3, 29, v0
	v_cmp_gt_i64_e32 vcc, 0, v[2:3]
	v_not_b32_e32 v3, v3
	v_and_b32_e32 v1, exec_hi, v1
	v_ashrrev_i32_e32 v3, 31, v3
	v_and_b32_e32 v1, v1, v17
	v_xor_b32_e32 v17, vcc_hi, v3
	v_xor_b32_e32 v3, vcc_lo, v3
	v_and_b32_e32 v15, v15, v3
	v_lshlrev_b32_e32 v3, 28, v0
	v_cmp_gt_i64_e32 vcc, 0, v[2:3]
	v_not_b32_e32 v3, v3
	v_ashrrev_i32_e32 v3, 31, v3
	v_and_b32_e32 v1, v1, v17
	v_xor_b32_e32 v17, vcc_hi, v3
	v_xor_b32_e32 v3, vcc_lo, v3
	v_and_b32_e32 v15, v15, v3
	v_lshlrev_b32_e32 v3, 27, v0
	v_cmp_gt_i64_e32 vcc, 0, v[2:3]
	v_not_b32_e32 v3, v3
	v_ashrrev_i32_e32 v3, 31, v3
	v_and_b32_e32 v1, v1, v17
	v_xor_b32_e32 v17, vcc_hi, v3
	v_xor_b32_e32 v3, vcc_lo, v3
	v_and_b32_e32 v15, v15, v3
	v_lshlrev_b32_e32 v3, 26, v0
	v_cmp_gt_i64_e32 vcc, 0, v[2:3]
	v_not_b32_e32 v3, v3
	v_ashrrev_i32_e32 v3, 31, v3
	v_and_b32_e32 v1, v1, v17
	v_xor_b32_e32 v17, vcc_hi, v3
	v_xor_b32_e32 v3, vcc_lo, v3
	v_and_b32_e32 v15, v15, v3
	v_lshlrev_b32_e32 v3, 25, v0
	v_cmp_gt_i64_e32 vcc, 0, v[2:3]
	v_not_b32_e32 v3, v3
	v_ashrrev_i32_e32 v3, 31, v3
	v_and_b32_e32 v1, v1, v17
	v_xor_b32_e32 v17, vcc_hi, v3
	v_xor_b32_e32 v3, vcc_lo, v3
	v_and_b32_e32 v15, v15, v3
	v_lshlrev_b32_e32 v3, 24, v0
	v_not_b32_e32 v0, v3
	v_cmp_gt_i64_e32 vcc, 0, v[2:3]
	v_ashrrev_i32_e32 v0, 31, v0
	v_xor_b32_e32 v2, vcc_hi, v0
	v_xor_b32_e32 v0, vcc_lo, v0
	; wave barrier
	ds_read_b32 v13, v14 offset:32
	v_and_b32_e32 v1, v1, v17
	v_and_b32_e32 v0, v15, v0
	;; [unrolled: 1-line block ×3, first 2 shown]
	v_mbcnt_lo_u32_b32 v2, v0, 0
	v_mbcnt_hi_u32_b32 v15, v1, v2
	v_cmp_eq_u32_e32 vcc, 0, v15
	v_cmp_ne_u64_e64 s[0:1], 0, v[0:1]
	s_and_b64 s[2:3], s[0:1], vcc
	; wave barrier
	s_and_saveexec_b64 s[0:1], s[2:3]
	s_cbranch_execz .LBB97_91
; %bb.90:
	v_bcnt_u32_b32 v0, v0, 0
	v_bcnt_u32_b32 v0, v1, v0
	s_waitcnt lgkmcnt(0)
	v_add_u32_e32 v0, v13, v0
	ds_write_b32 v14, v0 offset:32
.LBB97_91:
	s_or_b64 exec, exec, s[0:1]
	s_waitcnt vmcnt(3)
	v_xor_b32_e32 v16, 0x80000000, v16
	v_lshrrev_b32_e32 v0, s48, v16
	v_and_b32_e32 v2, s14, v0
	v_and_b32_e32 v1, 1, v2
	v_add_co_u32_e32 v3, vcc, -1, v1
	v_addc_co_u32_e64 v21, s[0:1], 0, -1, vcc
	v_cmp_ne_u32_e32 vcc, 0, v1
	v_lshl_add_u32 v0, v2, 3, v2
	v_xor_b32_e32 v1, vcc_hi, v21
	v_add_lshl_u32 v20, v19, v0, 2
	v_mov_b32_e32 v0, 0
	v_and_b32_e32 v21, exec_hi, v1
	v_lshlrev_b32_e32 v1, 30, v2
	v_xor_b32_e32 v3, vcc_lo, v3
	v_cmp_gt_i64_e32 vcc, 0, v[0:1]
	v_not_b32_e32 v1, v1
	v_ashrrev_i32_e32 v1, 31, v1
	v_and_b32_e32 v3, exec_lo, v3
	v_xor_b32_e32 v23, vcc_hi, v1
	v_xor_b32_e32 v1, vcc_lo, v1
	v_and_b32_e32 v3, v3, v1
	v_lshlrev_b32_e32 v1, 29, v2
	v_cmp_gt_i64_e32 vcc, 0, v[0:1]
	v_not_b32_e32 v1, v1
	v_ashrrev_i32_e32 v1, 31, v1
	v_and_b32_e32 v21, v21, v23
	v_xor_b32_e32 v23, vcc_hi, v1
	v_xor_b32_e32 v1, vcc_lo, v1
	v_and_b32_e32 v3, v3, v1
	v_lshlrev_b32_e32 v1, 28, v2
	v_cmp_gt_i64_e32 vcc, 0, v[0:1]
	v_not_b32_e32 v1, v1
	v_ashrrev_i32_e32 v1, 31, v1
	v_and_b32_e32 v21, v21, v23
	;; [unrolled: 8-line block ×5, first 2 shown]
	v_xor_b32_e32 v23, vcc_hi, v1
	v_xor_b32_e32 v1, vcc_lo, v1
	v_and_b32_e32 v21, v21, v23
	v_and_b32_e32 v23, v3, v1
	v_lshlrev_b32_e32 v1, 24, v2
	v_cmp_gt_i64_e32 vcc, 0, v[0:1]
	v_not_b32_e32 v1, v1
	v_ashrrev_i32_e32 v1, 31, v1
	v_xor_b32_e32 v2, vcc_hi, v1
	v_xor_b32_e32 v1, vcc_lo, v1
	; wave barrier
	ds_read_b32 v17, v20 offset:32
	v_and_b32_e32 v3, v21, v2
	v_and_b32_e32 v2, v23, v1
	v_mbcnt_lo_u32_b32 v1, v2, 0
	v_mbcnt_hi_u32_b32 v21, v3, v1
	v_cmp_eq_u32_e32 vcc, 0, v21
	v_cmp_ne_u64_e64 s[0:1], 0, v[2:3]
	s_and_b64 s[2:3], s[0:1], vcc
	; wave barrier
	s_and_saveexec_b64 s[0:1], s[2:3]
	s_cbranch_execz .LBB97_93
; %bb.92:
	v_bcnt_u32_b32 v1, v2, 0
	v_bcnt_u32_b32 v1, v3, v1
	s_waitcnt lgkmcnt(0)
	v_add_u32_e32 v1, v17, v1
	ds_write_b32 v20, v1 offset:32
.LBB97_93:
	s_or_b64 exec, exec, s[0:1]
	s_waitcnt vmcnt(2)
	v_xor_b32_e32 v22, 0x80000000, v22
	v_lshrrev_b32_e32 v1, s48, v22
	v_and_b32_e32 v2, s14, v1
	v_lshl_add_u32 v1, v2, 3, v2
	v_add_lshl_u32 v25, v19, v1, 2
	v_and_b32_e32 v1, 1, v2
	v_add_co_u32_e32 v3, vcc, -1, v1
	v_addc_co_u32_e64 v26, s[0:1], 0, -1, vcc
	v_cmp_ne_u32_e32 vcc, 0, v1
	v_xor_b32_e32 v1, vcc_hi, v26
	v_and_b32_e32 v26, exec_hi, v1
	v_lshlrev_b32_e32 v1, 30, v2
	v_xor_b32_e32 v3, vcc_lo, v3
	v_cmp_gt_i64_e32 vcc, 0, v[0:1]
	v_not_b32_e32 v1, v1
	v_ashrrev_i32_e32 v1, 31, v1
	v_and_b32_e32 v3, exec_lo, v3
	v_xor_b32_e32 v27, vcc_hi, v1
	v_xor_b32_e32 v1, vcc_lo, v1
	v_and_b32_e32 v3, v3, v1
	v_lshlrev_b32_e32 v1, 29, v2
	v_cmp_gt_i64_e32 vcc, 0, v[0:1]
	v_not_b32_e32 v1, v1
	v_ashrrev_i32_e32 v1, 31, v1
	v_and_b32_e32 v26, v26, v27
	v_xor_b32_e32 v27, vcc_hi, v1
	v_xor_b32_e32 v1, vcc_lo, v1
	v_and_b32_e32 v3, v3, v1
	v_lshlrev_b32_e32 v1, 28, v2
	v_cmp_gt_i64_e32 vcc, 0, v[0:1]
	v_not_b32_e32 v1, v1
	v_ashrrev_i32_e32 v1, 31, v1
	v_and_b32_e32 v26, v26, v27
	;; [unrolled: 8-line block ×5, first 2 shown]
	v_xor_b32_e32 v27, vcc_hi, v1
	v_xor_b32_e32 v1, vcc_lo, v1
	v_and_b32_e32 v3, v3, v1
	v_lshlrev_b32_e32 v1, 24, v2
	v_cmp_gt_i64_e32 vcc, 0, v[0:1]
	v_not_b32_e32 v0, v1
	v_ashrrev_i32_e32 v0, 31, v0
	v_xor_b32_e32 v1, vcc_hi, v0
	v_xor_b32_e32 v0, vcc_lo, v0
	; wave barrier
	ds_read_b32 v23, v25 offset:32
	v_and_b32_e32 v26, v26, v27
	v_and_b32_e32 v0, v3, v0
	;; [unrolled: 1-line block ×3, first 2 shown]
	v_mbcnt_lo_u32_b32 v2, v0, 0
	v_mbcnt_hi_u32_b32 v26, v1, v2
	v_cmp_eq_u32_e32 vcc, 0, v26
	v_cmp_ne_u64_e64 s[0:1], 0, v[0:1]
	s_and_b64 s[2:3], s[0:1], vcc
	; wave barrier
	s_and_saveexec_b64 s[0:1], s[2:3]
	s_cbranch_execz .LBB97_95
; %bb.94:
	v_bcnt_u32_b32 v0, v0, 0
	v_bcnt_u32_b32 v0, v1, v0
	s_waitcnt lgkmcnt(0)
	v_add_u32_e32 v0, v23, v0
	ds_write_b32 v25, v0 offset:32
.LBB97_95:
	s_or_b64 exec, exec, s[0:1]
	s_waitcnt vmcnt(1)
	v_xor_b32_e32 v24, 0x80000000, v24
	v_lshrrev_b32_e32 v0, s48, v24
	v_and_b32_e32 v2, s14, v0
	v_and_b32_e32 v1, 1, v2
	v_add_co_u32_e32 v3, vcc, -1, v1
	v_addc_co_u32_e64 v29, s[0:1], 0, -1, vcc
	v_cmp_ne_u32_e32 vcc, 0, v1
	v_lshl_add_u32 v0, v2, 3, v2
	v_xor_b32_e32 v1, vcc_hi, v29
	v_add_lshl_u32 v28, v19, v0, 2
	v_mov_b32_e32 v0, 0
	v_and_b32_e32 v29, exec_hi, v1
	v_lshlrev_b32_e32 v1, 30, v2
	v_xor_b32_e32 v3, vcc_lo, v3
	v_cmp_gt_i64_e32 vcc, 0, v[0:1]
	v_not_b32_e32 v1, v1
	v_ashrrev_i32_e32 v1, 31, v1
	v_and_b32_e32 v3, exec_lo, v3
	v_xor_b32_e32 v30, vcc_hi, v1
	v_xor_b32_e32 v1, vcc_lo, v1
	v_and_b32_e32 v3, v3, v1
	v_lshlrev_b32_e32 v1, 29, v2
	v_cmp_gt_i64_e32 vcc, 0, v[0:1]
	v_not_b32_e32 v1, v1
	v_ashrrev_i32_e32 v1, 31, v1
	v_and_b32_e32 v29, v29, v30
	v_xor_b32_e32 v30, vcc_hi, v1
	v_xor_b32_e32 v1, vcc_lo, v1
	v_and_b32_e32 v3, v3, v1
	v_lshlrev_b32_e32 v1, 28, v2
	v_cmp_gt_i64_e32 vcc, 0, v[0:1]
	v_not_b32_e32 v1, v1
	v_ashrrev_i32_e32 v1, 31, v1
	v_and_b32_e32 v29, v29, v30
	;; [unrolled: 8-line block ×5, first 2 shown]
	v_xor_b32_e32 v30, vcc_hi, v1
	v_xor_b32_e32 v1, vcc_lo, v1
	v_and_b32_e32 v29, v29, v30
	v_and_b32_e32 v30, v3, v1
	v_lshlrev_b32_e32 v1, 24, v2
	v_cmp_gt_i64_e32 vcc, 0, v[0:1]
	v_not_b32_e32 v1, v1
	v_ashrrev_i32_e32 v1, 31, v1
	v_xor_b32_e32 v2, vcc_hi, v1
	v_xor_b32_e32 v1, vcc_lo, v1
	; wave barrier
	ds_read_b32 v27, v28 offset:32
	v_and_b32_e32 v3, v29, v2
	v_and_b32_e32 v2, v30, v1
	v_mbcnt_lo_u32_b32 v1, v2, 0
	v_mbcnt_hi_u32_b32 v29, v3, v1
	v_cmp_eq_u32_e32 vcc, 0, v29
	v_cmp_ne_u64_e64 s[0:1], 0, v[2:3]
	s_and_b64 s[2:3], s[0:1], vcc
	; wave barrier
	s_and_saveexec_b64 s[0:1], s[2:3]
	s_cbranch_execz .LBB97_97
; %bb.96:
	v_bcnt_u32_b32 v1, v2, 0
	v_bcnt_u32_b32 v1, v3, v1
	s_waitcnt lgkmcnt(0)
	v_add_u32_e32 v1, v27, v1
	ds_write_b32 v28, v1 offset:32
.LBB97_97:
	s_or_b64 exec, exec, s[0:1]
	s_waitcnt vmcnt(0)
	v_xor_b32_e32 v30, 0x80000000, v18
	v_lshrrev_b32_e32 v1, s48, v30
	v_and_b32_e32 v2, s14, v1
	v_lshl_add_u32 v1, v2, 3, v2
	v_add_lshl_u32 v19, v19, v1, 2
	v_and_b32_e32 v1, 1, v2
	v_add_co_u32_e32 v3, vcc, -1, v1
	v_addc_co_u32_e64 v18, s[0:1], 0, -1, vcc
	v_cmp_ne_u32_e32 vcc, 0, v1
	v_xor_b32_e32 v1, vcc_hi, v18
	v_and_b32_e32 v18, exec_hi, v1
	v_lshlrev_b32_e32 v1, 30, v2
	v_xor_b32_e32 v3, vcc_lo, v3
	v_cmp_gt_i64_e32 vcc, 0, v[0:1]
	v_not_b32_e32 v1, v1
	v_ashrrev_i32_e32 v1, 31, v1
	v_and_b32_e32 v3, exec_lo, v3
	v_xor_b32_e32 v33, vcc_hi, v1
	v_xor_b32_e32 v1, vcc_lo, v1
	v_and_b32_e32 v3, v3, v1
	v_lshlrev_b32_e32 v1, 29, v2
	v_cmp_gt_i64_e32 vcc, 0, v[0:1]
	v_not_b32_e32 v1, v1
	v_ashrrev_i32_e32 v1, 31, v1
	v_and_b32_e32 v18, v18, v33
	v_xor_b32_e32 v33, vcc_hi, v1
	v_xor_b32_e32 v1, vcc_lo, v1
	v_and_b32_e32 v3, v3, v1
	v_lshlrev_b32_e32 v1, 28, v2
	v_cmp_gt_i64_e32 vcc, 0, v[0:1]
	v_not_b32_e32 v1, v1
	v_ashrrev_i32_e32 v1, 31, v1
	v_and_b32_e32 v18, v18, v33
	;; [unrolled: 8-line block ×5, first 2 shown]
	v_xor_b32_e32 v33, vcc_hi, v1
	v_xor_b32_e32 v1, vcc_lo, v1
	v_and_b32_e32 v3, v3, v1
	v_lshlrev_b32_e32 v1, 24, v2
	v_cmp_gt_i64_e32 vcc, 0, v[0:1]
	v_not_b32_e32 v0, v1
	v_ashrrev_i32_e32 v0, 31, v0
	v_xor_b32_e32 v1, vcc_hi, v0
	v_xor_b32_e32 v0, vcc_lo, v0
	; wave barrier
	ds_read_b32 v31, v19 offset:32
	v_and_b32_e32 v18, v18, v33
	v_and_b32_e32 v0, v3, v0
	;; [unrolled: 1-line block ×3, first 2 shown]
	v_mbcnt_lo_u32_b32 v2, v0, 0
	v_mbcnt_hi_u32_b32 v33, v1, v2
	v_cmp_eq_u32_e32 vcc, 0, v33
	v_cmp_ne_u64_e64 s[0:1], 0, v[0:1]
	v_add_u32_e32 v32, 32, v5
	s_and_b64 s[2:3], s[0:1], vcc
	; wave barrier
	s_and_saveexec_b64 s[0:1], s[2:3]
	s_cbranch_execz .LBB97_99
; %bb.98:
	v_bcnt_u32_b32 v0, v0, 0
	v_bcnt_u32_b32 v0, v1, v0
	s_waitcnt lgkmcnt(0)
	v_add_u32_e32 v0, v31, v0
	ds_write_b32 v19, v0 offset:32
.LBB97_99:
	s_or_b64 exec, exec, s[0:1]
	; wave barrier
	s_waitcnt lgkmcnt(0)
	s_barrier
	ds_read2_b32 v[2:3], v5 offset0:8 offset1:9
	ds_read2_b32 v[0:1], v32 offset0:2 offset1:3
	ds_read_b32 v18, v32 offset:16
	v_min_u32_e32 v6, 0x1c0, v6
	v_or_b32_e32 v6, 63, v6
	s_waitcnt lgkmcnt(1)
	v_add3_u32 v34, v3, v2, v0
	s_waitcnt lgkmcnt(0)
	v_add3_u32 v18, v34, v1, v18
	v_and_b32_e32 v34, 15, v11
	v_cmp_ne_u32_e32 vcc, 0, v34
	v_mov_b32_dpp v35, v18 row_shr:1 row_mask:0xf bank_mask:0xf
	v_cndmask_b32_e32 v35, 0, v35, vcc
	v_add_u32_e32 v18, v35, v18
	v_cmp_lt_u32_e32 vcc, 1, v34
	s_nop 0
	v_mov_b32_dpp v35, v18 row_shr:2 row_mask:0xf bank_mask:0xf
	v_cndmask_b32_e32 v35, 0, v35, vcc
	v_add_u32_e32 v18, v18, v35
	v_cmp_lt_u32_e32 vcc, 3, v34
	s_nop 0
	;; [unrolled: 5-line block ×3, first 2 shown]
	v_mov_b32_dpp v35, v18 row_shr:8 row_mask:0xf bank_mask:0xf
	v_cndmask_b32_e32 v34, 0, v35, vcc
	v_add_u32_e32 v18, v18, v34
	v_bfe_i32 v35, v11, 4, 1
	v_cmp_lt_u32_e32 vcc, 31, v11
	v_mov_b32_dpp v34, v18 row_bcast:15 row_mask:0xf bank_mask:0xf
	v_and_b32_e32 v34, v35, v34
	v_add_u32_e32 v18, v18, v34
	v_lshrrev_b32_e32 v35, 6, v8
	s_nop 0
	v_mov_b32_dpp v34, v18 row_bcast:31 row_mask:0xf bank_mask:0xf
	v_cndmask_b32_e32 v34, 0, v34, vcc
	v_add_u32_e32 v34, v18, v34
	v_cmp_eq_u32_e32 vcc, v6, v8
	s_and_saveexec_b64 s[0:1], vcc
	s_cbranch_execz .LBB97_101
; %bb.100:
	v_lshlrev_b32_e32 v6, 2, v35
	ds_write_b32 v6, v34
.LBB97_101:
	s_or_b64 exec, exec, s[0:1]
	v_cmp_gt_u32_e32 vcc, 8, v8
	v_lshlrev_b32_e32 v18, 2, v8
	s_waitcnt lgkmcnt(0)
	s_barrier
	s_and_saveexec_b64 s[0:1], vcc
	s_cbranch_execz .LBB97_103
; %bb.102:
	ds_read_b32 v6, v18
	v_and_b32_e32 v36, 7, v11
	v_cmp_ne_u32_e32 vcc, 0, v36
	s_waitcnt lgkmcnt(0)
	v_mov_b32_dpp v37, v6 row_shr:1 row_mask:0xf bank_mask:0xf
	v_cndmask_b32_e32 v37, 0, v37, vcc
	v_add_u32_e32 v6, v37, v6
	v_cmp_lt_u32_e32 vcc, 1, v36
	s_nop 0
	v_mov_b32_dpp v37, v6 row_shr:2 row_mask:0xf bank_mask:0xf
	v_cndmask_b32_e32 v37, 0, v37, vcc
	v_add_u32_e32 v6, v6, v37
	v_cmp_lt_u32_e32 vcc, 3, v36
	s_nop 0
	v_mov_b32_dpp v37, v6 row_shr:4 row_mask:0xf bank_mask:0xf
	v_cndmask_b32_e32 v36, 0, v37, vcc
	v_add_u32_e32 v6, v6, v36
	ds_write_b32 v18, v6
.LBB97_103:
	s_or_b64 exec, exec, s[0:1]
	v_cmp_lt_u32_e32 vcc, 63, v8
	v_mov_b32_e32 v6, 0
	s_waitcnt lgkmcnt(0)
	s_barrier
	s_and_saveexec_b64 s[0:1], vcc
	s_cbranch_execz .LBB97_105
; %bb.104:
	v_lshl_add_u32 v6, v35, 2, -4
	ds_read_b32 v6, v6
.LBB97_105:
	s_or_b64 exec, exec, s[0:1]
	v_add_u32_e32 v35, -1, v11
	v_and_b32_e32 v36, 64, v11
	v_cmp_lt_i32_e32 vcc, v35, v36
	v_cndmask_b32_e32 v35, v35, v11, vcc
	s_waitcnt lgkmcnt(0)
	v_add_u32_e32 v34, v6, v34
	v_lshlrev_b32_e32 v35, 2, v35
	ds_bpermute_b32 v34, v35, v34
	v_cmp_eq_u32_e32 vcc, 0, v11
	s_movk_i32 s2, 0xff
	s_movk_i32 s3, 0x100
	v_cmp_lt_u32_e64 s[0:1], s2, v8
	s_waitcnt lgkmcnt(0)
	v_cndmask_b32_e32 v6, v34, v6, vcc
	v_cmp_ne_u32_e32 vcc, 0, v8
	v_cndmask_b32_e32 v6, 0, v6, vcc
	v_add_u32_e32 v2, v6, v2
	v_add_u32_e32 v3, v2, v3
	;; [unrolled: 1-line block ×4, first 2 shown]
	ds_write2_b32 v5, v6, v2 offset0:8 offset1:9
	ds_write2_b32 v32, v3, v0 offset0:2 offset1:3
	ds_write_b32 v32, v1 offset:16
	s_waitcnt lgkmcnt(0)
	s_barrier
	ds_read_b32 v2, v7 offset:32
	ds_read_b32 v3, v14 offset:32
	;; [unrolled: 1-line block ×6, first 2 shown]
	v_cmp_gt_u32_e32 vcc, s3, v8
	v_pk_mov_b32 v[0:1], 0, 0
                                        ; implicit-def: $vgpr14
	s_and_saveexec_b64 s[4:5], vcc
	s_cbranch_execz .LBB97_109
; %bb.106:
	v_mul_u32_u24_e32 v0, 9, v8
	v_lshlrev_b32_e32 v14, 2, v0
	ds_read_b32 v0, v14 offset:32
	v_cmp_ne_u32_e64 s[2:3], s2, v8
	v_mov_b32_e32 v1, 0xc00
	s_and_saveexec_b64 s[10:11], s[2:3]
	s_cbranch_execz .LBB97_108
; %bb.107:
	ds_read_b32 v1, v14 offset:68
.LBB97_108:
	s_or_b64 exec, exec, s[10:11]
	s_waitcnt lgkmcnt(0)
	v_sub_u32_e32 v14, v1, v0
	v_mov_b32_e32 v1, 0
.LBB97_109:
	s_or_b64 exec, exec, s[4:5]
	s_waitcnt lgkmcnt(5)
	v_add_u32_e32 v25, v2, v9
	s_waitcnt lgkmcnt(4)
	v_add3_u32 v20, v15, v13, v3
	v_lshlrev_b32_e32 v2, 2, v25
	s_waitcnt lgkmcnt(3)
	v_add3_u32 v19, v21, v17, v5
	s_waitcnt lgkmcnt(0)
	s_barrier
	ds_write_b32 v2, v4 offset:2048
	v_lshlrev_b32_e32 v2, 2, v20
	v_add3_u32 v17, v26, v23, v6
	ds_write_b32 v2, v12 offset:2048
	v_lshlrev_b32_e32 v2, 2, v19
	v_add3_u32 v15, v29, v27, v7
	;; [unrolled: 3-line block ×3, first 2 shown]
	ds_write_b32 v2, v22 offset:2048
	v_lshlrev_b32_e32 v2, 2, v15
	ds_write_b32 v2, v24 offset:2048
	v_lshlrev_b32_e32 v2, 2, v13
	ds_write_b32 v2, v30 offset:2048
	s_waitcnt lgkmcnt(0)
	s_barrier
	s_and_saveexec_b64 s[2:3], s[0:1]
	s_xor_b64 s[0:1], exec, s[2:3]
; %bb.110:
	v_mov_b32_e32 v9, 0
; %bb.111:
	s_andn2_saveexec_b64 s[2:3], s[0:1]
	s_cbranch_execz .LBB97_121
; %bb.112:
	v_lshl_or_b32 v2, s6, 8, v8
	v_mov_b32_e32 v3, 0
	v_lshlrev_b64 v[4:5], 2, v[2:3]
	v_mov_b32_e32 v9, s35
	v_add_co_u32_e64 v4, s[0:1], s34, v4
	v_addc_co_u32_e64 v5, s[0:1], v9, v5, s[0:1]
	v_or_b32_e32 v2, 2.0, v14
	s_mov_b64 s[4:5], 0
	s_brev_b32 s15, 1
	s_mov_b32 s16, s6
	v_mov_b32_e32 v12, 0
	global_store_dword v[4:5], v2, off
                                        ; implicit-def: $sgpr0_sgpr1
	s_branch .LBB97_115
.LBB97_113:                             ;   in Loop: Header=BB97_115 Depth=1
	s_or_b64 exec, exec, s[12:13]
.LBB97_114:                             ;   in Loop: Header=BB97_115 Depth=1
	s_or_b64 exec, exec, s[10:11]
	v_and_b32_e32 v6, 0x3fffffff, v16
	v_add_u32_e32 v12, v6, v12
	v_cmp_eq_u32_e64 s[0:1], s15, v2
	s_and_b64 s[10:11], exec, s[0:1]
	s_or_b64 s[4:5], s[10:11], s[4:5]
	s_andn2_b64 exec, exec, s[4:5]
	s_cbranch_execz .LBB97_120
.LBB97_115:                             ; =>This Loop Header: Depth=1
                                        ;     Child Loop BB97_118 Depth 2
	s_or_b64 s[0:1], s[0:1], exec
	s_cmp_eq_u32 s16, 0
	s_cbranch_scc1 .LBB97_119
; %bb.116:                              ;   in Loop: Header=BB97_115 Depth=1
	s_add_i32 s16, s16, -1
	v_lshl_or_b32 v2, s16, 8, v8
	v_lshlrev_b64 v[6:7], 2, v[2:3]
	v_add_co_u32_e64 v6, s[0:1], s34, v6
	v_addc_co_u32_e64 v7, s[0:1], v9, v7, s[0:1]
	global_load_dword v16, v[6:7], off glc
	s_waitcnt vmcnt(0)
	v_and_b32_e32 v2, -2.0, v16
	v_cmp_eq_u32_e64 s[0:1], 0, v2
	s_and_saveexec_b64 s[10:11], s[0:1]
	s_cbranch_execz .LBB97_114
; %bb.117:                              ;   in Loop: Header=BB97_115 Depth=1
	s_mov_b64 s[12:13], 0
.LBB97_118:                             ;   Parent Loop BB97_115 Depth=1
                                        ; =>  This Inner Loop Header: Depth=2
	global_load_dword v16, v[6:7], off glc
	s_waitcnt vmcnt(0)
	v_and_b32_e32 v2, -2.0, v16
	v_cmp_ne_u32_e64 s[0:1], 0, v2
	s_or_b64 s[12:13], s[0:1], s[12:13]
	s_andn2_b64 exec, exec, s[12:13]
	s_cbranch_execnz .LBB97_118
	s_branch .LBB97_113
.LBB97_119:                             ;   in Loop: Header=BB97_115 Depth=1
                                        ; implicit-def: $sgpr16
	s_and_b64 s[10:11], exec, s[0:1]
	s_or_b64 s[4:5], s[10:11], s[4:5]
	s_andn2_b64 exec, exec, s[4:5]
	s_cbranch_execnz .LBB97_115
.LBB97_120:
	s_or_b64 exec, exec, s[4:5]
	v_add_u32_e32 v2, v12, v14
	v_or_b32_e32 v2, 0x80000000, v2
	global_store_dword v[4:5], v2, off
	v_lshlrev_b32_e32 v4, 3, v8
	global_load_dwordx2 v[2:3], v4, s[44:45]
	v_sub_co_u32_e64 v5, s[0:1], v12, v0
	v_subb_co_u32_e64 v6, s[0:1], 0, v1, s[0:1]
	v_mov_b32_e32 v9, 0
	s_waitcnt vmcnt(0)
	v_add_co_u32_e64 v2, s[0:1], v5, v2
	v_addc_co_u32_e64 v3, s[0:1], v6, v3, s[0:1]
	ds_write_b64 v4, v[2:3]
.LBB97_121:
	s_or_b64 exec, exec, s[2:3]
	s_waitcnt lgkmcnt(0)
	s_barrier
	ds_read2st64_b32 v[2:3], v18 offset0:16 offset1:24
	v_lshlrev_b32_e32 v6, 2, v8
	ds_read2st64_b32 v[4:5], v18 offset0:32 offset1:40
	ds_read_b32 v12, v18 offset:12288
	ds_read_b32 v24, v6 offset:2048
	s_waitcnt lgkmcnt(3)
	v_lshrrev_b32_e32 v7, s48, v2
	v_and_b32_e32 v7, s14, v7
	v_lshlrev_b32_e32 v16, 3, v7
	s_waitcnt lgkmcnt(2)
	v_lshrrev_b32_e32 v7, s48, v4
	s_waitcnt lgkmcnt(0)
	v_lshrrev_b32_e32 v28, s48, v24
	v_and_b32_e32 v7, s14, v7
	v_and_b32_e32 v28, s14, v28
	v_lshlrev_b32_e32 v21, 3, v7
	v_lshrrev_b32_e32 v7, s48, v12
	v_lshlrev_b32_e32 v47, 3, v28
	v_lshrrev_b32_e32 v28, s48, v3
	v_and_b32_e32 v7, s14, v7
	v_and_b32_e32 v28, s14, v28
	v_lshlrev_b32_e32 v46, 3, v7
	ds_read_b64 v[6:7], v16
	ds_read_b64 v[22:23], v21
	ds_read_b64 v[26:27], v46
	v_lshlrev_b32_e32 v48, 3, v28
	ds_read_b64 v[28:29], v47
	v_mov_b32_e32 v34, s39
	v_lshlrev_b32_e32 v11, 3, v11
	v_lshlrev_b32_e32 v10, 3, v10
	v_lshrrev_b32_e32 v30, s48, v5
	s_waitcnt lgkmcnt(0)
	v_lshlrev_b64 v[28:29], 2, v[28:29]
	v_add_co_u32_e64 v35, s[0:1], s38, v28
	v_addc_co_u32_e64 v36, s[0:1], v34, v29, s[0:1]
	v_lshlrev_b64 v[28:29], 2, v[8:9]
	v_add_co_u32_e64 v34, s[0:1], v35, v28
	v_addc_co_u32_e64 v35, s[0:1], v36, v29, s[0:1]
	s_lshl_b64 s[0:1], s[30:31], 3
	s_add_u32 s0, s40, s0
	s_addc_u32 s1, s41, s1
	v_mov_b32_e32 v36, s1
	v_add_co_u32_e64 v11, s[0:1], s0, v11
	v_addc_co_u32_e64 v36, s[0:1], 0, v36, s[0:1]
	v_add_co_u32_e64 v10, s[0:1], v11, v10
	v_and_b32_e32 v30, s14, v30
	v_addc_co_u32_e64 v11, s[0:1], 0, v36, s[0:1]
	v_xor_b32_e32 v24, 0x80000000, v24
	v_lshlrev_b32_e32 v49, 3, v30
	ds_read_b64 v[30:31], v48
	ds_read_b64 v[32:33], v49
	global_load_dwordx2 v[36:37], v[10:11], off
	global_load_dwordx2 v[38:39], v[10:11], off offset:1024
	global_load_dwordx2 v[40:41], v[10:11], off offset:1536
	v_lshlrev_b64 v[6:7], 2, v[6:7]
	global_store_dword v[34:35], v24, off
	global_load_dwordx2 v[34:35], v[10:11], off offset:512
	s_nop 0
	global_load_dwordx2 v[42:43], v[10:11], off offset:2048
	global_load_dwordx2 v[44:45], v[10:11], off offset:2560
	v_mov_b32_e32 v24, s39
	v_add_co_u32_e64 v6, s[0:1], s38, v6
	v_addc_co_u32_e64 v7, s[0:1], v24, v7, s[0:1]
	v_add_co_u32_e64 v6, s[0:1], v6, v28
	v_xor_b32_e32 v2, 0x80000000, v2
	v_addc_co_u32_e64 v7, s[0:1], v7, v29, s[0:1]
	global_store_dword v[6:7], v2, off offset:2048
	v_xor_b32_e32 v6, 0x80000000, v3
	s_waitcnt lgkmcnt(1)
	v_lshlrev_b64 v[2:3], 2, v[30:31]
	v_or_b32_e32 v24, 0x400, v8
	v_mov_b32_e32 v7, s39
	v_add_co_u32_e64 v2, s[0:1], s38, v2
	v_addc_co_u32_e64 v3, s[0:1], v7, v3, s[0:1]
	v_lshlrev_b32_e32 v7, 2, v24
	v_add_co_u32_e64 v2, s[0:1], v2, v7
	v_addc_co_u32_e64 v3, s[0:1], 0, v3, s[0:1]
	global_store_dword v[2:3], v6, off
	v_lshlrev_b64 v[2:3], 2, v[22:23]
	v_add_u32_e32 v28, 0x600, v8
	v_mov_b32_e32 v6, s39
	v_add_co_u32_e64 v2, s[0:1], s38, v2
	v_addc_co_u32_e64 v3, s[0:1], v6, v3, s[0:1]
	v_lshlrev_b32_e32 v6, 2, v28
	v_add_co_u32_e64 v2, s[0:1], v2, v6
	v_xor_b32_e32 v4, 0x80000000, v4
	v_addc_co_u32_e64 v3, s[0:1], 0, v3, s[0:1]
	global_store_dword v[2:3], v4, off
	s_waitcnt lgkmcnt(0)
	v_lshlrev_b64 v[2:3], 2, v[32:33]
	v_or_b32_e32 v22, 0x800, v8
	v_xor_b32_e32 v4, 0x80000000, v5
	v_mov_b32_e32 v5, s39
	v_add_co_u32_e64 v2, s[0:1], s38, v2
	v_addc_co_u32_e64 v3, s[0:1], v5, v3, s[0:1]
	v_lshlrev_b32_e32 v5, 2, v22
	v_add_co_u32_e64 v2, s[0:1], v2, v5
	v_addc_co_u32_e64 v3, s[0:1], 0, v3, s[0:1]
	global_store_dword v[2:3], v4, off
	v_lshlrev_b64 v[2:3], 2, v[26:27]
	v_add_u32_e32 v23, 0xa00, v8
	v_mov_b32_e32 v5, s39
	v_add_co_u32_e64 v2, s[0:1], s38, v2
	v_addc_co_u32_e64 v3, s[0:1], v5, v3, s[0:1]
	v_lshlrev_b32_e32 v5, 2, v23
	v_add_co_u32_e64 v2, s[0:1], v2, v5
	v_xor_b32_e32 v4, 0x80000000, v12
	v_addc_co_u32_e64 v3, s[0:1], 0, v3, s[0:1]
	global_store_dword v[2:3], v4, off
	v_lshlrev_b32_e32 v2, 3, v25
	s_barrier
	v_mov_b32_e32 v5, s43
	v_lshlrev_b32_e32 v4, 3, v8
	s_waitcnt vmcnt(11)
	ds_write_b64 v2, v[36:37] offset:2048
	v_lshlrev_b32_e32 v2, 3, v20
	s_movk_i32 s2, 0x800
	v_mov_b32_e32 v25, s43
	s_add_i32 s7, s7, -1
	s_waitcnt vmcnt(7)
	ds_write_b64 v2, v[34:35] offset:2048
	v_lshlrev_b32_e32 v2, 3, v19
	ds_write_b64 v2, v[38:39] offset:2048
	v_lshlrev_b32_e32 v2, 3, v17
	ds_write_b64 v2, v[40:41] offset:2048
	v_lshlrev_b32_e32 v2, 3, v15
	s_waitcnt vmcnt(6)
	ds_write_b64 v2, v[42:43] offset:2048
	v_lshlrev_b32_e32 v2, 3, v13
	s_waitcnt vmcnt(5)
	ds_write_b64 v2, v[44:45] offset:2048
	s_waitcnt lgkmcnt(0)
	s_barrier
	ds_read_b64 v[2:3], v47
	ds_read_b64 v[6:7], v16
	;; [unrolled: 1-line block ×4, first 2 shown]
	s_cmp_eq_u32 s6, s7
	s_waitcnt lgkmcnt(2)
	v_lshlrev_b64 v[6:7], 3, v[6:7]
	v_lshlrev_b64 v[2:3], 3, v[2:3]
	v_add_co_u32_e64 v15, s[0:1], s42, v2
	v_addc_co_u32_e64 v5, s[0:1], v5, v3, s[0:1]
	v_lshlrev_b64 v[2:3], 3, v[8:9]
	v_add_co_u32_e64 v2, s[0:1], v15, v2
	v_addc_co_u32_e64 v3, s[0:1], v5, v3, s[0:1]
	ds_read_b64 v[4:5], v4 offset:2048
	v_add3_u32 v15, v18, s2, v18
	ds_read_b64 v[16:17], v49
	ds_read_b64 v[18:19], v15 offset:20480
	ds_read_b64 v[20:21], v46
	v_add_co_u32_e64 v6, s[0:1], s42, v6
	s_waitcnt lgkmcnt(3)
	global_store_dwordx2 v[2:3], v[4:5], off
	ds_read2st64_b64 v[2:5], v15 offset0:8 offset1:16
	v_addc_co_u32_e64 v7, s[0:1], v25, v7, s[0:1]
	v_mov_b32_e32 v25, 0x1000
	v_lshl_add_u32 v25, v8, 3, v25
	v_add_co_u32_e64 v6, s[0:1], v6, v25
	v_addc_co_u32_e64 v7, s[0:1], 0, v7, s[0:1]
	s_waitcnt lgkmcnt(0)
	global_store_dwordx2 v[6:7], v[2:3], off
	v_lshlrev_b64 v[2:3], 3, v[10:11]
	v_mov_b32_e32 v6, s43
	v_add_co_u32_e64 v2, s[0:1], s42, v2
	v_addc_co_u32_e64 v3, s[0:1], v6, v3, s[0:1]
	v_lshlrev_b32_e32 v6, 3, v24
	v_add_co_u32_e64 v2, s[0:1], v2, v6
	v_addc_co_u32_e64 v3, s[0:1], 0, v3, s[0:1]
	global_store_dwordx2 v[2:3], v[4:5], off
	ds_read2st64_b64 v[2:5], v15 offset0:24 offset1:32
	v_lshlrev_b64 v[6:7], 3, v[12:13]
	v_mov_b32_e32 v10, s43
	v_add_co_u32_e64 v6, s[0:1], s42, v6
	v_addc_co_u32_e64 v7, s[0:1], v10, v7, s[0:1]
	v_lshlrev_b32_e32 v10, 3, v28
	v_add_co_u32_e64 v6, s[0:1], v6, v10
	v_addc_co_u32_e64 v7, s[0:1], 0, v7, s[0:1]
	s_waitcnt lgkmcnt(0)
	global_store_dwordx2 v[6:7], v[2:3], off
	v_lshlrev_b64 v[2:3], 3, v[16:17]
	v_mov_b32_e32 v6, s43
	v_add_co_u32_e64 v2, s[0:1], s42, v2
	v_addc_co_u32_e64 v3, s[0:1], v6, v3, s[0:1]
	v_lshlrev_b32_e32 v6, 3, v22
	v_add_co_u32_e64 v2, s[0:1], v2, v6
	v_addc_co_u32_e64 v3, s[0:1], 0, v3, s[0:1]
	global_store_dwordx2 v[2:3], v[4:5], off
	v_lshlrev_b64 v[2:3], 3, v[20:21]
	v_mov_b32_e32 v4, s43
	v_add_co_u32_e64 v2, s[0:1], s42, v2
	v_addc_co_u32_e64 v3, s[0:1], v4, v3, s[0:1]
	v_lshlrev_b32_e32 v4, 3, v23
	v_add_co_u32_e64 v2, s[0:1], v2, v4
	v_addc_co_u32_e64 v3, s[0:1], 0, v3, s[0:1]
	s_cselect_b64 s[0:1], -1, 0
	s_and_b64 s[2:3], vcc, s[0:1]
	global_store_dwordx2 v[2:3], v[18:19], off
                                        ; implicit-def: $vgpr4_vgpr5
	s_and_saveexec_b64 s[0:1], s[2:3]
; %bb.122:
	v_add_co_u32_e32 v4, vcc, v0, v14
	v_addc_co_u32_e32 v5, vcc, 0, v1, vcc
	s_or_b64 s[8:9], s[8:9], exec
; %bb.123:
	s_or_b64 exec, exec, s[0:1]
.LBB97_124:
	s_and_saveexec_b64 s[0:1], s[8:9]
	s_cbranch_execnz .LBB97_126
; %bb.125:
	s_endpgm
.LBB97_126:
	v_lshlrev_b32_e32 v2, 3, v8
	ds_read_b64 v[2:3], v2
	v_lshlrev_b64 v[0:1], 3, v[8:9]
	v_mov_b32_e32 v6, s47
	v_add_co_u32_e32 v0, vcc, s46, v0
	v_addc_co_u32_e32 v1, vcc, v6, v1, vcc
	s_waitcnt lgkmcnt(0)
	v_add_co_u32_e32 v2, vcc, v2, v4
	v_addc_co_u32_e32 v3, vcc, v3, v5, vcc
	global_store_dwordx2 v[0:1], v[2:3], off
	s_endpgm
.LBB97_127:
	global_load_dwordx2 v[4:5], v[18:19], off
	s_or_b64 exec, exec, s[28:29]
                                        ; implicit-def: $vgpr6_vgpr7
	s_and_saveexec_b64 s[28:29], s[0:1]
	s_cbranch_execz .LBB97_59
.LBB97_128:
	global_load_dwordx2 v[6:7], v[18:19], off offset:512
	s_or_b64 exec, exec, s[28:29]
                                        ; implicit-def: $vgpr10_vgpr11
	s_and_saveexec_b64 s[0:1], s[2:3]
	s_cbranch_execz .LBB97_60
.LBB97_129:
	global_load_dwordx2 v[10:11], v[18:19], off offset:1024
	s_or_b64 exec, exec, s[0:1]
                                        ; implicit-def: $vgpr12_vgpr13
	s_and_saveexec_b64 s[0:1], s[26:27]
	s_cbranch_execz .LBB97_61
.LBB97_130:
	global_load_dwordx2 v[12:13], v[18:19], off offset:1536
	s_or_b64 exec, exec, s[0:1]
                                        ; implicit-def: $vgpr14_vgpr15
	s_and_saveexec_b64 s[0:1], s[8:9]
	s_cbranch_execz .LBB97_62
.LBB97_131:
	global_load_dwordx2 v[14:15], v[18:19], off offset:2048
	s_or_b64 exec, exec, s[0:1]
                                        ; implicit-def: $vgpr16_vgpr17
	s_and_saveexec_b64 s[0:1], s[10:11]
	s_cbranch_execnz .LBB97_63
	s_branch .LBB97_64
.LBB97_132:
	v_lshlrev_b32_e32 v5, 3, v35
	ds_read_b64 v[6:7], v5
	ds_read_b64 v[10:11], v4 offset:2048
	v_mov_b32_e32 v5, s43
	s_waitcnt lgkmcnt(1)
	v_lshlrev_b64 v[6:7], 3, v[6:7]
	v_add_co_u32_e32 v6, vcc, s42, v6
	v_addc_co_u32_e32 v5, vcc, v5, v7, vcc
	v_add_co_u32_e32 v6, vcc, v6, v4
	v_addc_co_u32_e32 v7, vcc, 0, v5, vcc
	s_waitcnt lgkmcnt(0)
	global_store_dwordx2 v[6:7], v[10:11], off
	s_or_b64 exec, exec, s[0:1]
	s_and_saveexec_b64 s[0:1], s[16:17]
	s_cbranch_execz .LBB97_78
.LBB97_133:
	v_lshlrev_b32_e32 v5, 3, v33
	ds_read_b64 v[6:7], v5
	ds_read_b64 v[10:11], v4 offset:6144
	v_mov_b32_e32 v5, s43
	s_waitcnt lgkmcnt(1)
	v_lshlrev_b64 v[6:7], 3, v[6:7]
	v_add_co_u32_e32 v6, vcc, s42, v6
	v_addc_co_u32_e32 v5, vcc, v5, v7, vcc
	v_lshlrev_b32_e32 v7, 3, v22
	v_add_co_u32_e32 v6, vcc, v6, v7
	v_addc_co_u32_e32 v7, vcc, 0, v5, vcc
	s_waitcnt lgkmcnt(0)
	global_store_dwordx2 v[6:7], v[10:11], off
	s_or_b64 exec, exec, s[0:1]
	s_and_saveexec_b64 s[0:1], s[18:19]
	s_cbranch_execz .LBB97_79
.LBB97_134:
	v_lshlrev_b32_e32 v5, 3, v34
	ds_read_b64 v[6:7], v5
	ds_read_b64 v[10:11], v4 offset:10240
	v_mov_b32_e32 v5, s43
	s_waitcnt lgkmcnt(1)
	v_lshlrev_b64 v[6:7], 3, v[6:7]
	v_add_co_u32_e32 v6, vcc, s42, v6
	v_addc_co_u32_e32 v5, vcc, v5, v7, vcc
	v_lshlrev_b32_e32 v7, 3, v29
	v_add_co_u32_e32 v6, vcc, v6, v7
	v_addc_co_u32_e32 v7, vcc, 0, v5, vcc
	s_waitcnt lgkmcnt(0)
	global_store_dwordx2 v[6:7], v[10:11], off
	s_or_b64 exec, exec, s[0:1]
	s_and_saveexec_b64 s[0:1], s[20:21]
	s_cbranch_execz .LBB97_80
.LBB97_135:
	v_lshlrev_b32_e32 v5, 3, v18
	ds_read_b64 v[6:7], v5
	ds_read_b64 v[10:11], v4 offset:14336
	v_mov_b32_e32 v5, s43
	s_waitcnt lgkmcnt(1)
	v_lshlrev_b64 v[6:7], 3, v[6:7]
	v_add_co_u32_e32 v6, vcc, s42, v6
	v_addc_co_u32_e32 v5, vcc, v5, v7, vcc
	v_lshlrev_b32_e32 v7, 3, v30
	v_add_co_u32_e32 v6, vcc, v6, v7
	v_addc_co_u32_e32 v7, vcc, 0, v5, vcc
	s_waitcnt lgkmcnt(0)
	global_store_dwordx2 v[6:7], v[10:11], off
	s_or_b64 exec, exec, s[0:1]
	s_and_saveexec_b64 s[0:1], s[22:23]
	s_cbranch_execz .LBB97_81
.LBB97_136:
	v_lshlrev_b32_e32 v5, 3, v19
	ds_read_b64 v[6:7], v5
	ds_read_b64 v[10:11], v4 offset:18432
	v_mov_b32_e32 v5, s43
	s_waitcnt lgkmcnt(1)
	v_lshlrev_b64 v[6:7], 3, v[6:7]
	v_add_co_u32_e32 v6, vcc, s42, v6
	v_addc_co_u32_e32 v5, vcc, v5, v7, vcc
	v_lshlrev_b32_e32 v7, 3, v31
	v_add_co_u32_e32 v6, vcc, v6, v7
	v_addc_co_u32_e32 v7, vcc, 0, v5, vcc
	s_waitcnt lgkmcnt(0)
	global_store_dwordx2 v[6:7], v[10:11], off
	s_or_b64 exec, exec, s[0:1]
	s_and_saveexec_b64 s[0:1], s[24:25]
	s_cbranch_execnz .LBB97_82
	s_branch .LBB97_83
	.section	.rodata,"a",@progbits
	.p2align	6, 0x0
	.amdhsa_kernel _ZN7rocprim17ROCPRIM_304000_NS6detail25onesweep_iteration_kernelINS1_34wrapped_radix_sort_onesweep_configINS0_14default_configEiN2at4cuda3cub6detail10OpaqueTypeILi8EEEEELb0EPiSC_PSA_SD_mNS0_19identity_decomposerEEEvT1_T2_T3_T4_jPT5_SK_PNS1_23onesweep_lookback_stateET6_jjj
		.amdhsa_group_segment_fixed_size 26624
		.amdhsa_private_segment_fixed_size 0
		.amdhsa_kernarg_size 336
		.amdhsa_user_sgpr_count 6
		.amdhsa_user_sgpr_private_segment_buffer 1
		.amdhsa_user_sgpr_dispatch_ptr 0
		.amdhsa_user_sgpr_queue_ptr 0
		.amdhsa_user_sgpr_kernarg_segment_ptr 1
		.amdhsa_user_sgpr_dispatch_id 0
		.amdhsa_user_sgpr_flat_scratch_init 0
		.amdhsa_user_sgpr_kernarg_preload_length 0
		.amdhsa_user_sgpr_kernarg_preload_offset 0
		.amdhsa_user_sgpr_private_segment_size 0
		.amdhsa_uses_dynamic_stack 0
		.amdhsa_system_sgpr_private_segment_wavefront_offset 0
		.amdhsa_system_sgpr_workgroup_id_x 1
		.amdhsa_system_sgpr_workgroup_id_y 0
		.amdhsa_system_sgpr_workgroup_id_z 0
		.amdhsa_system_sgpr_workgroup_info 0
		.amdhsa_system_vgpr_workitem_id 2
		.amdhsa_next_free_vgpr 50
		.amdhsa_next_free_sgpr 52
		.amdhsa_accum_offset 52
		.amdhsa_reserve_vcc 1
		.amdhsa_reserve_flat_scratch 0
		.amdhsa_float_round_mode_32 0
		.amdhsa_float_round_mode_16_64 0
		.amdhsa_float_denorm_mode_32 3
		.amdhsa_float_denorm_mode_16_64 3
		.amdhsa_dx10_clamp 1
		.amdhsa_ieee_mode 1
		.amdhsa_fp16_overflow 0
		.amdhsa_tg_split 0
		.amdhsa_exception_fp_ieee_invalid_op 0
		.amdhsa_exception_fp_denorm_src 0
		.amdhsa_exception_fp_ieee_div_zero 0
		.amdhsa_exception_fp_ieee_overflow 0
		.amdhsa_exception_fp_ieee_underflow 0
		.amdhsa_exception_fp_ieee_inexact 0
		.amdhsa_exception_int_div_zero 0
	.end_amdhsa_kernel
	.section	.text._ZN7rocprim17ROCPRIM_304000_NS6detail25onesweep_iteration_kernelINS1_34wrapped_radix_sort_onesweep_configINS0_14default_configEiN2at4cuda3cub6detail10OpaqueTypeILi8EEEEELb0EPiSC_PSA_SD_mNS0_19identity_decomposerEEEvT1_T2_T3_T4_jPT5_SK_PNS1_23onesweep_lookback_stateET6_jjj,"axG",@progbits,_ZN7rocprim17ROCPRIM_304000_NS6detail25onesweep_iteration_kernelINS1_34wrapped_radix_sort_onesweep_configINS0_14default_configEiN2at4cuda3cub6detail10OpaqueTypeILi8EEEEELb0EPiSC_PSA_SD_mNS0_19identity_decomposerEEEvT1_T2_T3_T4_jPT5_SK_PNS1_23onesweep_lookback_stateET6_jjj,comdat
.Lfunc_end97:
	.size	_ZN7rocprim17ROCPRIM_304000_NS6detail25onesweep_iteration_kernelINS1_34wrapped_radix_sort_onesweep_configINS0_14default_configEiN2at4cuda3cub6detail10OpaqueTypeILi8EEEEELb0EPiSC_PSA_SD_mNS0_19identity_decomposerEEEvT1_T2_T3_T4_jPT5_SK_PNS1_23onesweep_lookback_stateET6_jjj, .Lfunc_end97-_ZN7rocprim17ROCPRIM_304000_NS6detail25onesweep_iteration_kernelINS1_34wrapped_radix_sort_onesweep_configINS0_14default_configEiN2at4cuda3cub6detail10OpaqueTypeILi8EEEEELb0EPiSC_PSA_SD_mNS0_19identity_decomposerEEEvT1_T2_T3_T4_jPT5_SK_PNS1_23onesweep_lookback_stateET6_jjj
                                        ; -- End function
	.section	.AMDGPU.csdata,"",@progbits
; Kernel info:
; codeLenInByte = 11364
; NumSgprs: 56
; NumVgprs: 50
; NumAgprs: 0
; TotalNumVgprs: 50
; ScratchSize: 0
; MemoryBound: 0
; FloatMode: 240
; IeeeMode: 1
; LDSByteSize: 26624 bytes/workgroup (compile time only)
; SGPRBlocks: 6
; VGPRBlocks: 6
; NumSGPRsForWavesPerEU: 56
; NumVGPRsForWavesPerEU: 50
; AccumOffset: 52
; Occupancy: 4
; WaveLimiterHint : 1
; COMPUTE_PGM_RSRC2:SCRATCH_EN: 0
; COMPUTE_PGM_RSRC2:USER_SGPR: 6
; COMPUTE_PGM_RSRC2:TRAP_HANDLER: 0
; COMPUTE_PGM_RSRC2:TGID_X_EN: 1
; COMPUTE_PGM_RSRC2:TGID_Y_EN: 0
; COMPUTE_PGM_RSRC2:TGID_Z_EN: 0
; COMPUTE_PGM_RSRC2:TIDIG_COMP_CNT: 2
; COMPUTE_PGM_RSRC3_GFX90A:ACCUM_OFFSET: 12
; COMPUTE_PGM_RSRC3_GFX90A:TG_SPLIT: 0
	.section	.text._ZN7rocprim17ROCPRIM_304000_NS6detail28radix_sort_block_sort_kernelINS1_36wrapped_radix_sort_block_sort_configINS0_13kernel_configILj256ELj4ELj4294967295EEElN2at4cuda3cub6detail10OpaqueTypeILi8EEEEELb1EPKlPlPKSB_PSB_NS0_19identity_decomposerEEEvT1_T2_T3_T4_jT5_jj,"axG",@progbits,_ZN7rocprim17ROCPRIM_304000_NS6detail28radix_sort_block_sort_kernelINS1_36wrapped_radix_sort_block_sort_configINS0_13kernel_configILj256ELj4ELj4294967295EEElN2at4cuda3cub6detail10OpaqueTypeILi8EEEEELb1EPKlPlPKSB_PSB_NS0_19identity_decomposerEEEvT1_T2_T3_T4_jT5_jj,comdat
	.protected	_ZN7rocprim17ROCPRIM_304000_NS6detail28radix_sort_block_sort_kernelINS1_36wrapped_radix_sort_block_sort_configINS0_13kernel_configILj256ELj4ELj4294967295EEElN2at4cuda3cub6detail10OpaqueTypeILi8EEEEELb1EPKlPlPKSB_PSB_NS0_19identity_decomposerEEEvT1_T2_T3_T4_jT5_jj ; -- Begin function _ZN7rocprim17ROCPRIM_304000_NS6detail28radix_sort_block_sort_kernelINS1_36wrapped_radix_sort_block_sort_configINS0_13kernel_configILj256ELj4ELj4294967295EEElN2at4cuda3cub6detail10OpaqueTypeILi8EEEEELb1EPKlPlPKSB_PSB_NS0_19identity_decomposerEEEvT1_T2_T3_T4_jT5_jj
	.globl	_ZN7rocprim17ROCPRIM_304000_NS6detail28radix_sort_block_sort_kernelINS1_36wrapped_radix_sort_block_sort_configINS0_13kernel_configILj256ELj4ELj4294967295EEElN2at4cuda3cub6detail10OpaqueTypeILi8EEEEELb1EPKlPlPKSB_PSB_NS0_19identity_decomposerEEEvT1_T2_T3_T4_jT5_jj
	.p2align	8
	.type	_ZN7rocprim17ROCPRIM_304000_NS6detail28radix_sort_block_sort_kernelINS1_36wrapped_radix_sort_block_sort_configINS0_13kernel_configILj256ELj4ELj4294967295EEElN2at4cuda3cub6detail10OpaqueTypeILi8EEEEELb1EPKlPlPKSB_PSB_NS0_19identity_decomposerEEEvT1_T2_T3_T4_jT5_jj,@function
_ZN7rocprim17ROCPRIM_304000_NS6detail28radix_sort_block_sort_kernelINS1_36wrapped_radix_sort_block_sort_configINS0_13kernel_configILj256ELj4ELj4294967295EEElN2at4cuda3cub6detail10OpaqueTypeILi8EEEEELb1EPKlPlPKSB_PSB_NS0_19identity_decomposerEEEvT1_T2_T3_T4_jT5_jj: ; @_ZN7rocprim17ROCPRIM_304000_NS6detail28radix_sort_block_sort_kernelINS1_36wrapped_radix_sort_block_sort_configINS0_13kernel_configILj256ELj4ELj4294967295EEElN2at4cuda3cub6detail10OpaqueTypeILi8EEEEELb1EPKlPlPKSB_PSB_NS0_19identity_decomposerEEEvT1_T2_T3_T4_jT5_jj
; %bb.0:
	s_load_dword s7, s[4:5], 0x20
	s_load_dwordx8 s[36:43], s[4:5], 0x0
	s_lshl_b32 s0, s6, 10
	s_mov_b32 s1, 0
	v_mbcnt_lo_u32_b32 v1, -1, 0
	s_waitcnt lgkmcnt(0)
	s_lshr_b32 s2, s7, 10
	s_cmp_lg_u32 s6, s2
	s_cselect_b64 s[30:31], -1, 0
	s_lshl_b64 s[28:29], s[0:1], 3
	v_and_b32_e32 v10, 0x3ff, v0
	s_add_u32 s1, s36, s28
	v_mbcnt_hi_u32_b32 v1, -1, v1
	s_addc_u32 s3, s37, s29
	v_lshlrev_b32_e32 v11, 2, v10
	v_lshlrev_b32_e32 v18, 3, v1
	v_and_b32_e32 v15, 0x300, v11
	v_mov_b32_e32 v2, s3
	v_add_co_u32_e32 v3, vcc, s1, v18
	v_addc_co_u32_e32 v2, vcc, 0, v2, vcc
	v_lshlrev_b32_e32 v19, 3, v15
	v_add_co_u32_e32 v12, vcc, v3, v19
	s_cmp_eq_u32 s6, s2
	v_addc_co_u32_e32 v13, vcc, 0, v2, vcc
	v_add_u32_e32 v14, v1, v15
	s_cbranch_scc1 .LBB98_2
; %bb.1:
	s_add_u32 s1, s40, s28
	s_addc_u32 s2, s41, s29
	v_mov_b32_e32 v16, s2
	v_add_co_u32_e32 v17, vcc, s1, v18
	v_addc_co_u32_e32 v20, vcc, 0, v16, vcc
	v_add_co_u32_e32 v16, vcc, v17, v19
	v_addc_co_u32_e32 v17, vcc, 0, v20, vcc
	global_load_dwordx2 v[2:3], v[12:13], off
	global_load_dwordx2 v[4:5], v[12:13], off offset:512
	global_load_dwordx2 v[6:7], v[12:13], off offset:1024
	;; [unrolled: 1-line block ×3, first 2 shown]
	global_load_dwordx2 v[28:29], v[16:17], off
	global_load_dwordx2 v[30:31], v[16:17], off offset:512
	global_load_dwordx2 v[32:33], v[16:17], off offset:1024
	;; [unrolled: 1-line block ×3, first 2 shown]
	v_add_u32_e32 v20, v1, v15
	v_add_u32_e32 v15, 64, v20
	;; [unrolled: 1-line block ×4, first 2 shown]
	s_sub_i32 s33, s7, s0
	s_cbranch_execz .LBB98_3
	s_branch .LBB98_17
.LBB98_2:
                                        ; implicit-def: $vgpr2_vgpr3_vgpr4_vgpr5_vgpr6_vgpr7_vgpr8_vgpr9
                                        ; implicit-def: $vgpr28_vgpr29
                                        ; implicit-def: $vgpr30_vgpr31
                                        ; implicit-def: $vgpr32_vgpr33
                                        ; implicit-def: $vgpr34_vgpr35
                                        ; implicit-def: $vgpr20
                                        ; implicit-def: $vgpr15
                                        ; implicit-def: $vgpr16
                                        ; implicit-def: $vgpr17
	s_sub_i32 s33, s7, s0
.LBB98_3:
	s_brev_b32 s9, 1
	s_mov_b32 s8, 0
	s_mov_b32 s10, s8
	;; [unrolled: 1-line block ×7, first 2 shown]
	s_waitcnt vmcnt(4)
	v_pk_mov_b32 v[2:3], s[8:9], s[8:9] op_sel:[0,1]
	v_cmp_gt_u32_e32 vcc, s33, v14
	v_pk_mov_b32 v[4:5], s[10:11], s[10:11] op_sel:[0,1]
	v_pk_mov_b32 v[6:7], s[12:13], s[12:13] op_sel:[0,1]
	;; [unrolled: 1-line block ×3, first 2 shown]
	s_and_saveexec_b64 s[0:1], vcc
	s_cbranch_execz .LBB98_5
; %bb.4:
	global_load_dwordx2 v[2:3], v[12:13], off
	v_mov_b32_e32 v4, 0
	v_bfrev_b32_e32 v5, 1
	v_mov_b32_e32 v6, v4
	v_mov_b32_e32 v7, v5
	;; [unrolled: 1-line block ×4, first 2 shown]
.LBB98_5:
	s_or_b64 exec, exec, s[0:1]
	v_add_u32_e32 v15, 64, v14
	v_cmp_gt_u32_e64 s[0:1], s33, v15
	s_and_saveexec_b64 s[2:3], s[0:1]
	s_cbranch_execz .LBB98_7
; %bb.6:
	global_load_dwordx2 v[4:5], v[12:13], off offset:512
.LBB98_7:
	s_or_b64 exec, exec, s[2:3]
	v_add_u32_e32 v16, 0x80, v14
	v_cmp_gt_u32_e64 s[2:3], s33, v16
	s_and_saveexec_b64 s[6:7], s[2:3]
	s_cbranch_execz .LBB98_9
; %bb.8:
	global_load_dwordx2 v[6:7], v[12:13], off offset:1024
.LBB98_9:
	s_or_b64 exec, exec, s[6:7]
	v_add_u32_e32 v17, 0xc0, v14
	v_cmp_gt_u32_e64 s[6:7], s33, v17
	s_and_saveexec_b64 s[8:9], s[6:7]
	s_cbranch_execz .LBB98_11
; %bb.10:
	global_load_dwordx2 v[8:9], v[12:13], off offset:1536
.LBB98_11:
	s_or_b64 exec, exec, s[8:9]
	s_add_u32 s8, s40, s28
	s_addc_u32 s9, s41, s29
	v_mov_b32_e32 v12, s9
	v_add_co_u32_e64 v13, s[8:9], s8, v18
	v_addc_co_u32_e64 v18, s[8:9], 0, v12, s[8:9]
	v_add_co_u32_e64 v12, s[8:9], v13, v19
	v_addc_co_u32_e64 v13, s[8:9], 0, v18, s[8:9]
                                        ; implicit-def: $vgpr28_vgpr29
	s_and_saveexec_b64 s[8:9], vcc
	s_cbranch_execnz .LBB98_54
; %bb.12:
	s_or_b64 exec, exec, s[8:9]
                                        ; implicit-def: $vgpr30_vgpr31
	s_and_saveexec_b64 s[8:9], s[0:1]
	s_cbranch_execnz .LBB98_55
.LBB98_13:
	s_or_b64 exec, exec, s[8:9]
                                        ; implicit-def: $vgpr32_vgpr33
	s_and_saveexec_b64 s[0:1], s[2:3]
	s_cbranch_execnz .LBB98_56
.LBB98_14:
	s_or_b64 exec, exec, s[0:1]
                                        ; implicit-def: $vgpr34_vgpr35
	s_and_saveexec_b64 s[0:1], s[6:7]
	s_cbranch_execz .LBB98_16
.LBB98_15:
	global_load_dwordx2 v[34:35], v[12:13], off offset:1536
.LBB98_16:
	s_or_b64 exec, exec, s[0:1]
	v_mov_b32_e32 v20, v14
.LBB98_17:
	s_load_dwordx2 s[34:35], s[4:5], 0x28
	s_load_dword s0, s[4:5], 0x3c
	s_waitcnt vmcnt(0)
	v_xor_b32_e32 v36, -1, v4
	v_bfe_u32 v4, v0, 10, 10
	v_bfe_u32 v0, v0, 20, 10
	v_xor_b32_e32 v37, 0x7fffffff, v5
	s_waitcnt lgkmcnt(0)
	s_lshr_b32 s1, s0, 16
	s_and_b32 s0, s0, 0xffff
	v_mad_u32_u24 v0, v0, s1, v4
	v_mad_u64_u32 v[4:5], s[0:1], v0, s0, v[10:11]
	v_and_b32_e32 v0, 15, v1
	v_cmp_eq_u32_e64 s[0:1], 0, v0
	v_cmp_lt_u32_e64 s[2:3], 1, v0
	v_cmp_lt_u32_e64 s[4:5], 3, v0
	;; [unrolled: 1-line block ×3, first 2 shown]
	v_and_b32_e32 v0, 16, v1
	v_cmp_eq_u32_e64 s[8:9], 0, v0
	v_and_b32_e32 v0, 0x3c0, v10
	v_min_u32_e32 v0, 0xc0, v0
	v_or_b32_e32 v0, 63, v0
	v_lshrrev_b32_e32 v42, 6, v4
	v_cmp_eq_u32_e64 s[12:13], v0, v10
	v_add_u32_e32 v0, -1, v1
	v_and_b32_e32 v4, 64, v1
	v_cmp_lt_i32_e32 vcc, v0, v4
	v_cndmask_b32_e32 v0, v0, v1, vcc
	s_mov_b32 s26, 0
	v_lshlrev_b32_e32 v43, 2, v0
	v_lshrrev_b32_e32 v0, 4, v10
	v_lshlrev_b32_e32 v11, 2, v11
	v_cmp_lt_u32_e64 s[10:11], 31, v1
	v_cmp_eq_u32_e64 s[18:19], 0, v1
	v_and_b32_e32 v44, 60, v0
	v_mul_i32_i24_e32 v0, -12, v10
	v_and_b32_e32 v1, 3, v1
	s_mov_b32 s27, s26
	s_mov_b32 s40, s26
	;; [unrolled: 1-line block ×3, first 2 shown]
	v_xor_b32_e32 v3, 0x7fffffff, v3
	v_xor_b32_e32 v2, -1, v2
	s_add_i32 s36, s35, s34
	v_xor_b32_e32 v39, 0x7fffffff, v7
	v_xor_b32_e32 v38, -1, v6
	v_xor_b32_e32 v41, 0x7fffffff, v9
	v_xor_b32_e32 v40, -1, v8
	v_cmp_gt_u32_e64 s[14:15], 4, v10
	v_cmp_lt_u32_e64 s[16:17], 63, v10
	v_cmp_eq_u32_e64 s[20:21], 0, v10
	v_cmp_eq_u32_e64 s[22:23], 0, v1
	v_cmp_lt_u32_e64 s[24:25], 1, v1
	v_add_u32_e32 v45, -4, v44
	v_lshlrev_b32_e32 v46, 3, v20
	v_lshlrev_b32_e32 v47, 3, v15
	;; [unrolled: 1-line block ×4, first 2 shown]
	v_pk_mov_b32 v[14:15], s[26:27], s[26:27] op_sel:[0,1]
	v_add_u32_e32 v50, v11, v0
	v_pk_mov_b32 v[16:17], s[40:41], s[40:41] op_sel:[0,1]
	v_mov_b32_e32 v18, 0
	s_branch .LBB98_19
.LBB98_18:                              ;   in Loop: Header=BB98_19 Depth=1
	s_barrier
	ds_write_b64 v0, v[26:27]
	ds_write_b64 v1, v[24:25]
	;; [unrolled: 1-line block ×4, first 2 shown]
	s_waitcnt lgkmcnt(0)
	s_barrier
	ds_read_b64 v[2:3], v46
	ds_read_b64 v[36:37], v47
	;; [unrolled: 1-line block ×4, first 2 shown]
	s_waitcnt lgkmcnt(0)
	s_barrier
	ds_write_b64 v0, v[12:13]
	ds_write_b64 v1, v[8:9]
	;; [unrolled: 1-line block ×4, first 2 shown]
	s_waitcnt lgkmcnt(0)
	s_barrier
	ds_read_b64 v[28:29], v46
	ds_read_b64 v[30:31], v47
	;; [unrolled: 1-line block ×4, first 2 shown]
	s_add_i32 s35, s35, -8
	s_waitcnt lgkmcnt(0)
	s_barrier
	s_cbranch_execz .LBB98_35
.LBB98_19:                              ; =>This Inner Loop Header: Depth=1
	s_min_u32 s26, s35, 8
	v_pk_mov_b32 v[26:27], v[2:3], v[2:3] op_sel:[0,1]
	s_lshl_b32 s26, -1, s26
	s_not_b32 s37, s26
	v_lshrrev_b64 v[0:1], s34, v[26:27]
	v_and_b32_e32 v0, s37, v0
	v_lshl_add_u32 v1, v0, 2, v42
	v_pk_mov_b32 v[12:13], v[28:29], v[28:29] op_sel:[0,1]
	v_lshl_add_u32 v28, v1, 2, 16
	v_and_b32_e32 v1, 1, v0
	v_add_co_u32_e32 v2, vcc, -1, v1
	v_addc_co_u32_e64 v3, s[26:27], 0, -1, vcc
	v_cmp_ne_u32_e32 vcc, 0, v1
	v_lshlrev_b32_e32 v19, 30, v0
	v_xor_b32_e32 v1, vcc_hi, v3
	v_not_b32_e32 v3, v19
	v_xor_b32_e32 v2, vcc_lo, v2
	v_cmp_gt_i64_e32 vcc, 0, v[18:19]
	v_ashrrev_i32_e32 v3, 31, v3
	v_and_b32_e32 v1, exec_hi, v1
	v_xor_b32_e32 v19, vcc_hi, v3
	v_and_b32_e32 v2, exec_lo, v2
	v_xor_b32_e32 v3, vcc_lo, v3
	v_and_b32_e32 v1, v1, v19
	v_lshlrev_b32_e32 v19, 29, v0
	v_and_b32_e32 v2, v2, v3
	v_not_b32_e32 v3, v19
	v_cmp_gt_i64_e32 vcc, 0, v[18:19]
	v_ashrrev_i32_e32 v3, 31, v3
	v_xor_b32_e32 v19, vcc_hi, v3
	v_xor_b32_e32 v3, vcc_lo, v3
	v_and_b32_e32 v1, v1, v19
	v_lshlrev_b32_e32 v19, 28, v0
	v_and_b32_e32 v2, v2, v3
	v_not_b32_e32 v3, v19
	v_cmp_gt_i64_e32 vcc, 0, v[18:19]
	v_ashrrev_i32_e32 v3, 31, v3
	v_xor_b32_e32 v19, vcc_hi, v3
	;; [unrolled: 8-line block ×5, first 2 shown]
	v_and_b32_e32 v1, v1, v19
	v_lshlrev_b32_e32 v19, 24, v0
	v_not_b32_e32 v0, v19
	v_xor_b32_e32 v3, vcc_lo, v3
	v_cmp_gt_i64_e32 vcc, 0, v[18:19]
	v_ashrrev_i32_e32 v0, 31, v0
	v_and_b32_e32 v2, v2, v3
	v_xor_b32_e32 v3, vcc_hi, v0
	v_xor_b32_e32 v0, vcc_lo, v0
	v_and_b32_e32 v0, v2, v0
	v_and_b32_e32 v1, v1, v3
	v_mbcnt_lo_u32_b32 v2, v0, 0
	v_mbcnt_hi_u32_b32 v29, v1, v2
	v_cmp_eq_u32_e32 vcc, 0, v29
	v_cmp_ne_u64_e64 s[26:27], 0, v[0:1]
	v_pk_mov_b32 v[20:21], v[40:41], v[40:41] op_sel:[0,1]
	v_pk_mov_b32 v[22:23], v[38:39], v[38:39] op_sel:[0,1]
	;; [unrolled: 1-line block ×6, first 2 shown]
	s_and_b64 s[40:41], s[26:27], vcc
	ds_write2_b64 v11, v[14:15], v[16:17] offset0:2 offset1:3
	s_waitcnt lgkmcnt(0)
	s_barrier
	s_waitcnt lgkmcnt(0)
	; wave barrier
	s_and_saveexec_b64 s[26:27], s[40:41]
	s_cbranch_execz .LBB98_21
; %bb.20:                               ;   in Loop: Header=BB98_19 Depth=1
	v_bcnt_u32_b32 v0, v0, 0
	v_bcnt_u32_b32 v0, v1, v0
	ds_write_b32 v28, v0
.LBB98_21:                              ;   in Loop: Header=BB98_19 Depth=1
	s_or_b64 exec, exec, s[26:27]
	v_lshrrev_b64 v[0:1], s34, v[24:25]
	v_and_b32_e32 v0, s37, v0
	v_lshlrev_b32_e32 v1, 2, v0
	v_add_lshl_u32 v1, v1, v42, 2
	; wave barrier
	v_add_u32_e32 v31, 16, v1
	ds_read_b32 v30, v1 offset:16
	v_and_b32_e32 v1, 1, v0
	v_add_co_u32_e32 v2, vcc, -1, v1
	v_addc_co_u32_e64 v3, s[26:27], 0, -1, vcc
	v_cmp_ne_u32_e32 vcc, 0, v1
	v_lshlrev_b32_e32 v19, 30, v0
	v_xor_b32_e32 v1, vcc_hi, v3
	v_not_b32_e32 v3, v19
	v_xor_b32_e32 v2, vcc_lo, v2
	v_cmp_gt_i64_e32 vcc, 0, v[18:19]
	v_ashrrev_i32_e32 v3, 31, v3
	v_and_b32_e32 v1, exec_hi, v1
	v_xor_b32_e32 v19, vcc_hi, v3
	v_and_b32_e32 v2, exec_lo, v2
	v_xor_b32_e32 v3, vcc_lo, v3
	v_and_b32_e32 v1, v1, v19
	v_lshlrev_b32_e32 v19, 29, v0
	v_and_b32_e32 v2, v2, v3
	v_not_b32_e32 v3, v19
	v_cmp_gt_i64_e32 vcc, 0, v[18:19]
	v_ashrrev_i32_e32 v3, 31, v3
	v_xor_b32_e32 v19, vcc_hi, v3
	v_xor_b32_e32 v3, vcc_lo, v3
	v_and_b32_e32 v1, v1, v19
	v_lshlrev_b32_e32 v19, 28, v0
	v_and_b32_e32 v2, v2, v3
	v_not_b32_e32 v3, v19
	v_cmp_gt_i64_e32 vcc, 0, v[18:19]
	v_ashrrev_i32_e32 v3, 31, v3
	v_xor_b32_e32 v19, vcc_hi, v3
	v_xor_b32_e32 v3, vcc_lo, v3
	v_and_b32_e32 v1, v1, v19
	v_lshlrev_b32_e32 v19, 27, v0
	v_and_b32_e32 v2, v2, v3
	v_not_b32_e32 v3, v19
	v_cmp_gt_i64_e32 vcc, 0, v[18:19]
	v_ashrrev_i32_e32 v3, 31, v3
	v_xor_b32_e32 v19, vcc_hi, v3
	v_xor_b32_e32 v3, vcc_lo, v3
	v_and_b32_e32 v1, v1, v19
	v_lshlrev_b32_e32 v19, 26, v0
	v_and_b32_e32 v2, v2, v3
	v_not_b32_e32 v3, v19
	v_cmp_gt_i64_e32 vcc, 0, v[18:19]
	v_ashrrev_i32_e32 v3, 31, v3
	v_xor_b32_e32 v19, vcc_hi, v3
	v_xor_b32_e32 v3, vcc_lo, v3
	v_and_b32_e32 v1, v1, v19
	v_lshlrev_b32_e32 v19, 25, v0
	v_and_b32_e32 v2, v2, v3
	v_not_b32_e32 v3, v19
	v_cmp_gt_i64_e32 vcc, 0, v[18:19]
	v_ashrrev_i32_e32 v3, 31, v3
	v_xor_b32_e32 v19, vcc_hi, v3
	v_and_b32_e32 v1, v1, v19
	v_lshlrev_b32_e32 v19, 24, v0
	v_not_b32_e32 v0, v19
	v_xor_b32_e32 v3, vcc_lo, v3
	v_cmp_gt_i64_e32 vcc, 0, v[18:19]
	v_ashrrev_i32_e32 v0, 31, v0
	v_and_b32_e32 v2, v2, v3
	v_xor_b32_e32 v3, vcc_hi, v0
	v_xor_b32_e32 v0, vcc_lo, v0
	v_and_b32_e32 v0, v2, v0
	v_and_b32_e32 v1, v1, v3
	v_mbcnt_lo_u32_b32 v2, v0, 0
	v_mbcnt_hi_u32_b32 v32, v1, v2
	v_cmp_eq_u32_e32 vcc, 0, v32
	v_cmp_ne_u64_e64 s[26:27], 0, v[0:1]
	s_and_b64 s[40:41], s[26:27], vcc
	; wave barrier
	s_and_saveexec_b64 s[26:27], s[40:41]
	s_cbranch_execz .LBB98_23
; %bb.22:                               ;   in Loop: Header=BB98_19 Depth=1
	v_bcnt_u32_b32 v0, v0, 0
	v_bcnt_u32_b32 v0, v1, v0
	s_waitcnt lgkmcnt(0)
	v_add_u32_e32 v0, v30, v0
	ds_write_b32 v31, v0
.LBB98_23:                              ;   in Loop: Header=BB98_19 Depth=1
	s_or_b64 exec, exec, s[26:27]
	v_lshrrev_b64 v[0:1], s34, v[22:23]
	v_and_b32_e32 v0, s37, v0
	v_lshlrev_b32_e32 v1, 2, v0
	v_add_lshl_u32 v1, v1, v42, 2
	; wave barrier
	v_add_u32_e32 v34, 16, v1
	ds_read_b32 v33, v1 offset:16
	v_and_b32_e32 v1, 1, v0
	v_add_co_u32_e32 v2, vcc, -1, v1
	v_addc_co_u32_e64 v3, s[26:27], 0, -1, vcc
	v_cmp_ne_u32_e32 vcc, 0, v1
	v_lshlrev_b32_e32 v19, 30, v0
	v_xor_b32_e32 v1, vcc_hi, v3
	v_not_b32_e32 v3, v19
	v_xor_b32_e32 v2, vcc_lo, v2
	v_cmp_gt_i64_e32 vcc, 0, v[18:19]
	v_ashrrev_i32_e32 v3, 31, v3
	v_and_b32_e32 v1, exec_hi, v1
	v_xor_b32_e32 v19, vcc_hi, v3
	v_and_b32_e32 v2, exec_lo, v2
	v_xor_b32_e32 v3, vcc_lo, v3
	v_and_b32_e32 v1, v1, v19
	v_lshlrev_b32_e32 v19, 29, v0
	v_and_b32_e32 v2, v2, v3
	v_not_b32_e32 v3, v19
	v_cmp_gt_i64_e32 vcc, 0, v[18:19]
	v_ashrrev_i32_e32 v3, 31, v3
	v_xor_b32_e32 v19, vcc_hi, v3
	v_xor_b32_e32 v3, vcc_lo, v3
	v_and_b32_e32 v1, v1, v19
	v_lshlrev_b32_e32 v19, 28, v0
	v_and_b32_e32 v2, v2, v3
	v_not_b32_e32 v3, v19
	v_cmp_gt_i64_e32 vcc, 0, v[18:19]
	v_ashrrev_i32_e32 v3, 31, v3
	v_xor_b32_e32 v19, vcc_hi, v3
	;; [unrolled: 8-line block ×5, first 2 shown]
	v_and_b32_e32 v1, v1, v19
	v_lshlrev_b32_e32 v19, 24, v0
	v_not_b32_e32 v0, v19
	v_xor_b32_e32 v3, vcc_lo, v3
	v_cmp_gt_i64_e32 vcc, 0, v[18:19]
	v_ashrrev_i32_e32 v0, 31, v0
	v_and_b32_e32 v2, v2, v3
	v_xor_b32_e32 v3, vcc_hi, v0
	v_xor_b32_e32 v0, vcc_lo, v0
	v_and_b32_e32 v0, v2, v0
	v_and_b32_e32 v1, v1, v3
	v_mbcnt_lo_u32_b32 v2, v0, 0
	v_mbcnt_hi_u32_b32 v35, v1, v2
	v_cmp_eq_u32_e32 vcc, 0, v35
	v_cmp_ne_u64_e64 s[26:27], 0, v[0:1]
	s_and_b64 s[40:41], s[26:27], vcc
	; wave barrier
	s_and_saveexec_b64 s[26:27], s[40:41]
	s_cbranch_execz .LBB98_25
; %bb.24:                               ;   in Loop: Header=BB98_19 Depth=1
	v_bcnt_u32_b32 v0, v0, 0
	v_bcnt_u32_b32 v0, v1, v0
	s_waitcnt lgkmcnt(0)
	v_add_u32_e32 v0, v33, v0
	ds_write_b32 v34, v0
.LBB98_25:                              ;   in Loop: Header=BB98_19 Depth=1
	s_or_b64 exec, exec, s[26:27]
	v_lshrrev_b64 v[0:1], s34, v[20:21]
	v_and_b32_e32 v0, s37, v0
	v_lshlrev_b32_e32 v1, 2, v0
	v_add_lshl_u32 v1, v1, v42, 2
	; wave barrier
	v_add_u32_e32 v37, 16, v1
	ds_read_b32 v36, v1 offset:16
	v_and_b32_e32 v1, 1, v0
	v_add_co_u32_e32 v2, vcc, -1, v1
	v_addc_co_u32_e64 v3, s[26:27], 0, -1, vcc
	v_cmp_ne_u32_e32 vcc, 0, v1
	v_lshlrev_b32_e32 v19, 30, v0
	v_xor_b32_e32 v1, vcc_hi, v3
	v_not_b32_e32 v3, v19
	v_xor_b32_e32 v2, vcc_lo, v2
	v_cmp_gt_i64_e32 vcc, 0, v[18:19]
	v_ashrrev_i32_e32 v3, 31, v3
	v_and_b32_e32 v1, exec_hi, v1
	v_xor_b32_e32 v19, vcc_hi, v3
	v_and_b32_e32 v2, exec_lo, v2
	v_xor_b32_e32 v3, vcc_lo, v3
	v_and_b32_e32 v1, v1, v19
	v_lshlrev_b32_e32 v19, 29, v0
	v_and_b32_e32 v2, v2, v3
	v_not_b32_e32 v3, v19
	v_cmp_gt_i64_e32 vcc, 0, v[18:19]
	v_ashrrev_i32_e32 v3, 31, v3
	v_xor_b32_e32 v19, vcc_hi, v3
	v_xor_b32_e32 v3, vcc_lo, v3
	v_and_b32_e32 v1, v1, v19
	v_lshlrev_b32_e32 v19, 28, v0
	v_and_b32_e32 v2, v2, v3
	v_not_b32_e32 v3, v19
	v_cmp_gt_i64_e32 vcc, 0, v[18:19]
	v_ashrrev_i32_e32 v3, 31, v3
	v_xor_b32_e32 v19, vcc_hi, v3
	;; [unrolled: 8-line block ×5, first 2 shown]
	v_and_b32_e32 v1, v1, v19
	v_lshlrev_b32_e32 v19, 24, v0
	v_not_b32_e32 v0, v19
	v_xor_b32_e32 v3, vcc_lo, v3
	v_cmp_gt_i64_e32 vcc, 0, v[18:19]
	v_ashrrev_i32_e32 v0, 31, v0
	v_and_b32_e32 v2, v2, v3
	v_xor_b32_e32 v3, vcc_hi, v0
	v_xor_b32_e32 v0, vcc_lo, v0
	v_and_b32_e32 v0, v2, v0
	v_and_b32_e32 v1, v1, v3
	v_mbcnt_lo_u32_b32 v2, v0, 0
	v_mbcnt_hi_u32_b32 v19, v1, v2
	v_cmp_eq_u32_e32 vcc, 0, v19
	v_cmp_ne_u64_e64 s[26:27], 0, v[0:1]
	s_and_b64 s[40:41], s[26:27], vcc
	; wave barrier
	s_and_saveexec_b64 s[26:27], s[40:41]
	s_cbranch_execz .LBB98_27
; %bb.26:                               ;   in Loop: Header=BB98_19 Depth=1
	v_bcnt_u32_b32 v0, v0, 0
	v_bcnt_u32_b32 v0, v1, v0
	s_waitcnt lgkmcnt(0)
	v_add_u32_e32 v0, v36, v0
	ds_write_b32 v37, v0
.LBB98_27:                              ;   in Loop: Header=BB98_19 Depth=1
	s_or_b64 exec, exec, s[26:27]
	; wave barrier
	s_waitcnt lgkmcnt(0)
	s_barrier
	ds_read2_b64 v[0:3], v11 offset0:2 offset1:3
	s_waitcnt lgkmcnt(0)
	v_add_u32_e32 v38, v1, v0
	v_add3_u32 v3, v38, v2, v3
	s_nop 1
	v_mov_b32_dpp v38, v3 row_shr:1 row_mask:0xf bank_mask:0xf
	v_cndmask_b32_e64 v38, v38, 0, s[0:1]
	v_add_u32_e32 v3, v38, v3
	s_nop 1
	v_mov_b32_dpp v38, v3 row_shr:2 row_mask:0xf bank_mask:0xf
	v_cndmask_b32_e64 v38, 0, v38, s[2:3]
	v_add_u32_e32 v3, v3, v38
	s_nop 1
	v_mov_b32_dpp v38, v3 row_shr:4 row_mask:0xf bank_mask:0xf
	v_cndmask_b32_e64 v38, 0, v38, s[4:5]
	v_add_u32_e32 v3, v3, v38
	s_nop 1
	v_mov_b32_dpp v38, v3 row_shr:8 row_mask:0xf bank_mask:0xf
	v_cndmask_b32_e64 v38, 0, v38, s[6:7]
	v_add_u32_e32 v3, v3, v38
	s_nop 1
	v_mov_b32_dpp v38, v3 row_bcast:15 row_mask:0xf bank_mask:0xf
	v_cndmask_b32_e64 v38, v38, 0, s[8:9]
	v_add_u32_e32 v3, v3, v38
	s_nop 1
	v_mov_b32_dpp v38, v3 row_bcast:31 row_mask:0xf bank_mask:0xf
	v_cndmask_b32_e64 v38, 0, v38, s[10:11]
	v_add_u32_e32 v3, v3, v38
	s_and_saveexec_b64 s[26:27], s[12:13]
	s_cbranch_execz .LBB98_29
; %bb.28:                               ;   in Loop: Header=BB98_19 Depth=1
	ds_write_b32 v44, v3
.LBB98_29:                              ;   in Loop: Header=BB98_19 Depth=1
	s_or_b64 exec, exec, s[26:27]
	s_waitcnt lgkmcnt(0)
	s_barrier
	s_and_saveexec_b64 s[26:27], s[14:15]
	s_cbranch_execz .LBB98_31
; %bb.30:                               ;   in Loop: Header=BB98_19 Depth=1
	ds_read_b32 v38, v50
	s_waitcnt lgkmcnt(0)
	s_nop 0
	v_mov_b32_dpp v39, v38 row_shr:1 row_mask:0xf bank_mask:0xf
	v_cndmask_b32_e64 v39, v39, 0, s[22:23]
	v_add_u32_e32 v38, v39, v38
	s_nop 1
	v_mov_b32_dpp v39, v38 row_shr:2 row_mask:0xf bank_mask:0xf
	v_cndmask_b32_e64 v39, 0, v39, s[24:25]
	v_add_u32_e32 v38, v38, v39
	ds_write_b32 v50, v38
.LBB98_31:                              ;   in Loop: Header=BB98_19 Depth=1
	s_or_b64 exec, exec, s[26:27]
	v_mov_b32_e32 v38, 0
	s_waitcnt lgkmcnt(0)
	s_barrier
	s_and_saveexec_b64 s[26:27], s[16:17]
	s_cbranch_execz .LBB98_33
; %bb.32:                               ;   in Loop: Header=BB98_19 Depth=1
	ds_read_b32 v38, v45
.LBB98_33:                              ;   in Loop: Header=BB98_19 Depth=1
	s_or_b64 exec, exec, s[26:27]
	s_waitcnt lgkmcnt(0)
	v_add_u32_e32 v3, v38, v3
	ds_bpermute_b32 v3, v43, v3
	s_add_i32 s34, s34, 8
	s_cmp_ge_u32 s34, s36
	s_waitcnt lgkmcnt(0)
	v_cndmask_b32_e64 v3, v3, v38, s[18:19]
	v_cndmask_b32_e64 v38, v3, 0, s[20:21]
	v_add_u32_e32 v39, v38, v0
	v_add_u32_e32 v0, v39, v1
	;; [unrolled: 1-line block ×3, first 2 shown]
	ds_write2_b64 v11, v[38:39], v[0:1] offset0:2 offset1:3
	s_waitcnt lgkmcnt(0)
	s_barrier
	ds_read_b32 v0, v28
	ds_read_b32 v1, v31
	;; [unrolled: 1-line block ×4, first 2 shown]
	v_lshlrev_b32_e32 v28, 3, v29
	s_waitcnt lgkmcnt(3)
	v_lshl_add_u32 v0, v0, 3, v28
	v_lshlrev_b32_e32 v28, 3, v32
	v_lshlrev_b32_e32 v29, 3, v30
	s_waitcnt lgkmcnt(2)
	v_lshlrev_b32_e32 v1, 3, v1
	v_add3_u32 v1, v28, v29, v1
	v_lshlrev_b32_e32 v28, 3, v35
	v_lshlrev_b32_e32 v29, 3, v33
	s_waitcnt lgkmcnt(1)
	v_lshlrev_b32_e32 v2, 3, v2
	v_add3_u32 v51, v28, v29, v2
	;; [unrolled: 5-line block ×3, first 2 shown]
	s_cbranch_scc0 .LBB98_18
; %bb.34:
                                        ; implicit-def: $vgpr40_vgpr41
                                        ; implicit-def: $vgpr38_vgpr39
                                        ; implicit-def: $vgpr36_vgpr37
                                        ; implicit-def: $vgpr2_vgpr3
                                        ; implicit-def: $sgpr34
                                        ; implicit-def: $vgpr28_vgpr29
                                        ; implicit-def: $vgpr30_vgpr31
                                        ; implicit-def: $vgpr32_vgpr33
                                        ; implicit-def: $vgpr34_vgpr35
.LBB98_35:
	v_lshlrev_b32_e32 v11, 3, v10
	s_barrier
	ds_write_b64 v0, v[26:27]
	ds_write_b64 v1, v[24:25]
	;; [unrolled: 1-line block ×4, first 2 shown]
	s_waitcnt lgkmcnt(0)
	s_barrier
	ds_read2st64_b64 v[14:17], v11 offset1:4
	ds_read2st64_b64 v[20:23], v11 offset0:8 offset1:12
	s_waitcnt lgkmcnt(0)
	s_barrier
	ds_write_b64 v0, v[12:13]
	ds_write_b64 v1, v[8:9]
	;; [unrolled: 1-line block ×4, first 2 shown]
	s_waitcnt lgkmcnt(0)
	s_barrier
	ds_read2st64_b64 v[4:7], v11 offset1:4
	ds_read2st64_b64 v[0:3], v11 offset0:8 offset1:12
	s_add_u32 s0, s38, s28
	s_addc_u32 s1, s39, s29
	v_xor_b32_e32 v19, 0x7fffffff, v15
	v_xor_b32_e32 v18, -1, v14
	v_mov_b32_e32 v15, s1
	v_add_co_u32_e64 v14, s[0:1], s0, v11
	v_xor_b32_e32 v17, 0x7fffffff, v17
	v_xor_b32_e32 v16, -1, v16
	v_xor_b32_e32 v13, 0x7fffffff, v21
	v_xor_b32_e32 v12, -1, v20
	;; [unrolled: 2-line block ×3, first 2 shown]
	s_andn2_b64 vcc, exec, s[30:31]
	v_addc_co_u32_e64 v15, s[0:1], 0, v15, s[0:1]
	s_cbranch_vccnz .LBB98_37
; %bb.36:
	v_add_co_u32_e32 v20, vcc, 0x1000, v14
	s_add_u32 s0, s42, s28
	v_addc_co_u32_e32 v21, vcc, 0, v15, vcc
	s_addc_u32 s1, s43, s29
	global_store_dwordx2 v[14:15], v[18:19], off
	global_store_dwordx2 v[14:15], v[16:17], off offset:2048
	global_store_dwordx2 v[20:21], v[12:13], off
	global_store_dwordx2 v[20:21], v[8:9], off offset:2048
	v_mov_b32_e32 v20, s1
	v_add_co_u32_e32 v21, vcc, s0, v11
	v_addc_co_u32_e32 v22, vcc, 0, v20, vcc
	v_add_co_u32_e32 v20, vcc, 0x1000, v21
	s_waitcnt lgkmcnt(1)
	global_store_dwordx2 v11, v[4:5], s[0:1]
	global_store_dwordx2 v11, v[6:7], s[0:1] offset:2048
	v_addc_co_u32_e32 v21, vcc, 0, v22, vcc
	s_mov_b64 s[6:7], -1
	s_waitcnt lgkmcnt(0)
	global_store_dwordx2 v[20:21], v[0:1], off
	s_cbranch_execz .LBB98_38
	s_branch .LBB98_51
.LBB98_37:
	s_mov_b64 s[6:7], 0
.LBB98_38:
	v_cmp_gt_u32_e64 s[0:1], s33, v10
	s_and_saveexec_b64 s[2:3], s[0:1]
	s_cbranch_execz .LBB98_40
; %bb.39:
	global_store_dwordx2 v[14:15], v[18:19], off
.LBB98_40:
	s_or_b64 exec, exec, s[2:3]
	v_add_u32_e32 v18, 0x100, v10
	v_cmp_gt_u32_e64 s[2:3], s33, v18
	s_and_saveexec_b64 s[4:5], s[2:3]
	s_cbranch_execz .LBB98_42
; %bb.41:
	global_store_dwordx2 v[14:15], v[16:17], off offset:2048
.LBB98_42:
	s_or_b64 exec, exec, s[4:5]
	v_add_u32_e32 v16, 0x200, v10
	v_cmp_gt_u32_e64 s[4:5], s33, v16
	s_and_saveexec_b64 s[6:7], s[4:5]
	s_cbranch_execz .LBB98_44
; %bb.43:
	v_add_co_u32_e32 v16, vcc, 0x1000, v14
	v_addc_co_u32_e32 v17, vcc, 0, v15, vcc
	global_store_dwordx2 v[16:17], v[12:13], off
.LBB98_44:
	s_or_b64 exec, exec, s[6:7]
	v_add_u32_e32 v10, 0x300, v10
	v_cmp_gt_u32_e64 s[6:7], s33, v10
	s_and_saveexec_b64 s[8:9], s[6:7]
	s_cbranch_execz .LBB98_46
; %bb.45:
	v_add_co_u32_e32 v12, vcc, 0x1000, v14
	v_addc_co_u32_e32 v13, vcc, 0, v15, vcc
	global_store_dwordx2 v[12:13], v[8:9], off offset:2048
.LBB98_46:
	s_or_b64 exec, exec, s[8:9]
	s_add_u32 s8, s42, s28
	s_addc_u32 s9, s43, s29
	v_mov_b32_e32 v9, s9
	v_add_co_u32_e32 v8, vcc, s8, v11
	v_addc_co_u32_e32 v9, vcc, 0, v9, vcc
	s_and_saveexec_b64 s[8:9], s[0:1]
	s_cbranch_execnz .LBB98_57
; %bb.47:
	s_or_b64 exec, exec, s[8:9]
	s_and_saveexec_b64 s[0:1], s[2:3]
	s_cbranch_execnz .LBB98_58
.LBB98_48:
	s_or_b64 exec, exec, s[0:1]
	s_and_saveexec_b64 s[0:1], s[4:5]
	s_cbranch_execz .LBB98_50
.LBB98_49:
	s_waitcnt lgkmcnt(1)
	v_add_co_u32_e32 v4, vcc, 0x1000, v8
	v_addc_co_u32_e32 v5, vcc, 0, v9, vcc
	s_waitcnt lgkmcnt(0)
	global_store_dwordx2 v[4:5], v[0:1], off
.LBB98_50:
	s_or_b64 exec, exec, s[0:1]
.LBB98_51:
	s_and_saveexec_b64 s[0:1], s[6:7]
	s_cbranch_execnz .LBB98_53
; %bb.52:
	s_endpgm
.LBB98_53:
	s_add_u32 s0, s42, s28
	s_addc_u32 s1, s43, s29
	s_waitcnt lgkmcnt(0)
	v_mov_b32_e32 v0, s1
	v_add_co_u32_e32 v1, vcc, s0, v11
	v_addc_co_u32_e32 v4, vcc, 0, v0, vcc
	v_add_co_u32_e32 v0, vcc, 0x1000, v1
	v_addc_co_u32_e32 v1, vcc, 0, v4, vcc
	global_store_dwordx2 v[0:1], v[2:3], off offset:2048
	s_endpgm
.LBB98_54:
	global_load_dwordx2 v[28:29], v[12:13], off
	s_or_b64 exec, exec, s[8:9]
                                        ; implicit-def: $vgpr30_vgpr31
	s_and_saveexec_b64 s[8:9], s[0:1]
	s_cbranch_execz .LBB98_13
.LBB98_55:
	global_load_dwordx2 v[30:31], v[12:13], off offset:512
	s_or_b64 exec, exec, s[8:9]
                                        ; implicit-def: $vgpr32_vgpr33
	s_and_saveexec_b64 s[0:1], s[2:3]
	s_cbranch_execz .LBB98_14
.LBB98_56:
	global_load_dwordx2 v[32:33], v[12:13], off offset:1024
	s_or_b64 exec, exec, s[0:1]
                                        ; implicit-def: $vgpr34_vgpr35
	s_and_saveexec_b64 s[0:1], s[6:7]
	s_cbranch_execnz .LBB98_15
	s_branch .LBB98_16
.LBB98_57:
	s_waitcnt lgkmcnt(1)
	global_store_dwordx2 v[8:9], v[4:5], off
	s_or_b64 exec, exec, s[8:9]
	s_and_saveexec_b64 s[0:1], s[2:3]
	s_cbranch_execz .LBB98_48
.LBB98_58:
	s_waitcnt lgkmcnt(1)
	global_store_dwordx2 v[8:9], v[6:7], off offset:2048
	s_or_b64 exec, exec, s[0:1]
	s_and_saveexec_b64 s[0:1], s[4:5]
	s_cbranch_execnz .LBB98_49
	s_branch .LBB98_50
	.section	.rodata,"a",@progbits
	.p2align	6, 0x0
	.amdhsa_kernel _ZN7rocprim17ROCPRIM_304000_NS6detail28radix_sort_block_sort_kernelINS1_36wrapped_radix_sort_block_sort_configINS0_13kernel_configILj256ELj4ELj4294967295EEElN2at4cuda3cub6detail10OpaqueTypeILi8EEEEELb1EPKlPlPKSB_PSB_NS0_19identity_decomposerEEEvT1_T2_T3_T4_jT5_jj
		.amdhsa_group_segment_fixed_size 8192
		.amdhsa_private_segment_fixed_size 0
		.amdhsa_kernarg_size 304
		.amdhsa_user_sgpr_count 6
		.amdhsa_user_sgpr_private_segment_buffer 1
		.amdhsa_user_sgpr_dispatch_ptr 0
		.amdhsa_user_sgpr_queue_ptr 0
		.amdhsa_user_sgpr_kernarg_segment_ptr 1
		.amdhsa_user_sgpr_dispatch_id 0
		.amdhsa_user_sgpr_flat_scratch_init 0
		.amdhsa_user_sgpr_kernarg_preload_length 0
		.amdhsa_user_sgpr_kernarg_preload_offset 0
		.amdhsa_user_sgpr_private_segment_size 0
		.amdhsa_uses_dynamic_stack 0
		.amdhsa_system_sgpr_private_segment_wavefront_offset 0
		.amdhsa_system_sgpr_workgroup_id_x 1
		.amdhsa_system_sgpr_workgroup_id_y 0
		.amdhsa_system_sgpr_workgroup_id_z 0
		.amdhsa_system_sgpr_workgroup_info 0
		.amdhsa_system_vgpr_workitem_id 2
		.amdhsa_next_free_vgpr 52
		.amdhsa_next_free_sgpr 44
		.amdhsa_accum_offset 52
		.amdhsa_reserve_vcc 1
		.amdhsa_reserve_flat_scratch 0
		.amdhsa_float_round_mode_32 0
		.amdhsa_float_round_mode_16_64 0
		.amdhsa_float_denorm_mode_32 3
		.amdhsa_float_denorm_mode_16_64 3
		.amdhsa_dx10_clamp 1
		.amdhsa_ieee_mode 1
		.amdhsa_fp16_overflow 0
		.amdhsa_tg_split 0
		.amdhsa_exception_fp_ieee_invalid_op 0
		.amdhsa_exception_fp_denorm_src 0
		.amdhsa_exception_fp_ieee_div_zero 0
		.amdhsa_exception_fp_ieee_overflow 0
		.amdhsa_exception_fp_ieee_underflow 0
		.amdhsa_exception_fp_ieee_inexact 0
		.amdhsa_exception_int_div_zero 0
	.end_amdhsa_kernel
	.section	.text._ZN7rocprim17ROCPRIM_304000_NS6detail28radix_sort_block_sort_kernelINS1_36wrapped_radix_sort_block_sort_configINS0_13kernel_configILj256ELj4ELj4294967295EEElN2at4cuda3cub6detail10OpaqueTypeILi8EEEEELb1EPKlPlPKSB_PSB_NS0_19identity_decomposerEEEvT1_T2_T3_T4_jT5_jj,"axG",@progbits,_ZN7rocprim17ROCPRIM_304000_NS6detail28radix_sort_block_sort_kernelINS1_36wrapped_radix_sort_block_sort_configINS0_13kernel_configILj256ELj4ELj4294967295EEElN2at4cuda3cub6detail10OpaqueTypeILi8EEEEELb1EPKlPlPKSB_PSB_NS0_19identity_decomposerEEEvT1_T2_T3_T4_jT5_jj,comdat
.Lfunc_end98:
	.size	_ZN7rocprim17ROCPRIM_304000_NS6detail28radix_sort_block_sort_kernelINS1_36wrapped_radix_sort_block_sort_configINS0_13kernel_configILj256ELj4ELj4294967295EEElN2at4cuda3cub6detail10OpaqueTypeILi8EEEEELb1EPKlPlPKSB_PSB_NS0_19identity_decomposerEEEvT1_T2_T3_T4_jT5_jj, .Lfunc_end98-_ZN7rocprim17ROCPRIM_304000_NS6detail28radix_sort_block_sort_kernelINS1_36wrapped_radix_sort_block_sort_configINS0_13kernel_configILj256ELj4ELj4294967295EEElN2at4cuda3cub6detail10OpaqueTypeILi8EEEEELb1EPKlPlPKSB_PSB_NS0_19identity_decomposerEEEvT1_T2_T3_T4_jT5_jj
                                        ; -- End function
	.section	.AMDGPU.csdata,"",@progbits
; Kernel info:
; codeLenInByte = 3952
; NumSgprs: 48
; NumVgprs: 52
; NumAgprs: 0
; TotalNumVgprs: 52
; ScratchSize: 0
; MemoryBound: 1
; FloatMode: 240
; IeeeMode: 1
; LDSByteSize: 8192 bytes/workgroup (compile time only)
; SGPRBlocks: 5
; VGPRBlocks: 6
; NumSGPRsForWavesPerEU: 48
; NumVGPRsForWavesPerEU: 52
; AccumOffset: 52
; Occupancy: 8
; WaveLimiterHint : 1
; COMPUTE_PGM_RSRC2:SCRATCH_EN: 0
; COMPUTE_PGM_RSRC2:USER_SGPR: 6
; COMPUTE_PGM_RSRC2:TRAP_HANDLER: 0
; COMPUTE_PGM_RSRC2:TGID_X_EN: 1
; COMPUTE_PGM_RSRC2:TGID_Y_EN: 0
; COMPUTE_PGM_RSRC2:TGID_Z_EN: 0
; COMPUTE_PGM_RSRC2:TIDIG_COMP_CNT: 2
; COMPUTE_PGM_RSRC3_GFX90A:ACCUM_OFFSET: 12
; COMPUTE_PGM_RSRC3_GFX90A:TG_SPLIT: 0
	.section	.text._ZN7rocprim17ROCPRIM_304000_NS6detail39device_merge_sort_compile_time_verifierINS1_36wrapped_merge_sort_block_sort_configINS1_28merge_sort_block_sort_configILj256ELj4ELNS0_20block_sort_algorithmE0EEElN2at4cuda3cub6detail10OpaqueTypeILi8EEEEENS1_37wrapped_merge_sort_block_merge_configINS0_14default_configElSC_EEEEvv,"axG",@progbits,_ZN7rocprim17ROCPRIM_304000_NS6detail39device_merge_sort_compile_time_verifierINS1_36wrapped_merge_sort_block_sort_configINS1_28merge_sort_block_sort_configILj256ELj4ELNS0_20block_sort_algorithmE0EEElN2at4cuda3cub6detail10OpaqueTypeILi8EEEEENS1_37wrapped_merge_sort_block_merge_configINS0_14default_configElSC_EEEEvv,comdat
	.protected	_ZN7rocprim17ROCPRIM_304000_NS6detail39device_merge_sort_compile_time_verifierINS1_36wrapped_merge_sort_block_sort_configINS1_28merge_sort_block_sort_configILj256ELj4ELNS0_20block_sort_algorithmE0EEElN2at4cuda3cub6detail10OpaqueTypeILi8EEEEENS1_37wrapped_merge_sort_block_merge_configINS0_14default_configElSC_EEEEvv ; -- Begin function _ZN7rocprim17ROCPRIM_304000_NS6detail39device_merge_sort_compile_time_verifierINS1_36wrapped_merge_sort_block_sort_configINS1_28merge_sort_block_sort_configILj256ELj4ELNS0_20block_sort_algorithmE0EEElN2at4cuda3cub6detail10OpaqueTypeILi8EEEEENS1_37wrapped_merge_sort_block_merge_configINS0_14default_configElSC_EEEEvv
	.globl	_ZN7rocprim17ROCPRIM_304000_NS6detail39device_merge_sort_compile_time_verifierINS1_36wrapped_merge_sort_block_sort_configINS1_28merge_sort_block_sort_configILj256ELj4ELNS0_20block_sort_algorithmE0EEElN2at4cuda3cub6detail10OpaqueTypeILi8EEEEENS1_37wrapped_merge_sort_block_merge_configINS0_14default_configElSC_EEEEvv
	.p2align	8
	.type	_ZN7rocprim17ROCPRIM_304000_NS6detail39device_merge_sort_compile_time_verifierINS1_36wrapped_merge_sort_block_sort_configINS1_28merge_sort_block_sort_configILj256ELj4ELNS0_20block_sort_algorithmE0EEElN2at4cuda3cub6detail10OpaqueTypeILi8EEEEENS1_37wrapped_merge_sort_block_merge_configINS0_14default_configElSC_EEEEvv,@function
_ZN7rocprim17ROCPRIM_304000_NS6detail39device_merge_sort_compile_time_verifierINS1_36wrapped_merge_sort_block_sort_configINS1_28merge_sort_block_sort_configILj256ELj4ELNS0_20block_sort_algorithmE0EEElN2at4cuda3cub6detail10OpaqueTypeILi8EEEEENS1_37wrapped_merge_sort_block_merge_configINS0_14default_configElSC_EEEEvv: ; @_ZN7rocprim17ROCPRIM_304000_NS6detail39device_merge_sort_compile_time_verifierINS1_36wrapped_merge_sort_block_sort_configINS1_28merge_sort_block_sort_configILj256ELj4ELNS0_20block_sort_algorithmE0EEElN2at4cuda3cub6detail10OpaqueTypeILi8EEEEENS1_37wrapped_merge_sort_block_merge_configINS0_14default_configElSC_EEEEvv
; %bb.0:
	s_endpgm
	.section	.rodata,"a",@progbits
	.p2align	6, 0x0
	.amdhsa_kernel _ZN7rocprim17ROCPRIM_304000_NS6detail39device_merge_sort_compile_time_verifierINS1_36wrapped_merge_sort_block_sort_configINS1_28merge_sort_block_sort_configILj256ELj4ELNS0_20block_sort_algorithmE0EEElN2at4cuda3cub6detail10OpaqueTypeILi8EEEEENS1_37wrapped_merge_sort_block_merge_configINS0_14default_configElSC_EEEEvv
		.amdhsa_group_segment_fixed_size 0
		.amdhsa_private_segment_fixed_size 0
		.amdhsa_kernarg_size 0
		.amdhsa_user_sgpr_count 4
		.amdhsa_user_sgpr_private_segment_buffer 1
		.amdhsa_user_sgpr_dispatch_ptr 0
		.amdhsa_user_sgpr_queue_ptr 0
		.amdhsa_user_sgpr_kernarg_segment_ptr 0
		.amdhsa_user_sgpr_dispatch_id 0
		.amdhsa_user_sgpr_flat_scratch_init 0
		.amdhsa_user_sgpr_kernarg_preload_length 0
		.amdhsa_user_sgpr_kernarg_preload_offset 0
		.amdhsa_user_sgpr_private_segment_size 0
		.amdhsa_uses_dynamic_stack 0
		.amdhsa_system_sgpr_private_segment_wavefront_offset 0
		.amdhsa_system_sgpr_workgroup_id_x 1
		.amdhsa_system_sgpr_workgroup_id_y 0
		.amdhsa_system_sgpr_workgroup_id_z 0
		.amdhsa_system_sgpr_workgroup_info 0
		.amdhsa_system_vgpr_workitem_id 0
		.amdhsa_next_free_vgpr 1
		.amdhsa_next_free_sgpr 0
		.amdhsa_accum_offset 4
		.amdhsa_reserve_vcc 0
		.amdhsa_reserve_flat_scratch 0
		.amdhsa_float_round_mode_32 0
		.amdhsa_float_round_mode_16_64 0
		.amdhsa_float_denorm_mode_32 3
		.amdhsa_float_denorm_mode_16_64 3
		.amdhsa_dx10_clamp 1
		.amdhsa_ieee_mode 1
		.amdhsa_fp16_overflow 0
		.amdhsa_tg_split 0
		.amdhsa_exception_fp_ieee_invalid_op 0
		.amdhsa_exception_fp_denorm_src 0
		.amdhsa_exception_fp_ieee_div_zero 0
		.amdhsa_exception_fp_ieee_overflow 0
		.amdhsa_exception_fp_ieee_underflow 0
		.amdhsa_exception_fp_ieee_inexact 0
		.amdhsa_exception_int_div_zero 0
	.end_amdhsa_kernel
	.section	.text._ZN7rocprim17ROCPRIM_304000_NS6detail39device_merge_sort_compile_time_verifierINS1_36wrapped_merge_sort_block_sort_configINS1_28merge_sort_block_sort_configILj256ELj4ELNS0_20block_sort_algorithmE0EEElN2at4cuda3cub6detail10OpaqueTypeILi8EEEEENS1_37wrapped_merge_sort_block_merge_configINS0_14default_configElSC_EEEEvv,"axG",@progbits,_ZN7rocprim17ROCPRIM_304000_NS6detail39device_merge_sort_compile_time_verifierINS1_36wrapped_merge_sort_block_sort_configINS1_28merge_sort_block_sort_configILj256ELj4ELNS0_20block_sort_algorithmE0EEElN2at4cuda3cub6detail10OpaqueTypeILi8EEEEENS1_37wrapped_merge_sort_block_merge_configINS0_14default_configElSC_EEEEvv,comdat
.Lfunc_end99:
	.size	_ZN7rocprim17ROCPRIM_304000_NS6detail39device_merge_sort_compile_time_verifierINS1_36wrapped_merge_sort_block_sort_configINS1_28merge_sort_block_sort_configILj256ELj4ELNS0_20block_sort_algorithmE0EEElN2at4cuda3cub6detail10OpaqueTypeILi8EEEEENS1_37wrapped_merge_sort_block_merge_configINS0_14default_configElSC_EEEEvv, .Lfunc_end99-_ZN7rocprim17ROCPRIM_304000_NS6detail39device_merge_sort_compile_time_verifierINS1_36wrapped_merge_sort_block_sort_configINS1_28merge_sort_block_sort_configILj256ELj4ELNS0_20block_sort_algorithmE0EEElN2at4cuda3cub6detail10OpaqueTypeILi8EEEEENS1_37wrapped_merge_sort_block_merge_configINS0_14default_configElSC_EEEEvv
                                        ; -- End function
	.section	.AMDGPU.csdata,"",@progbits
; Kernel info:
; codeLenInByte = 4
; NumSgprs: 4
; NumVgprs: 0
; NumAgprs: 0
; TotalNumVgprs: 0
; ScratchSize: 0
; MemoryBound: 0
; FloatMode: 240
; IeeeMode: 1
; LDSByteSize: 0 bytes/workgroup (compile time only)
; SGPRBlocks: 0
; VGPRBlocks: 0
; NumSGPRsForWavesPerEU: 4
; NumVGPRsForWavesPerEU: 1
; AccumOffset: 4
; Occupancy: 8
; WaveLimiterHint : 0
; COMPUTE_PGM_RSRC2:SCRATCH_EN: 0
; COMPUTE_PGM_RSRC2:USER_SGPR: 4
; COMPUTE_PGM_RSRC2:TRAP_HANDLER: 0
; COMPUTE_PGM_RSRC2:TGID_X_EN: 1
; COMPUTE_PGM_RSRC2:TGID_Y_EN: 0
; COMPUTE_PGM_RSRC2:TGID_Z_EN: 0
; COMPUTE_PGM_RSRC2:TIDIG_COMP_CNT: 0
; COMPUTE_PGM_RSRC3_GFX90A:ACCUM_OFFSET: 0
; COMPUTE_PGM_RSRC3_GFX90A:TG_SPLIT: 0
	.section	.text._ZN7rocprim17ROCPRIM_304000_NS6detail45device_block_merge_mergepath_partition_kernelINS1_37wrapped_merge_sort_block_merge_configINS0_14default_configElN2at4cuda3cub6detail10OpaqueTypeILi8EEEEEPljNS1_19radix_merge_compareILb1ELb0ElNS0_19identity_decomposerEEEEEvT0_T1_jPSH_T2_SH_,"axG",@progbits,_ZN7rocprim17ROCPRIM_304000_NS6detail45device_block_merge_mergepath_partition_kernelINS1_37wrapped_merge_sort_block_merge_configINS0_14default_configElN2at4cuda3cub6detail10OpaqueTypeILi8EEEEEPljNS1_19radix_merge_compareILb1ELb0ElNS0_19identity_decomposerEEEEEvT0_T1_jPSH_T2_SH_,comdat
	.protected	_ZN7rocprim17ROCPRIM_304000_NS6detail45device_block_merge_mergepath_partition_kernelINS1_37wrapped_merge_sort_block_merge_configINS0_14default_configElN2at4cuda3cub6detail10OpaqueTypeILi8EEEEEPljNS1_19radix_merge_compareILb1ELb0ElNS0_19identity_decomposerEEEEEvT0_T1_jPSH_T2_SH_ ; -- Begin function _ZN7rocprim17ROCPRIM_304000_NS6detail45device_block_merge_mergepath_partition_kernelINS1_37wrapped_merge_sort_block_merge_configINS0_14default_configElN2at4cuda3cub6detail10OpaqueTypeILi8EEEEEPljNS1_19radix_merge_compareILb1ELb0ElNS0_19identity_decomposerEEEEEvT0_T1_jPSH_T2_SH_
	.globl	_ZN7rocprim17ROCPRIM_304000_NS6detail45device_block_merge_mergepath_partition_kernelINS1_37wrapped_merge_sort_block_merge_configINS0_14default_configElN2at4cuda3cub6detail10OpaqueTypeILi8EEEEEPljNS1_19radix_merge_compareILb1ELb0ElNS0_19identity_decomposerEEEEEvT0_T1_jPSH_T2_SH_
	.p2align	8
	.type	_ZN7rocprim17ROCPRIM_304000_NS6detail45device_block_merge_mergepath_partition_kernelINS1_37wrapped_merge_sort_block_merge_configINS0_14default_configElN2at4cuda3cub6detail10OpaqueTypeILi8EEEEEPljNS1_19radix_merge_compareILb1ELb0ElNS0_19identity_decomposerEEEEEvT0_T1_jPSH_T2_SH_,@function
_ZN7rocprim17ROCPRIM_304000_NS6detail45device_block_merge_mergepath_partition_kernelINS1_37wrapped_merge_sort_block_merge_configINS0_14default_configElN2at4cuda3cub6detail10OpaqueTypeILi8EEEEEPljNS1_19radix_merge_compareILb1ELb0ElNS0_19identity_decomposerEEEEEvT0_T1_jPSH_T2_SH_: ; @_ZN7rocprim17ROCPRIM_304000_NS6detail45device_block_merge_mergepath_partition_kernelINS1_37wrapped_merge_sort_block_merge_configINS0_14default_configElN2at4cuda3cub6detail10OpaqueTypeILi8EEEEEPljNS1_19radix_merge_compareILb1ELb0ElNS0_19identity_decomposerEEEEEvT0_T1_jPSH_T2_SH_
; %bb.0:
	s_load_dwordx2 s[0:1], s[4:5], 0x8
	v_lshl_or_b32 v0, s6, 7, v0
	s_waitcnt lgkmcnt(0)
	v_cmp_gt_u32_e32 vcc, s1, v0
	s_and_saveexec_b64 s[2:3], vcc
	s_cbranch_execz .LBB100_6
; %bb.1:
	s_load_dword s1, s[4:5], 0x1c
	s_waitcnt lgkmcnt(0)
	s_lshr_b32 s2, s1, 9
	s_and_b32 s2, s2, 0x7ffffe
	s_add_i32 s3, s2, -1
	s_sub_i32 s2, 0, s2
	v_and_b32_e32 v1, s2, v0
	v_and_b32_e32 v2, s3, v0
	v_lshlrev_b32_e32 v1, 10, v1
	v_lshlrev_b32_e32 v3, 10, v2
	v_min_u32_e32 v2, s0, v1
	v_add_u32_e32 v1, s1, v1
	v_min_u32_e32 v4, s0, v1
	v_add_u32_e32 v1, s1, v4
	v_min_u32_e32 v1, s0, v1
	v_sub_u32_e32 v5, v1, v2
	v_min_u32_e32 v6, v5, v3
	v_sub_u32_e32 v3, v4, v2
	v_sub_u32_e32 v1, v1, v4
	v_sub_u32_e64 v1, v6, v1 clamp
	v_min_u32_e32 v7, v6, v3
	v_cmp_lt_u32_e32 vcc, v1, v7
	s_and_saveexec_b64 s[0:1], vcc
	s_cbranch_execz .LBB100_5
; %bb.2:
	s_load_dwordx2 s[2:3], s[4:5], 0x0
	v_mov_b32_e32 v5, 0
	v_mov_b32_e32 v3, v5
	v_lshlrev_b64 v[8:9], 3, v[2:3]
	v_lshlrev_b64 v[10:11], 3, v[4:5]
	s_waitcnt lgkmcnt(0)
	v_mov_b32_e32 v12, s3
	v_add_co_u32_e32 v3, vcc, s2, v8
	v_addc_co_u32_e32 v8, vcc, v12, v9, vcc
	v_add_co_u32_e32 v9, vcc, s2, v10
	v_addc_co_u32_e32 v10, vcc, v12, v11, vcc
	s_mov_b64 s[2:3], 0
.LBB100_3:                              ; =>This Inner Loop Header: Depth=1
	v_add_u32_e32 v4, v7, v1
	v_lshrrev_b32_e32 v4, 1, v4
	v_lshlrev_b64 v[14:15], 3, v[4:5]
	v_mov_b32_e32 v13, v5
	v_xad_u32 v12, v4, -1, v6
	v_add_co_u32_e32 v14, vcc, v3, v14
	v_addc_co_u32_e32 v15, vcc, v8, v15, vcc
	v_lshlrev_b64 v[12:13], 3, v[12:13]
	v_add_co_u32_e32 v12, vcc, v9, v12
	v_addc_co_u32_e32 v13, vcc, v10, v13, vcc
	global_load_dwordx2 v[16:17], v[14:15], off
	global_load_dwordx2 v[18:19], v[12:13], off
	v_add_u32_e32 v11, 1, v4
	s_waitcnt vmcnt(0)
	v_cmp_gt_i64_e32 vcc, v[18:19], v[16:17]
	v_cndmask_b32_e32 v7, v7, v4, vcc
	v_cndmask_b32_e32 v1, v11, v1, vcc
	v_cmp_ge_u32_e32 vcc, v1, v7
	s_or_b64 s[2:3], vcc, s[2:3]
	s_andn2_b64 exec, exec, s[2:3]
	s_cbranch_execnz .LBB100_3
; %bb.4:
	s_or_b64 exec, exec, s[2:3]
.LBB100_5:
	s_or_b64 exec, exec, s[0:1]
	s_load_dwordx2 s[0:1], s[4:5], 0x10
	v_add_u32_e32 v2, v1, v2
	v_mov_b32_e32 v1, 0
	v_lshlrev_b64 v[0:1], 2, v[0:1]
	s_waitcnt lgkmcnt(0)
	v_mov_b32_e32 v3, s1
	v_add_co_u32_e32 v0, vcc, s0, v0
	v_addc_co_u32_e32 v1, vcc, v3, v1, vcc
	global_store_dword v[0:1], v2, off
.LBB100_6:
	s_endpgm
	.section	.rodata,"a",@progbits
	.p2align	6, 0x0
	.amdhsa_kernel _ZN7rocprim17ROCPRIM_304000_NS6detail45device_block_merge_mergepath_partition_kernelINS1_37wrapped_merge_sort_block_merge_configINS0_14default_configElN2at4cuda3cub6detail10OpaqueTypeILi8EEEEEPljNS1_19radix_merge_compareILb1ELb0ElNS0_19identity_decomposerEEEEEvT0_T1_jPSH_T2_SH_
		.amdhsa_group_segment_fixed_size 0
		.amdhsa_private_segment_fixed_size 0
		.amdhsa_kernarg_size 32
		.amdhsa_user_sgpr_count 6
		.amdhsa_user_sgpr_private_segment_buffer 1
		.amdhsa_user_sgpr_dispatch_ptr 0
		.amdhsa_user_sgpr_queue_ptr 0
		.amdhsa_user_sgpr_kernarg_segment_ptr 1
		.amdhsa_user_sgpr_dispatch_id 0
		.amdhsa_user_sgpr_flat_scratch_init 0
		.amdhsa_user_sgpr_kernarg_preload_length 0
		.amdhsa_user_sgpr_kernarg_preload_offset 0
		.amdhsa_user_sgpr_private_segment_size 0
		.amdhsa_uses_dynamic_stack 0
		.amdhsa_system_sgpr_private_segment_wavefront_offset 0
		.amdhsa_system_sgpr_workgroup_id_x 1
		.amdhsa_system_sgpr_workgroup_id_y 0
		.amdhsa_system_sgpr_workgroup_id_z 0
		.amdhsa_system_sgpr_workgroup_info 0
		.amdhsa_system_vgpr_workitem_id 0
		.amdhsa_next_free_vgpr 20
		.amdhsa_next_free_sgpr 7
		.amdhsa_accum_offset 20
		.amdhsa_reserve_vcc 1
		.amdhsa_reserve_flat_scratch 0
		.amdhsa_float_round_mode_32 0
		.amdhsa_float_round_mode_16_64 0
		.amdhsa_float_denorm_mode_32 3
		.amdhsa_float_denorm_mode_16_64 3
		.amdhsa_dx10_clamp 1
		.amdhsa_ieee_mode 1
		.amdhsa_fp16_overflow 0
		.amdhsa_tg_split 0
		.amdhsa_exception_fp_ieee_invalid_op 0
		.amdhsa_exception_fp_denorm_src 0
		.amdhsa_exception_fp_ieee_div_zero 0
		.amdhsa_exception_fp_ieee_overflow 0
		.amdhsa_exception_fp_ieee_underflow 0
		.amdhsa_exception_fp_ieee_inexact 0
		.amdhsa_exception_int_div_zero 0
	.end_amdhsa_kernel
	.section	.text._ZN7rocprim17ROCPRIM_304000_NS6detail45device_block_merge_mergepath_partition_kernelINS1_37wrapped_merge_sort_block_merge_configINS0_14default_configElN2at4cuda3cub6detail10OpaqueTypeILi8EEEEEPljNS1_19radix_merge_compareILb1ELb0ElNS0_19identity_decomposerEEEEEvT0_T1_jPSH_T2_SH_,"axG",@progbits,_ZN7rocprim17ROCPRIM_304000_NS6detail45device_block_merge_mergepath_partition_kernelINS1_37wrapped_merge_sort_block_merge_configINS0_14default_configElN2at4cuda3cub6detail10OpaqueTypeILi8EEEEEPljNS1_19radix_merge_compareILb1ELb0ElNS0_19identity_decomposerEEEEEvT0_T1_jPSH_T2_SH_,comdat
.Lfunc_end100:
	.size	_ZN7rocprim17ROCPRIM_304000_NS6detail45device_block_merge_mergepath_partition_kernelINS1_37wrapped_merge_sort_block_merge_configINS0_14default_configElN2at4cuda3cub6detail10OpaqueTypeILi8EEEEEPljNS1_19radix_merge_compareILb1ELb0ElNS0_19identity_decomposerEEEEEvT0_T1_jPSH_T2_SH_, .Lfunc_end100-_ZN7rocprim17ROCPRIM_304000_NS6detail45device_block_merge_mergepath_partition_kernelINS1_37wrapped_merge_sort_block_merge_configINS0_14default_configElN2at4cuda3cub6detail10OpaqueTypeILi8EEEEEPljNS1_19radix_merge_compareILb1ELb0ElNS0_19identity_decomposerEEEEEvT0_T1_jPSH_T2_SH_
                                        ; -- End function
	.section	.AMDGPU.csdata,"",@progbits
; Kernel info:
; codeLenInByte = 364
; NumSgprs: 11
; NumVgprs: 20
; NumAgprs: 0
; TotalNumVgprs: 20
; ScratchSize: 0
; MemoryBound: 0
; FloatMode: 240
; IeeeMode: 1
; LDSByteSize: 0 bytes/workgroup (compile time only)
; SGPRBlocks: 1
; VGPRBlocks: 2
; NumSGPRsForWavesPerEU: 11
; NumVGPRsForWavesPerEU: 20
; AccumOffset: 20
; Occupancy: 8
; WaveLimiterHint : 0
; COMPUTE_PGM_RSRC2:SCRATCH_EN: 0
; COMPUTE_PGM_RSRC2:USER_SGPR: 6
; COMPUTE_PGM_RSRC2:TRAP_HANDLER: 0
; COMPUTE_PGM_RSRC2:TGID_X_EN: 1
; COMPUTE_PGM_RSRC2:TGID_Y_EN: 0
; COMPUTE_PGM_RSRC2:TGID_Z_EN: 0
; COMPUTE_PGM_RSRC2:TIDIG_COMP_CNT: 0
; COMPUTE_PGM_RSRC3_GFX90A:ACCUM_OFFSET: 4
; COMPUTE_PGM_RSRC3_GFX90A:TG_SPLIT: 0
	.section	.text._ZN7rocprim17ROCPRIM_304000_NS6detail35device_block_merge_mergepath_kernelINS1_37wrapped_merge_sort_block_merge_configINS0_14default_configElN2at4cuda3cub6detail10OpaqueTypeILi8EEEEEPlSC_PSA_SD_jNS1_19radix_merge_compareILb1ELb0ElNS0_19identity_decomposerEEEEEvT0_T1_T2_T3_T4_SL_jT5_PKSL_NS1_7vsmem_tE,"axG",@progbits,_ZN7rocprim17ROCPRIM_304000_NS6detail35device_block_merge_mergepath_kernelINS1_37wrapped_merge_sort_block_merge_configINS0_14default_configElN2at4cuda3cub6detail10OpaqueTypeILi8EEEEEPlSC_PSA_SD_jNS1_19radix_merge_compareILb1ELb0ElNS0_19identity_decomposerEEEEEvT0_T1_T2_T3_T4_SL_jT5_PKSL_NS1_7vsmem_tE,comdat
	.protected	_ZN7rocprim17ROCPRIM_304000_NS6detail35device_block_merge_mergepath_kernelINS1_37wrapped_merge_sort_block_merge_configINS0_14default_configElN2at4cuda3cub6detail10OpaqueTypeILi8EEEEEPlSC_PSA_SD_jNS1_19radix_merge_compareILb1ELb0ElNS0_19identity_decomposerEEEEEvT0_T1_T2_T3_T4_SL_jT5_PKSL_NS1_7vsmem_tE ; -- Begin function _ZN7rocprim17ROCPRIM_304000_NS6detail35device_block_merge_mergepath_kernelINS1_37wrapped_merge_sort_block_merge_configINS0_14default_configElN2at4cuda3cub6detail10OpaqueTypeILi8EEEEEPlSC_PSA_SD_jNS1_19radix_merge_compareILb1ELb0ElNS0_19identity_decomposerEEEEEvT0_T1_T2_T3_T4_SL_jT5_PKSL_NS1_7vsmem_tE
	.globl	_ZN7rocprim17ROCPRIM_304000_NS6detail35device_block_merge_mergepath_kernelINS1_37wrapped_merge_sort_block_merge_configINS0_14default_configElN2at4cuda3cub6detail10OpaqueTypeILi8EEEEEPlSC_PSA_SD_jNS1_19radix_merge_compareILb1ELb0ElNS0_19identity_decomposerEEEEEvT0_T1_T2_T3_T4_SL_jT5_PKSL_NS1_7vsmem_tE
	.p2align	8
	.type	_ZN7rocprim17ROCPRIM_304000_NS6detail35device_block_merge_mergepath_kernelINS1_37wrapped_merge_sort_block_merge_configINS0_14default_configElN2at4cuda3cub6detail10OpaqueTypeILi8EEEEEPlSC_PSA_SD_jNS1_19radix_merge_compareILb1ELb0ElNS0_19identity_decomposerEEEEEvT0_T1_T2_T3_T4_SL_jT5_PKSL_NS1_7vsmem_tE,@function
_ZN7rocprim17ROCPRIM_304000_NS6detail35device_block_merge_mergepath_kernelINS1_37wrapped_merge_sort_block_merge_configINS0_14default_configElN2at4cuda3cub6detail10OpaqueTypeILi8EEEEEPlSC_PSA_SD_jNS1_19radix_merge_compareILb1ELb0ElNS0_19identity_decomposerEEEEEvT0_T1_T2_T3_T4_SL_jT5_PKSL_NS1_7vsmem_tE: ; @_ZN7rocprim17ROCPRIM_304000_NS6detail35device_block_merge_mergepath_kernelINS1_37wrapped_merge_sort_block_merge_configINS0_14default_configElN2at4cuda3cub6detail10OpaqueTypeILi8EEEEEPlSC_PSA_SD_jNS1_19radix_merge_compareILb1ELb0ElNS0_19identity_decomposerEEEEEvT0_T1_T2_T3_T4_SL_jT5_PKSL_NS1_7vsmem_tE
; %bb.0:
	s_load_dwordx2 s[24:25], s[4:5], 0x40
	s_load_dwordx4 s[16:19], s[4:5], 0x20
	s_add_u32 s2, s4, 64
	s_addc_u32 s3, s5, 0
	s_waitcnt lgkmcnt(0)
	s_mul_i32 s0, s25, s8
	s_add_i32 s0, s0, s7
	s_mul_i32 s0, s0, s24
	s_add_i32 s0, s0, s6
	s_cmp_ge_u32 s0, s18
	s_cbranch_scc1 .LBB101_53
; %bb.1:
	s_load_dwordx8 s[8:15], s[4:5], 0x0
	s_load_dwordx2 s[18:19], s[4:5], 0x30
	s_lshr_b32 s28, s16, 10
	s_cmp_lg_u32 s0, s28
	s_mov_b32 s1, 0
	s_cselect_b64 s[20:21], -1, 0
	s_lshl_b64 s[4:5], s[0:1], 2
	s_waitcnt lgkmcnt(0)
	s_add_u32 s4, s18, s4
	s_addc_u32 s5, s19, s5
	s_lshr_b32 s7, s17, 9
	s_and_b32 s7, s7, 0x7ffffe
	s_load_dwordx2 s[4:5], s[4:5], 0x0
	s_sub_i32 s7, 0, s7
	s_and_b32 s19, s0, s7
	s_lshl_b32 s23, s19, 10
	s_lshl_b32 s18, s0, 10
	;; [unrolled: 1-line block ×3, first 2 shown]
	s_sub_i32 s22, s18, s23
	s_add_i32 s19, s19, s17
	s_add_i32 s25, s19, s22
	s_waitcnt lgkmcnt(0)
	s_sub_i32 s22, s25, s4
	s_sub_i32 s25, s25, s5
	;; [unrolled: 1-line block ×3, first 2 shown]
	s_min_u32 s22, s16, s22
	s_addk_i32 s25, 0x400
	s_or_b32 s7, s0, s7
	s_min_u32 s23, s16, s19
	s_add_i32 s19, s19, s17
	s_cmp_eq_u32 s7, -1
	s_cselect_b32 s7, s19, s25
	s_cselect_b32 s5, s23, s5
	s_min_u32 s7, s7, s16
	s_sub_i32 s19, s5, s4
	s_mov_b32 s5, s1
	s_sub_i32 s25, s7, s22
	s_lshl_b64 s[4:5], s[4:5], 3
	s_add_u32 s26, s8, s4
	s_mov_b32 s23, s1
	s_addc_u32 s27, s9, s5
	s_lshl_b64 s[22:23], s[22:23], 3
	s_add_u32 s7, s8, s22
	s_addc_u32 s8, s9, s23
	s_cmp_lt_u32 s6, s24
	v_mov_b32_e32 v5, 0
	s_cselect_b32 s1, 12, 18
	global_load_dword v1, v5, s[2:3] offset:14
	s_add_u32 s2, s2, s1
	s_addc_u32 s3, s3, 0
	global_load_ushort v2, v5, s[2:3]
	v_cmp_gt_u32_e32 vcc, s19, v0
	s_cmp_eq_u32 s0, s28
	s_waitcnt vmcnt(1)
	v_lshrrev_b32_e32 v3, 16, v1
	v_and_b32_e32 v1, 0xffff, v1
	v_mul_lo_u32 v1, v1, v3
	s_waitcnt vmcnt(0)
	v_mul_lo_u32 v1, v1, v2
	v_add_u32_e32 v8, v1, v0
	v_lshlrev_b32_e32 v1, 3, v0
	s_cbranch_scc1 .LBB101_3
; %bb.2:
	v_mov_b32_e32 v2, s27
	v_add_co_u32_e64 v6, s[0:1], s26, v1
	v_subrev_u32_e32 v4, s19, v0
	v_addc_co_u32_e64 v7, s[0:1], 0, v2, s[0:1]
	v_lshlrev_b64 v[2:3], 3, v[4:5]
	v_mov_b32_e32 v4, s8
	v_add_co_u32_e64 v2, s[0:1], s7, v2
	v_addc_co_u32_e64 v3, s[0:1], v4, v3, s[0:1]
	v_mov_b32_e32 v9, v5
	v_cndmask_b32_e32 v3, v3, v7, vcc
	v_cndmask_b32_e32 v2, v2, v6, vcc
	v_lshlrev_b64 v[6:7], 3, v[8:9]
	v_mov_b32_e32 v4, s27
	v_add_co_u32_e32 v6, vcc, s26, v6
	v_addc_co_u32_e32 v7, vcc, v4, v7, vcc
	v_subrev_u32_e32 v4, s19, v8
	v_lshlrev_b64 v[4:5], 3, v[4:5]
	v_mov_b32_e32 v9, s8
	v_add_co_u32_e32 v4, vcc, s7, v4
	v_addc_co_u32_e32 v5, vcc, v9, v5, vcc
	v_cmp_gt_u32_e32 vcc, s19, v8
	v_cndmask_b32_e32 v5, v5, v7, vcc
	v_cndmask_b32_e32 v4, v4, v6, vcc
	global_load_dwordx2 v[2:3], v[2:3], off
	s_add_i32 s17, s25, s19
	global_load_dwordx2 v[6:7], v[4:5], off
	s_cbranch_execz .LBB101_4
	s_branch .LBB101_9
.LBB101_3:
                                        ; implicit-def: $vgpr6_vgpr7
                                        ; implicit-def: $sgpr17
                                        ; implicit-def: $vgpr2_vgpr3_vgpr4_vgpr5
.LBB101_4:
	s_add_i32 s17, s25, s19
	v_cmp_gt_u32_e32 vcc, s17, v0
                                        ; implicit-def: $vgpr2_vgpr3
	s_and_saveexec_b64 s[0:1], vcc
	s_cbranch_execz .LBB101_6
; %bb.5:
	s_waitcnt vmcnt(1)
	v_mov_b32_e32 v2, s27
	v_add_co_u32_e32 v4, vcc, s26, v1
	v_mov_b32_e32 v3, 0
	v_addc_co_u32_e32 v5, vcc, 0, v2, vcc
	v_subrev_u32_e32 v2, s19, v0
	v_lshlrev_b64 v[2:3], 3, v[2:3]
	s_waitcnt vmcnt(0)
	v_mov_b32_e32 v6, s8
	v_add_co_u32_e32 v2, vcc, s7, v2
	v_addc_co_u32_e32 v3, vcc, v6, v3, vcc
	v_cmp_gt_u32_e32 vcc, s19, v0
	v_cndmask_b32_e32 v3, v3, v5, vcc
	v_cndmask_b32_e32 v2, v2, v4, vcc
	global_load_dwordx2 v[2:3], v[2:3], off
.LBB101_6:
	s_or_b64 exec, exec, s[0:1]
	v_cmp_gt_u32_e32 vcc, s17, v8
	s_and_saveexec_b64 s[2:3], vcc
                                        ; implicit-def: $vgpr4_vgpr5_vgpr6_vgpr7
	s_cbranch_execz .LBB101_8
; %bb.7:
	v_mov_b32_e32 v9, 0
	v_lshlrev_b64 v[4:5], 3, v[8:9]
	s_waitcnt vmcnt(0)
	v_mov_b32_e32 v6, s27
	v_add_co_u32_e32 v7, vcc, s26, v4
	v_addc_co_u32_e32 v6, vcc, v6, v5, vcc
	v_cmp_gt_u32_e32 vcc, s19, v8
	v_subrev_u32_e32 v8, s19, v8
	v_lshlrev_b64 v[4:5], 3, v[8:9]
	v_mov_b32_e32 v8, s8
	v_add_co_u32_e64 v4, s[0:1], s7, v4
	v_addc_co_u32_e64 v5, s[0:1], v8, v5, s[0:1]
	v_cndmask_b32_e32 v5, v5, v6, vcc
	v_cndmask_b32_e32 v4, v4, v7, vcc
	global_load_dwordx2 v[6:7], v[4:5], off
.LBB101_8:
	s_or_b64 exec, exec, s[2:3]
.LBB101_9:
	v_lshlrev_b32_e32 v10, 1, v0
	v_min_u32_e32 v4, s17, v10
	v_sub_u32_e64 v8, v4, s25 clamp
	v_min_u32_e32 v5, s19, v4
	v_cmp_lt_u32_e32 vcc, v8, v5
	s_waitcnt vmcnt(0)
	ds_write2st64_b64 v1, v[2:3], v[6:7] offset1:8
	s_waitcnt lgkmcnt(0)
	s_barrier
	s_and_saveexec_b64 s[0:1], vcc
	s_cbranch_execz .LBB101_13
; %bb.10:
	v_lshlrev_b32_e32 v9, 3, v4
	v_lshl_add_u32 v9, s19, 3, v9
	s_mov_b64 s[2:3], 0
.LBB101_11:                             ; =>This Inner Loop Header: Depth=1
	v_add_u32_e32 v11, v5, v8
	v_lshrrev_b32_e32 v11, 1, v11
	v_not_b32_e32 v12, v11
	v_lshlrev_b32_e32 v13, 3, v11
	v_lshl_add_u32 v14, v12, 3, v9
	ds_read_b64 v[12:13], v13
	ds_read_b64 v[14:15], v14
	v_add_u32_e32 v16, 1, v11
	s_waitcnt lgkmcnt(0)
	v_cmp_gt_i64_e32 vcc, v[14:15], v[12:13]
	v_cndmask_b32_e32 v5, v5, v11, vcc
	v_cndmask_b32_e32 v8, v16, v8, vcc
	v_cmp_ge_u32_e32 vcc, v8, v5
	s_or_b64 s[2:3], vcc, s[2:3]
	s_andn2_b64 exec, exec, s[2:3]
	s_cbranch_execnz .LBB101_11
; %bb.12:
	s_or_b64 exec, exec, s[2:3]
.LBB101_13:
	s_or_b64 exec, exec, s[0:1]
	v_sub_u32_e32 v4, v4, v8
	v_add_u32_e32 v9, s19, v4
	v_cmp_ge_u32_e32 vcc, s19, v8
	v_cmp_ge_u32_e64 s[0:1], s17, v9
	s_or_b64 s[0:1], vcc, s[0:1]
                                        ; implicit-def: $vgpr11
                                        ; implicit-def: $vgpr12
	s_and_saveexec_b64 s[6:7], s[0:1]
	s_cbranch_execz .LBB101_19
; %bb.14:
	v_cmp_gt_u32_e32 vcc, s19, v8
                                        ; implicit-def: $vgpr4_vgpr5
	s_and_saveexec_b64 s[0:1], vcc
	s_cbranch_execz .LBB101_16
; %bb.15:
	v_lshlrev_b32_e32 v2, 3, v8
	ds_read_b64 v[4:5], v2
.LBB101_16:
	s_or_b64 exec, exec, s[0:1]
	v_cmp_le_u32_e64 s[0:1], s17, v9
	v_cmp_gt_u32_e64 s[2:3], s17, v9
                                        ; implicit-def: $vgpr6_vgpr7
	s_and_saveexec_b64 s[8:9], s[2:3]
	s_cbranch_execz .LBB101_18
; %bb.17:
	v_lshlrev_b32_e32 v2, 3, v9
	ds_read_b64 v[6:7], v2
.LBB101_18:
	s_or_b64 exec, exec, s[8:9]
	s_waitcnt lgkmcnt(0)
	v_cmp_le_i64_e64 s[2:3], v[6:7], v[4:5]
	s_and_b64 s[2:3], vcc, s[2:3]
	s_or_b64 vcc, s[0:1], s[2:3]
	v_mov_b32_e32 v2, s17
	v_mov_b32_e32 v3, s19
	v_cndmask_b32_e32 v12, v9, v8, vcc
	v_cndmask_b32_e32 v2, v2, v3, vcc
	v_add_u32_e32 v11, 1, v12
	v_add_u32_e32 v2, -1, v2
	v_min_u32_e32 v2, v11, v2
	v_lshlrev_b32_e32 v2, 3, v2
	ds_read_b64 v[14:15], v2
	v_cndmask_b32_e32 v3, v7, v5, vcc
	v_cndmask_b32_e32 v2, v6, v4, vcc
	;; [unrolled: 1-line block ×4, first 2 shown]
	s_waitcnt lgkmcnt(0)
	v_cndmask_b32_e32 v7, v15, v7, vcc
	v_cndmask_b32_e32 v6, v14, v6, vcc
	;; [unrolled: 1-line block ×4, first 2 shown]
	v_cmp_gt_u32_e64 s[0:1], s19, v8
	v_cmp_le_i64_e64 s[2:3], v[6:7], v[4:5]
	v_cmp_le_u32_e32 vcc, s17, v9
	s_and_b64 s[0:1], s[0:1], s[2:3]
	s_or_b64 vcc, vcc, s[0:1]
	v_cndmask_b32_e32 v11, v9, v8, vcc
	v_cndmask_b32_e32 v7, v7, v5, vcc
	;; [unrolled: 1-line block ×3, first 2 shown]
.LBB101_19:
	s_or_b64 exec, exec, s[6:7]
	s_add_u32 s24, s12, s4
	s_addc_u32 s26, s13, s5
	s_add_u32 s12, s12, s22
	v_cndmask_b32_e64 v4, 0, 1, s[20:21]
	s_addc_u32 s13, s13, s23
	v_cmp_gt_u32_e64 s[4:5], s19, v0
	v_cmp_ne_u32_e64 s[0:1], 1, v4
	s_andn2_b64 vcc, exec, s[20:21]
	v_cmp_le_u32_e64 s[2:3], s19, v0
	s_barrier
	s_cbranch_vccnz .LBB101_21
; %bb.20:
	v_subrev_u32_e32 v4, s19, v0
	v_mov_b32_e32 v5, 0
	v_lshlrev_b64 v[8:9], 3, v[4:5]
	v_mov_b32_e32 v4, s13
	v_add_co_u32_e32 v8, vcc, s12, v8
	v_addc_co_u32_e32 v4, vcc, v4, v9, vcc
	v_mov_b32_e32 v9, s26
	v_add_co_u32_e32 v13, vcc, s24, v1
	v_addc_co_u32_e32 v14, vcc, 0, v9, vcc
	v_cndmask_b32_e64 v9, v4, v14, s[4:5]
	v_cndmask_b32_e64 v8, v8, v13, s[4:5]
	global_load_dwordx2 v[8:9], v[8:9], off
	v_or_b32_e32 v15, 0x200, v0
	s_movk_i32 s4, 0x1000
	v_add_co_u32_e32 v13, vcc, s4, v13
	v_subrev_u32_e32 v4, s19, v15
	v_addc_co_u32_e32 v14, vcc, 0, v14, vcc
	v_lshlrev_b64 v[4:5], 3, v[4:5]
	v_mov_b32_e32 v16, s13
	v_add_co_u32_e32 v4, vcc, s12, v4
	v_addc_co_u32_e32 v5, vcc, v16, v5, vcc
	v_cmp_gt_u32_e32 vcc, s19, v15
	v_cndmask_b32_e32 v5, v5, v14, vcc
	v_cndmask_b32_e32 v4, v4, v13, vcc
	s_mov_b64 s[4:5], -1
	s_waitcnt vmcnt(0)
	ds_write_b64 v1, v[8:9]
	s_cbranch_execz .LBB101_22
	s_branch .LBB101_33
.LBB101_21:
	s_mov_b64 s[4:5], 0
                                        ; implicit-def: $vgpr4_vgpr5
.LBB101_22:
	s_mov_b64 s[6:7], 0
                                        ; implicit-def: $vgpr4_vgpr5
	s_and_saveexec_b64 s[8:9], s[2:3]
	s_xor_b64 s[2:3], exec, s[8:9]
	s_cbranch_execnz .LBB101_54
; %bb.23:
	s_andn2_saveexec_b64 s[2:3], s[2:3]
	s_cbranch_execnz .LBB101_57
.LBB101_24:
	s_or_b64 exec, exec, s[2:3]
	s_and_saveexec_b64 s[2:3], s[6:7]
	s_cbranch_execz .LBB101_26
.LBB101_25:
	global_load_dwordx2 v[4:5], v[4:5], off
	s_waitcnt vmcnt(0)
	ds_write_b64 v1, v[4:5]
.LBB101_26:
	s_or_b64 exec, exec, s[2:3]
	v_or_b32_e32 v8, 0x200, v0
	v_cmp_le_u32_e32 vcc, s19, v8
                                        ; implicit-def: $vgpr4_vgpr5
	s_and_saveexec_b64 s[2:3], vcc
	s_xor_b64 s[2:3], exec, s[2:3]
	s_cbranch_execz .LBB101_30
; %bb.27:
	v_subrev_u32_e32 v8, s19, v8
	v_cmp_gt_u32_e32 vcc, s25, v8
	s_mov_b64 s[8:9], s[4:5]
                                        ; implicit-def: $vgpr4_vgpr5
	s_and_saveexec_b64 s[6:7], vcc
; %bb.28:
	v_mov_b32_e32 v9, 0
	v_lshlrev_b64 v[4:5], 3, v[8:9]
	v_mov_b32_e32 v8, s13
	v_add_co_u32_e32 v4, vcc, s12, v4
	v_addc_co_u32_e32 v5, vcc, v8, v5, vcc
	s_or_b64 s[8:9], s[4:5], exec
; %bb.29:
	s_or_b64 exec, exec, s[6:7]
	s_andn2_b64 s[4:5], s[4:5], exec
	s_and_b64 s[6:7], s[8:9], exec
	s_or_b64 s[4:5], s[4:5], s[6:7]
                                        ; implicit-def: $vgpr8
.LBB101_30:
	s_andn2_saveexec_b64 s[2:3], s[2:3]
; %bb.31:
	v_lshlrev_b32_e32 v4, 3, v8
	v_mov_b32_e32 v5, s26
	v_add_co_u32_e32 v4, vcc, s24, v4
	v_addc_co_u32_e32 v5, vcc, 0, v5, vcc
	s_or_b64 s[4:5], s[4:5], exec
; %bb.32:
	s_or_b64 exec, exec, s[2:3]
.LBB101_33:
	s_and_saveexec_b64 s[2:3], s[4:5]
	s_cbranch_execz .LBB101_35
; %bb.34:
	global_load_dwordx2 v[4:5], v[4:5], off
	s_waitcnt vmcnt(0)
	ds_write_b64 v1, v[4:5] offset:4096
.LBB101_35:
	s_or_b64 exec, exec, s[2:3]
	s_and_b64 vcc, exec, s[0:1]
	v_add_u32_e32 v4, s18, v10
	s_waitcnt lgkmcnt(0)
	s_barrier
	s_cbranch_vccnz .LBB101_37
; %bb.36:
	v_lshlrev_b32_e32 v13, 3, v12
	ds_read_b64 v[14:15], v13
	v_mov_b32_e32 v5, 0
	v_lshlrev_b64 v[8:9], 3, v[4:5]
	v_mov_b32_e32 v16, s15
	v_add_co_u32_e32 v8, vcc, s14, v8
	v_addc_co_u32_e32 v9, vcc, v16, v9, vcc
	s_mov_b64 s[0:1], -1
	s_waitcnt lgkmcnt(0)
	global_store_dwordx2 v[8:9], v[14:15], off
	s_cbranch_execz .LBB101_38
	s_branch .LBB101_43
.LBB101_37:
	s_mov_b64 s[0:1], 0
.LBB101_38:
	v_cmp_gt_u32_e32 vcc, s17, v10
	s_and_saveexec_b64 s[2:3], vcc
	s_cbranch_execz .LBB101_40
; %bb.39:
	v_lshlrev_b32_e32 v12, 3, v12
	ds_read_b64 v[12:13], v12
	v_mov_b32_e32 v5, 0
	v_lshlrev_b64 v[8:9], 3, v[4:5]
	v_mov_b32_e32 v5, s15
	v_add_co_u32_e32 v8, vcc, s14, v8
	v_addc_co_u32_e32 v9, vcc, v5, v9, vcc
	s_waitcnt lgkmcnt(0)
	global_store_dwordx2 v[8:9], v[12:13], off
.LBB101_40:
	s_or_b64 exec, exec, s[2:3]
	v_or_b32_e32 v5, 1, v10
	v_cmp_gt_u32_e32 vcc, s17, v5
	s_and_saveexec_b64 s[2:3], vcc
; %bb.41:
	v_mov_b32_e32 v5, 0
	s_or_b64 s[0:1], s[0:1], exec
; %bb.42:
	s_or_b64 exec, exec, s[2:3]
.LBB101_43:
	s_and_saveexec_b64 s[2:3], s[0:1]
	s_cbranch_execz .LBB101_45
; %bb.44:
	v_lshlrev_b32_e32 v8, 3, v11
	ds_read_b64 v[8:9], v8
	v_lshlrev_b64 v[4:5], 3, v[4:5]
	v_mov_b32_e32 v12, s15
	v_add_co_u32_e32 v4, vcc, s14, v4
	v_addc_co_u32_e32 v5, vcc, v12, v5, vcc
	s_waitcnt lgkmcnt(0)
	global_store_dwordx2 v[4:5], v[8:9], off offset:8
.LBB101_45:
	s_or_b64 exec, exec, s[2:3]
	v_lshrrev_b32_e32 v4, 1, v0
	v_and_b32_e32 v4, 0xf8, v4
	v_lshl_add_u32 v4, v10, 3, v4
	s_barrier
	s_barrier
	s_mov_b32 s19, 0
	ds_write2_b64 v4, v[2:3], v[6:7] offset1:1
	v_lshrrev_b32_e32 v2, 2, v0
	s_lshl_b64 s[0:1], s[18:19], 3
	v_and_b32_e32 v2, 0x78, v2
	v_or_b32_e32 v6, 0x200, v0
	s_add_u32 s0, s10, s0
	v_add_u32_e32 v7, v1, v2
	v_lshrrev_b32_e32 v2, 2, v6
	s_addc_u32 s1, s11, s1
	v_and_b32_e32 v2, 0xf8, v2
	v_add_u32_e32 v8, v1, v2
	v_mov_b32_e32 v3, s1
	v_add_co_u32_e32 v2, vcc, s0, v1
	v_addc_co_u32_e32 v3, vcc, 0, v3, vcc
	s_and_b64 vcc, exec, s[20:21]
	s_waitcnt lgkmcnt(0)
	s_cbranch_vccz .LBB101_47
; %bb.46:
	s_barrier
	ds_read_b64 v[10:11], v7
	ds_read_b64 v[4:5], v8 offset:4096
	s_mov_b64 s[0:1], -1
	s_waitcnt lgkmcnt(1)
	global_store_dwordx2 v[2:3], v[10:11], off
	s_cbranch_execz .LBB101_48
	s_branch .LBB101_51
.LBB101_47:
	s_mov_b64 s[0:1], 0
                                        ; implicit-def: $vgpr4_vgpr5
.LBB101_48:
	s_barrier
	s_waitcnt lgkmcnt(0)
	ds_read_b64 v[4:5], v8 offset:4096
	s_sub_i32 s2, s16, s18
	v_cmp_gt_u32_e32 vcc, s2, v0
	s_and_saveexec_b64 s[0:1], vcc
	s_cbranch_execz .LBB101_50
; %bb.49:
	ds_read_b64 v[0:1], v7
	s_waitcnt lgkmcnt(0)
	global_store_dwordx2 v[2:3], v[0:1], off
.LBB101_50:
	s_or_b64 exec, exec, s[0:1]
	v_cmp_gt_u32_e64 s[0:1], s2, v6
.LBB101_51:
	s_and_saveexec_b64 s[2:3], s[0:1]
	s_cbranch_execz .LBB101_53
; %bb.52:
	v_add_co_u32_e32 v0, vcc, 0x1000, v2
	v_addc_co_u32_e32 v1, vcc, 0, v3, vcc
	s_waitcnt lgkmcnt(0)
	global_store_dwordx2 v[0:1], v[4:5], off
.LBB101_53:
	s_endpgm
.LBB101_54:
	v_subrev_u32_e32 v8, s19, v0
	v_cmp_gt_u32_e32 vcc, s25, v8
                                        ; implicit-def: $vgpr4_vgpr5
	s_and_saveexec_b64 s[8:9], vcc
	s_xor_b64 s[8:9], exec, s[8:9]
; %bb.55:
	v_mov_b32_e32 v9, 0
	v_lshlrev_b64 v[4:5], 3, v[8:9]
	v_mov_b32_e32 v8, s13
	v_add_co_u32_e32 v4, vcc, s12, v4
	s_mov_b64 s[6:7], exec
	v_addc_co_u32_e32 v5, vcc, v8, v5, vcc
; %bb.56:
	s_or_b64 exec, exec, s[8:9]
	s_and_b64 s[6:7], s[6:7], exec
	s_andn2_saveexec_b64 s[2:3], s[2:3]
	s_cbranch_execz .LBB101_24
.LBB101_57:
	v_mov_b32_e32 v5, s26
	v_add_co_u32_e32 v4, vcc, s24, v1
	v_addc_co_u32_e32 v5, vcc, 0, v5, vcc
	s_or_b64 s[6:7], s[6:7], exec
	s_or_b64 exec, exec, s[2:3]
	s_and_saveexec_b64 s[2:3], s[6:7]
	s_cbranch_execnz .LBB101_25
	s_branch .LBB101_26
	.section	.rodata,"a",@progbits
	.p2align	6, 0x0
	.amdhsa_kernel _ZN7rocprim17ROCPRIM_304000_NS6detail35device_block_merge_mergepath_kernelINS1_37wrapped_merge_sort_block_merge_configINS0_14default_configElN2at4cuda3cub6detail10OpaqueTypeILi8EEEEEPlSC_PSA_SD_jNS1_19radix_merge_compareILb1ELb0ElNS0_19identity_decomposerEEEEEvT0_T1_T2_T3_T4_SL_jT5_PKSL_NS1_7vsmem_tE
		.amdhsa_group_segment_fixed_size 8448
		.amdhsa_private_segment_fixed_size 0
		.amdhsa_kernarg_size 320
		.amdhsa_user_sgpr_count 6
		.amdhsa_user_sgpr_private_segment_buffer 1
		.amdhsa_user_sgpr_dispatch_ptr 0
		.amdhsa_user_sgpr_queue_ptr 0
		.amdhsa_user_sgpr_kernarg_segment_ptr 1
		.amdhsa_user_sgpr_dispatch_id 0
		.amdhsa_user_sgpr_flat_scratch_init 0
		.amdhsa_user_sgpr_kernarg_preload_length 0
		.amdhsa_user_sgpr_kernarg_preload_offset 0
		.amdhsa_user_sgpr_private_segment_size 0
		.amdhsa_uses_dynamic_stack 0
		.amdhsa_system_sgpr_private_segment_wavefront_offset 0
		.amdhsa_system_sgpr_workgroup_id_x 1
		.amdhsa_system_sgpr_workgroup_id_y 1
		.amdhsa_system_sgpr_workgroup_id_z 1
		.amdhsa_system_sgpr_workgroup_info 0
		.amdhsa_system_vgpr_workitem_id 0
		.amdhsa_next_free_vgpr 17
		.amdhsa_next_free_sgpr 29
		.amdhsa_accum_offset 20
		.amdhsa_reserve_vcc 1
		.amdhsa_reserve_flat_scratch 0
		.amdhsa_float_round_mode_32 0
		.amdhsa_float_round_mode_16_64 0
		.amdhsa_float_denorm_mode_32 3
		.amdhsa_float_denorm_mode_16_64 3
		.amdhsa_dx10_clamp 1
		.amdhsa_ieee_mode 1
		.amdhsa_fp16_overflow 0
		.amdhsa_tg_split 0
		.amdhsa_exception_fp_ieee_invalid_op 0
		.amdhsa_exception_fp_denorm_src 0
		.amdhsa_exception_fp_ieee_div_zero 0
		.amdhsa_exception_fp_ieee_overflow 0
		.amdhsa_exception_fp_ieee_underflow 0
		.amdhsa_exception_fp_ieee_inexact 0
		.amdhsa_exception_int_div_zero 0
	.end_amdhsa_kernel
	.section	.text._ZN7rocprim17ROCPRIM_304000_NS6detail35device_block_merge_mergepath_kernelINS1_37wrapped_merge_sort_block_merge_configINS0_14default_configElN2at4cuda3cub6detail10OpaqueTypeILi8EEEEEPlSC_PSA_SD_jNS1_19radix_merge_compareILb1ELb0ElNS0_19identity_decomposerEEEEEvT0_T1_T2_T3_T4_SL_jT5_PKSL_NS1_7vsmem_tE,"axG",@progbits,_ZN7rocprim17ROCPRIM_304000_NS6detail35device_block_merge_mergepath_kernelINS1_37wrapped_merge_sort_block_merge_configINS0_14default_configElN2at4cuda3cub6detail10OpaqueTypeILi8EEEEEPlSC_PSA_SD_jNS1_19radix_merge_compareILb1ELb0ElNS0_19identity_decomposerEEEEEvT0_T1_T2_T3_T4_SL_jT5_PKSL_NS1_7vsmem_tE,comdat
.Lfunc_end101:
	.size	_ZN7rocprim17ROCPRIM_304000_NS6detail35device_block_merge_mergepath_kernelINS1_37wrapped_merge_sort_block_merge_configINS0_14default_configElN2at4cuda3cub6detail10OpaqueTypeILi8EEEEEPlSC_PSA_SD_jNS1_19radix_merge_compareILb1ELb0ElNS0_19identity_decomposerEEEEEvT0_T1_T2_T3_T4_SL_jT5_PKSL_NS1_7vsmem_tE, .Lfunc_end101-_ZN7rocprim17ROCPRIM_304000_NS6detail35device_block_merge_mergepath_kernelINS1_37wrapped_merge_sort_block_merge_configINS0_14default_configElN2at4cuda3cub6detail10OpaqueTypeILi8EEEEEPlSC_PSA_SD_jNS1_19radix_merge_compareILb1ELb0ElNS0_19identity_decomposerEEEEEvT0_T1_T2_T3_T4_SL_jT5_PKSL_NS1_7vsmem_tE
                                        ; -- End function
	.section	.AMDGPU.csdata,"",@progbits
; Kernel info:
; codeLenInByte = 2056
; NumSgprs: 33
; NumVgprs: 17
; NumAgprs: 0
; TotalNumVgprs: 17
; ScratchSize: 0
; MemoryBound: 1
; FloatMode: 240
; IeeeMode: 1
; LDSByteSize: 8448 bytes/workgroup (compile time only)
; SGPRBlocks: 4
; VGPRBlocks: 2
; NumSGPRsForWavesPerEU: 33
; NumVGPRsForWavesPerEU: 17
; AccumOffset: 20
; Occupancy: 8
; WaveLimiterHint : 1
; COMPUTE_PGM_RSRC2:SCRATCH_EN: 0
; COMPUTE_PGM_RSRC2:USER_SGPR: 6
; COMPUTE_PGM_RSRC2:TRAP_HANDLER: 0
; COMPUTE_PGM_RSRC2:TGID_X_EN: 1
; COMPUTE_PGM_RSRC2:TGID_Y_EN: 1
; COMPUTE_PGM_RSRC2:TGID_Z_EN: 1
; COMPUTE_PGM_RSRC2:TIDIG_COMP_CNT: 0
; COMPUTE_PGM_RSRC3_GFX90A:ACCUM_OFFSET: 4
; COMPUTE_PGM_RSRC3_GFX90A:TG_SPLIT: 0
	.section	.text._ZN7rocprim17ROCPRIM_304000_NS6detail33device_block_merge_oddeven_kernelINS1_37wrapped_merge_sort_block_merge_configINS0_14default_configElN2at4cuda3cub6detail10OpaqueTypeILi8EEEEEPlSC_PSA_SD_jNS1_19radix_merge_compareILb1ELb0ElNS0_19identity_decomposerEEEEEvT0_T1_T2_T3_T4_SL_T5_,"axG",@progbits,_ZN7rocprim17ROCPRIM_304000_NS6detail33device_block_merge_oddeven_kernelINS1_37wrapped_merge_sort_block_merge_configINS0_14default_configElN2at4cuda3cub6detail10OpaqueTypeILi8EEEEEPlSC_PSA_SD_jNS1_19radix_merge_compareILb1ELb0ElNS0_19identity_decomposerEEEEEvT0_T1_T2_T3_T4_SL_T5_,comdat
	.protected	_ZN7rocprim17ROCPRIM_304000_NS6detail33device_block_merge_oddeven_kernelINS1_37wrapped_merge_sort_block_merge_configINS0_14default_configElN2at4cuda3cub6detail10OpaqueTypeILi8EEEEEPlSC_PSA_SD_jNS1_19radix_merge_compareILb1ELb0ElNS0_19identity_decomposerEEEEEvT0_T1_T2_T3_T4_SL_T5_ ; -- Begin function _ZN7rocprim17ROCPRIM_304000_NS6detail33device_block_merge_oddeven_kernelINS1_37wrapped_merge_sort_block_merge_configINS0_14default_configElN2at4cuda3cub6detail10OpaqueTypeILi8EEEEEPlSC_PSA_SD_jNS1_19radix_merge_compareILb1ELb0ElNS0_19identity_decomposerEEEEEvT0_T1_T2_T3_T4_SL_T5_
	.globl	_ZN7rocprim17ROCPRIM_304000_NS6detail33device_block_merge_oddeven_kernelINS1_37wrapped_merge_sort_block_merge_configINS0_14default_configElN2at4cuda3cub6detail10OpaqueTypeILi8EEEEEPlSC_PSA_SD_jNS1_19radix_merge_compareILb1ELb0ElNS0_19identity_decomposerEEEEEvT0_T1_T2_T3_T4_SL_T5_
	.p2align	8
	.type	_ZN7rocprim17ROCPRIM_304000_NS6detail33device_block_merge_oddeven_kernelINS1_37wrapped_merge_sort_block_merge_configINS0_14default_configElN2at4cuda3cub6detail10OpaqueTypeILi8EEEEEPlSC_PSA_SD_jNS1_19radix_merge_compareILb1ELb0ElNS0_19identity_decomposerEEEEEvT0_T1_T2_T3_T4_SL_T5_,@function
_ZN7rocprim17ROCPRIM_304000_NS6detail33device_block_merge_oddeven_kernelINS1_37wrapped_merge_sort_block_merge_configINS0_14default_configElN2at4cuda3cub6detail10OpaqueTypeILi8EEEEEPlSC_PSA_SD_jNS1_19radix_merge_compareILb1ELb0ElNS0_19identity_decomposerEEEEEvT0_T1_T2_T3_T4_SL_T5_: ; @_ZN7rocprim17ROCPRIM_304000_NS6detail33device_block_merge_oddeven_kernelINS1_37wrapped_merge_sort_block_merge_configINS0_14default_configElN2at4cuda3cub6detail10OpaqueTypeILi8EEEEEPlSC_PSA_SD_jNS1_19radix_merge_compareILb1ELb0ElNS0_19identity_decomposerEEEEEvT0_T1_T2_T3_T4_SL_T5_
; %bb.0:
	s_load_dwordx2 s[16:17], s[4:5], 0x20
	s_waitcnt lgkmcnt(0)
	s_lshr_b32 s2, s16, 8
	s_cmp_lg_u32 s6, s2
	s_cselect_b64 s[0:1], -1, 0
	s_cmp_eq_u32 s6, s2
	s_cselect_b64 s[18:19], -1, 0
	s_lshl_b32 s20, s6, 8
	s_sub_i32 s2, s16, s20
	v_cmp_gt_u32_e64 s[2:3], s2, v0
	s_or_b64 s[0:1], s[0:1], s[2:3]
	s_and_saveexec_b64 s[8:9], s[0:1]
	s_cbranch_execz .LBB102_26
; %bb.1:
	s_load_dwordx8 s[8:15], s[4:5], 0x0
	s_mov_b32 s21, 0
	s_lshl_b64 s[0:1], s[20:21], 3
	v_lshlrev_b32_e32 v1, 3, v0
	v_add_u32_e32 v6, s20, v0
	s_waitcnt lgkmcnt(0)
	s_add_u32 s4, s8, s0
	s_addc_u32 s5, s9, s1
	s_add_u32 s0, s12, s0
	s_addc_u32 s1, s13, s1
	global_load_dwordx2 v[2:3], v1, s[0:1]
	global_load_dwordx2 v[4:5], v1, s[4:5]
	s_lshr_b32 s0, s17, 8
	s_sub_i32 s1, 0, s0
	s_and_b32 s1, s6, s1
	s_and_b32 s0, s1, s0
	s_lshl_b32 s22, s1, 8
	s_sub_i32 s6, 0, s17
	s_cmp_eq_u32 s0, 0
	s_cselect_b64 s[0:1], -1, 0
	s_and_b64 s[4:5], s[0:1], exec
	s_cselect_b32 s21, s17, s6
	s_add_i32 s21, s21, s22
	s_cmp_lt_u32 s21, s16
	s_cbranch_scc1 .LBB102_6
; %bb.2:
	s_and_b64 vcc, exec, s[18:19]
	s_cbranch_vccz .LBB102_7
; %bb.3:
	v_cmp_gt_u32_e32 vcc, s16, v6
	s_mov_b64 s[6:7], 0
	s_mov_b64 s[4:5], 0
                                        ; implicit-def: $vgpr0_vgpr1
	s_and_saveexec_b64 s[12:13], vcc
	s_cbranch_execz .LBB102_5
; %bb.4:
	v_mov_b32_e32 v7, 0
	v_lshlrev_b64 v[8:9], 3, v[6:7]
	v_mov_b32_e32 v1, s15
	v_add_co_u32_e32 v0, vcc, s14, v8
	v_addc_co_u32_e32 v1, vcc, v1, v9, vcc
	v_mov_b32_e32 v7, s11
	v_add_co_u32_e32 v8, vcc, s10, v8
	s_mov_b64 s[4:5], exec
	v_addc_co_u32_e32 v9, vcc, v7, v9, vcc
	s_waitcnt vmcnt(0)
	global_store_dwordx2 v[8:9], v[4:5], off
.LBB102_5:
	s_or_b64 exec, exec, s[12:13]
	s_and_b64 vcc, exec, s[6:7]
	s_cbranch_vccnz .LBB102_8
	s_branch .LBB102_9
.LBB102_6:
	s_mov_b64 s[4:5], 0
                                        ; implicit-def: $vgpr0_vgpr1
	s_cbranch_execnz .LBB102_10
	s_branch .LBB102_24
.LBB102_7:
	s_mov_b64 s[4:5], 0
                                        ; implicit-def: $vgpr0_vgpr1
	s_cbranch_execz .LBB102_9
.LBB102_8:
	v_mov_b32_e32 v7, 0
	v_lshlrev_b64 v[0:1], 3, v[6:7]
	v_mov_b32_e32 v7, s11
	v_add_co_u32_e32 v8, vcc, s10, v0
	v_addc_co_u32_e32 v9, vcc, v7, v1, vcc
	v_mov_b32_e32 v7, s15
	v_add_co_u32_e32 v0, vcc, s14, v0
	v_addc_co_u32_e32 v1, vcc, v7, v1, vcc
	s_or_b64 s[4:5], s[4:5], exec
	s_waitcnt vmcnt(0)
	global_store_dwordx2 v[8:9], v[4:5], off
.LBB102_9:
	s_branch .LBB102_24
.LBB102_10:
	s_min_u32 s12, s21, s16
	s_add_i32 s6, s12, s17
	s_min_u32 s13, s6, s16
	s_min_u32 s6, s22, s12
	s_add_i32 s22, s22, s12
	v_subrev_u32_e32 v0, s22, v6
	v_add_u32_e32 v6, s6, v0
	s_and_b64 vcc, exec, s[18:19]
	s_cbranch_vccz .LBB102_18
; %bb.11:
                                        ; implicit-def: $vgpr0_vgpr1
	s_and_saveexec_b64 s[6:7], s[2:3]
	s_cbranch_execz .LBB102_17
; %bb.12:
	s_cmp_ge_u32 s21, s13
	v_mov_b32_e32 v7, s12
	s_cbranch_scc1 .LBB102_16
; %bb.13:
	s_mov_b64 s[2:3], 0
	v_mov_b32_e32 v8, s13
	v_mov_b32_e32 v7, s12
	v_mov_b32_e32 v1, 0
	v_mov_b32_e32 v9, s9
.LBB102_14:                             ; =>This Inner Loop Header: Depth=1
	v_add_u32_e32 v0, v7, v8
	v_lshrrev_b32_e32 v0, 1, v0
	v_lshlrev_b64 v[10:11], 3, v[0:1]
	v_add_co_u32_e32 v10, vcc, s8, v10
	v_addc_co_u32_e32 v11, vcc, v9, v11, vcc
	global_load_dwordx2 v[10:11], v[10:11], off
	v_add_u32_e32 v12, 1, v0
	s_waitcnt vmcnt(0)
	v_cmp_gt_i64_e32 vcc, v[10:11], v[4:5]
	v_cndmask_b32_e64 v13, 0, 1, vcc
	v_cmp_le_i64_e32 vcc, v[4:5], v[10:11]
	v_cndmask_b32_e64 v10, 0, 1, vcc
	v_cndmask_b32_e64 v10, v10, v13, s[0:1]
	v_and_b32_e32 v10, 1, v10
	v_cmp_eq_u32_e32 vcc, 1, v10
	v_cndmask_b32_e32 v8, v0, v8, vcc
	v_cndmask_b32_e32 v7, v7, v12, vcc
	v_cmp_ge_u32_e32 vcc, v7, v8
	s_or_b64 s[2:3], vcc, s[2:3]
	s_andn2_b64 exec, exec, s[2:3]
	s_cbranch_execnz .LBB102_14
; %bb.15:
	s_or_b64 exec, exec, s[2:3]
.LBB102_16:
	v_add_u32_e32 v0, v7, v6
	v_mov_b32_e32 v1, 0
	v_lshlrev_b64 v[0:1], 3, v[0:1]
	v_mov_b32_e32 v7, s11
	v_add_co_u32_e32 v8, vcc, s10, v0
	v_addc_co_u32_e32 v9, vcc, v7, v1, vcc
	v_mov_b32_e32 v7, s15
	v_add_co_u32_e32 v0, vcc, s14, v0
	s_waitcnt vmcnt(0)
	global_store_dwordx2 v[8:9], v[4:5], off
	v_addc_co_u32_e32 v1, vcc, v7, v1, vcc
	s_or_b64 s[4:5], s[4:5], exec
.LBB102_17:
	s_or_b64 exec, exec, s[6:7]
	s_branch .LBB102_24
.LBB102_18:
                                        ; implicit-def: $vgpr0_vgpr1
	s_cbranch_execz .LBB102_24
; %bb.19:
	s_cmp_ge_u32 s21, s13
	v_mov_b32_e32 v7, s12
	s_cbranch_scc1 .LBB102_23
; %bb.20:
	s_mov_b64 s[2:3], 0
	v_mov_b32_e32 v8, s13
	v_mov_b32_e32 v7, s12
	;; [unrolled: 1-line block ×4, first 2 shown]
.LBB102_21:                             ; =>This Inner Loop Header: Depth=1
	v_add_u32_e32 v0, v7, v8
	v_lshrrev_b32_e32 v0, 1, v0
	v_lshlrev_b64 v[10:11], 3, v[0:1]
	v_add_co_u32_e32 v10, vcc, s8, v10
	v_addc_co_u32_e32 v11, vcc, v9, v11, vcc
	global_load_dwordx2 v[10:11], v[10:11], off
	v_add_u32_e32 v12, 1, v0
	s_waitcnt vmcnt(0)
	v_cmp_gt_i64_e32 vcc, v[10:11], v[4:5]
	v_cndmask_b32_e64 v13, 0, 1, vcc
	v_cmp_le_i64_e32 vcc, v[4:5], v[10:11]
	v_cndmask_b32_e64 v10, 0, 1, vcc
	v_cndmask_b32_e64 v10, v10, v13, s[0:1]
	v_and_b32_e32 v10, 1, v10
	v_cmp_eq_u32_e32 vcc, 1, v10
	v_cndmask_b32_e32 v8, v0, v8, vcc
	v_cndmask_b32_e32 v7, v7, v12, vcc
	v_cmp_ge_u32_e32 vcc, v7, v8
	s_or_b64 s[2:3], vcc, s[2:3]
	s_andn2_b64 exec, exec, s[2:3]
	s_cbranch_execnz .LBB102_21
; %bb.22:
	s_or_b64 exec, exec, s[2:3]
.LBB102_23:
	v_add_u32_e32 v0, v7, v6
	v_mov_b32_e32 v1, 0
	v_lshlrev_b64 v[0:1], 3, v[0:1]
	v_mov_b32_e32 v7, s11
	v_add_co_u32_e32 v6, vcc, s10, v0
	v_addc_co_u32_e32 v7, vcc, v7, v1, vcc
	s_waitcnt vmcnt(0)
	global_store_dwordx2 v[6:7], v[4:5], off
	v_mov_b32_e32 v4, s15
	v_add_co_u32_e32 v0, vcc, s14, v0
	v_addc_co_u32_e32 v1, vcc, v4, v1, vcc
	s_mov_b64 s[4:5], -1
.LBB102_24:
	s_and_b64 exec, exec, s[4:5]
	s_cbranch_execz .LBB102_26
; %bb.25:
	s_waitcnt vmcnt(1)
	global_store_dwordx2 v[0:1], v[2:3], off
.LBB102_26:
	s_endpgm
	.section	.rodata,"a",@progbits
	.p2align	6, 0x0
	.amdhsa_kernel _ZN7rocprim17ROCPRIM_304000_NS6detail33device_block_merge_oddeven_kernelINS1_37wrapped_merge_sort_block_merge_configINS0_14default_configElN2at4cuda3cub6detail10OpaqueTypeILi8EEEEEPlSC_PSA_SD_jNS1_19radix_merge_compareILb1ELb0ElNS0_19identity_decomposerEEEEEvT0_T1_T2_T3_T4_SL_T5_
		.amdhsa_group_segment_fixed_size 0
		.amdhsa_private_segment_fixed_size 0
		.amdhsa_kernarg_size 44
		.amdhsa_user_sgpr_count 6
		.amdhsa_user_sgpr_private_segment_buffer 1
		.amdhsa_user_sgpr_dispatch_ptr 0
		.amdhsa_user_sgpr_queue_ptr 0
		.amdhsa_user_sgpr_kernarg_segment_ptr 1
		.amdhsa_user_sgpr_dispatch_id 0
		.amdhsa_user_sgpr_flat_scratch_init 0
		.amdhsa_user_sgpr_kernarg_preload_length 0
		.amdhsa_user_sgpr_kernarg_preload_offset 0
		.amdhsa_user_sgpr_private_segment_size 0
		.amdhsa_uses_dynamic_stack 0
		.amdhsa_system_sgpr_private_segment_wavefront_offset 0
		.amdhsa_system_sgpr_workgroup_id_x 1
		.amdhsa_system_sgpr_workgroup_id_y 0
		.amdhsa_system_sgpr_workgroup_id_z 0
		.amdhsa_system_sgpr_workgroup_info 0
		.amdhsa_system_vgpr_workitem_id 0
		.amdhsa_next_free_vgpr 14
		.amdhsa_next_free_sgpr 23
		.amdhsa_accum_offset 16
		.amdhsa_reserve_vcc 1
		.amdhsa_reserve_flat_scratch 0
		.amdhsa_float_round_mode_32 0
		.amdhsa_float_round_mode_16_64 0
		.amdhsa_float_denorm_mode_32 3
		.amdhsa_float_denorm_mode_16_64 3
		.amdhsa_dx10_clamp 1
		.amdhsa_ieee_mode 1
		.amdhsa_fp16_overflow 0
		.amdhsa_tg_split 0
		.amdhsa_exception_fp_ieee_invalid_op 0
		.amdhsa_exception_fp_denorm_src 0
		.amdhsa_exception_fp_ieee_div_zero 0
		.amdhsa_exception_fp_ieee_overflow 0
		.amdhsa_exception_fp_ieee_underflow 0
		.amdhsa_exception_fp_ieee_inexact 0
		.amdhsa_exception_int_div_zero 0
	.end_amdhsa_kernel
	.section	.text._ZN7rocprim17ROCPRIM_304000_NS6detail33device_block_merge_oddeven_kernelINS1_37wrapped_merge_sort_block_merge_configINS0_14default_configElN2at4cuda3cub6detail10OpaqueTypeILi8EEEEEPlSC_PSA_SD_jNS1_19radix_merge_compareILb1ELb0ElNS0_19identity_decomposerEEEEEvT0_T1_T2_T3_T4_SL_T5_,"axG",@progbits,_ZN7rocprim17ROCPRIM_304000_NS6detail33device_block_merge_oddeven_kernelINS1_37wrapped_merge_sort_block_merge_configINS0_14default_configElN2at4cuda3cub6detail10OpaqueTypeILi8EEEEEPlSC_PSA_SD_jNS1_19radix_merge_compareILb1ELb0ElNS0_19identity_decomposerEEEEEvT0_T1_T2_T3_T4_SL_T5_,comdat
.Lfunc_end102:
	.size	_ZN7rocprim17ROCPRIM_304000_NS6detail33device_block_merge_oddeven_kernelINS1_37wrapped_merge_sort_block_merge_configINS0_14default_configElN2at4cuda3cub6detail10OpaqueTypeILi8EEEEEPlSC_PSA_SD_jNS1_19radix_merge_compareILb1ELb0ElNS0_19identity_decomposerEEEEEvT0_T1_T2_T3_T4_SL_T5_, .Lfunc_end102-_ZN7rocprim17ROCPRIM_304000_NS6detail33device_block_merge_oddeven_kernelINS1_37wrapped_merge_sort_block_merge_configINS0_14default_configElN2at4cuda3cub6detail10OpaqueTypeILi8EEEEEPlSC_PSA_SD_jNS1_19radix_merge_compareILb1ELb0ElNS0_19identity_decomposerEEEEEvT0_T1_T2_T3_T4_SL_T5_
                                        ; -- End function
	.section	.AMDGPU.csdata,"",@progbits
; Kernel info:
; codeLenInByte = 816
; NumSgprs: 27
; NumVgprs: 14
; NumAgprs: 0
; TotalNumVgprs: 14
; ScratchSize: 0
; MemoryBound: 0
; FloatMode: 240
; IeeeMode: 1
; LDSByteSize: 0 bytes/workgroup (compile time only)
; SGPRBlocks: 3
; VGPRBlocks: 1
; NumSGPRsForWavesPerEU: 27
; NumVGPRsForWavesPerEU: 14
; AccumOffset: 16
; Occupancy: 8
; WaveLimiterHint : 0
; COMPUTE_PGM_RSRC2:SCRATCH_EN: 0
; COMPUTE_PGM_RSRC2:USER_SGPR: 6
; COMPUTE_PGM_RSRC2:TRAP_HANDLER: 0
; COMPUTE_PGM_RSRC2:TGID_X_EN: 1
; COMPUTE_PGM_RSRC2:TGID_Y_EN: 0
; COMPUTE_PGM_RSRC2:TGID_Z_EN: 0
; COMPUTE_PGM_RSRC2:TIDIG_COMP_CNT: 0
; COMPUTE_PGM_RSRC3_GFX90A:ACCUM_OFFSET: 3
; COMPUTE_PGM_RSRC3_GFX90A:TG_SPLIT: 0
	.section	.text._ZN7rocprim17ROCPRIM_304000_NS6detail16transform_kernelINS1_24wrapped_transform_configINS0_14default_configElEElPlS6_NS0_8identityIlEEEEvT1_mT2_T3_,"axG",@progbits,_ZN7rocprim17ROCPRIM_304000_NS6detail16transform_kernelINS1_24wrapped_transform_configINS0_14default_configElEElPlS6_NS0_8identityIlEEEEvT1_mT2_T3_,comdat
	.protected	_ZN7rocprim17ROCPRIM_304000_NS6detail16transform_kernelINS1_24wrapped_transform_configINS0_14default_configElEElPlS6_NS0_8identityIlEEEEvT1_mT2_T3_ ; -- Begin function _ZN7rocprim17ROCPRIM_304000_NS6detail16transform_kernelINS1_24wrapped_transform_configINS0_14default_configElEElPlS6_NS0_8identityIlEEEEvT1_mT2_T3_
	.globl	_ZN7rocprim17ROCPRIM_304000_NS6detail16transform_kernelINS1_24wrapped_transform_configINS0_14default_configElEElPlS6_NS0_8identityIlEEEEvT1_mT2_T3_
	.p2align	8
	.type	_ZN7rocprim17ROCPRIM_304000_NS6detail16transform_kernelINS1_24wrapped_transform_configINS0_14default_configElEElPlS6_NS0_8identityIlEEEEvT1_mT2_T3_,@function
_ZN7rocprim17ROCPRIM_304000_NS6detail16transform_kernelINS1_24wrapped_transform_configINS0_14default_configElEElPlS6_NS0_8identityIlEEEEvT1_mT2_T3_: ; @_ZN7rocprim17ROCPRIM_304000_NS6detail16transform_kernelINS1_24wrapped_transform_configINS0_14default_configElEElPlS6_NS0_8identityIlEEEEvT1_mT2_T3_
; %bb.0:
	s_load_dword s7, s[4:5], 0x20
	s_load_dwordx4 s[0:3], s[4:5], 0x0
	s_load_dwordx2 s[8:9], s[4:5], 0x10
	s_lshl_b32 s10, s6, 9
	s_mov_b32 s11, 0
	s_waitcnt lgkmcnt(0)
	s_add_i32 s7, s7, -1
	s_lshl_b64 s[4:5], s[10:11], 3
	s_add_u32 s0, s0, s4
	s_addc_u32 s1, s1, s5
	v_lshlrev_b32_e32 v1, 3, v0
	v_mov_b32_e32 v2, s1
	v_add_co_u32_e32 v6, vcc, s0, v1
	s_cmp_lg_u32 s6, s7
	v_addc_co_u32_e32 v7, vcc, 0, v2, vcc
	s_cbranch_scc0 .LBB103_2
; %bb.1:
	global_load_dwordx2 v[2:3], v[6:7], off
	global_load_dwordx2 v[4:5], v[6:7], off offset:2048
	s_add_u32 s6, s8, s4
	s_addc_u32 s7, s9, s5
	s_waitcnt vmcnt(1)
	global_store_dwordx2 v1, v[2:3], s[6:7]
	s_mov_b64 s[6:7], -1
	s_cbranch_execz .LBB103_3
	s_branch .LBB103_10
.LBB103_2:
	s_mov_b64 s[6:7], 0
                                        ; implicit-def: $vgpr4_vgpr5
.LBB103_3:
	s_sub_i32 s2, s2, s10
	v_cmp_gt_u32_e32 vcc, s2, v0
                                        ; implicit-def: $vgpr2_vgpr3_vgpr4_vgpr5
	s_and_saveexec_b64 s[0:1], vcc
	s_cbranch_execz .LBB103_5
; %bb.4:
	global_load_dwordx2 v[2:3], v[6:7], off
.LBB103_5:
	s_or_b64 exec, exec, s[0:1]
	v_or_b32_e32 v0, 0x100, v0
	v_cmp_gt_u32_e64 s[0:1], s2, v0
	s_and_saveexec_b64 s[2:3], s[0:1]
	s_cbranch_execnz .LBB103_13
; %bb.6:
	s_or_b64 exec, exec, s[2:3]
	s_and_saveexec_b64 s[2:3], vcc
	s_cbranch_execnz .LBB103_14
.LBB103_7:
	s_or_b64 exec, exec, s[2:3]
	s_and_saveexec_b64 s[2:3], s[0:1]
.LBB103_8:
	s_or_b64 s[6:7], s[6:7], exec
.LBB103_9:
	s_or_b64 exec, exec, s[2:3]
.LBB103_10:
	s_and_saveexec_b64 s[0:1], s[6:7]
	s_cbranch_execnz .LBB103_12
; %bb.11:
	s_endpgm
.LBB103_12:
	s_add_u32 s0, s8, s4
	s_addc_u32 s1, s9, s5
	s_waitcnt vmcnt(0)
	global_store_dwordx2 v1, v[4:5], s[0:1] offset:2048
	s_endpgm
.LBB103_13:
	global_load_dwordx2 v[4:5], v[6:7], off offset:2048
	s_or_b64 exec, exec, s[2:3]
	s_and_saveexec_b64 s[2:3], vcc
	s_cbranch_execz .LBB103_7
.LBB103_14:
	s_add_u32 s10, s8, s4
	s_addc_u32 s11, s9, s5
	s_waitcnt vmcnt(0)
	global_store_dwordx2 v1, v[2:3], s[10:11]
	s_or_b64 exec, exec, s[2:3]
	s_and_saveexec_b64 s[2:3], s[0:1]
	s_cbranch_execnz .LBB103_8
	s_branch .LBB103_9
	.section	.rodata,"a",@progbits
	.p2align	6, 0x0
	.amdhsa_kernel _ZN7rocprim17ROCPRIM_304000_NS6detail16transform_kernelINS1_24wrapped_transform_configINS0_14default_configElEElPlS6_NS0_8identityIlEEEEvT1_mT2_T3_
		.amdhsa_group_segment_fixed_size 0
		.amdhsa_private_segment_fixed_size 0
		.amdhsa_kernarg_size 288
		.amdhsa_user_sgpr_count 6
		.amdhsa_user_sgpr_private_segment_buffer 1
		.amdhsa_user_sgpr_dispatch_ptr 0
		.amdhsa_user_sgpr_queue_ptr 0
		.amdhsa_user_sgpr_kernarg_segment_ptr 1
		.amdhsa_user_sgpr_dispatch_id 0
		.amdhsa_user_sgpr_flat_scratch_init 0
		.amdhsa_user_sgpr_kernarg_preload_length 0
		.amdhsa_user_sgpr_kernarg_preload_offset 0
		.amdhsa_user_sgpr_private_segment_size 0
		.amdhsa_uses_dynamic_stack 0
		.amdhsa_system_sgpr_private_segment_wavefront_offset 0
		.amdhsa_system_sgpr_workgroup_id_x 1
		.amdhsa_system_sgpr_workgroup_id_y 0
		.amdhsa_system_sgpr_workgroup_id_z 0
		.amdhsa_system_sgpr_workgroup_info 0
		.amdhsa_system_vgpr_workitem_id 0
		.amdhsa_next_free_vgpr 8
		.amdhsa_next_free_sgpr 12
		.amdhsa_accum_offset 8
		.amdhsa_reserve_vcc 1
		.amdhsa_reserve_flat_scratch 0
		.amdhsa_float_round_mode_32 0
		.amdhsa_float_round_mode_16_64 0
		.amdhsa_float_denorm_mode_32 3
		.amdhsa_float_denorm_mode_16_64 3
		.amdhsa_dx10_clamp 1
		.amdhsa_ieee_mode 1
		.amdhsa_fp16_overflow 0
		.amdhsa_tg_split 0
		.amdhsa_exception_fp_ieee_invalid_op 0
		.amdhsa_exception_fp_denorm_src 0
		.amdhsa_exception_fp_ieee_div_zero 0
		.amdhsa_exception_fp_ieee_overflow 0
		.amdhsa_exception_fp_ieee_underflow 0
		.amdhsa_exception_fp_ieee_inexact 0
		.amdhsa_exception_int_div_zero 0
	.end_amdhsa_kernel
	.section	.text._ZN7rocprim17ROCPRIM_304000_NS6detail16transform_kernelINS1_24wrapped_transform_configINS0_14default_configElEElPlS6_NS0_8identityIlEEEEvT1_mT2_T3_,"axG",@progbits,_ZN7rocprim17ROCPRIM_304000_NS6detail16transform_kernelINS1_24wrapped_transform_configINS0_14default_configElEElPlS6_NS0_8identityIlEEEEvT1_mT2_T3_,comdat
.Lfunc_end103:
	.size	_ZN7rocprim17ROCPRIM_304000_NS6detail16transform_kernelINS1_24wrapped_transform_configINS0_14default_configElEElPlS6_NS0_8identityIlEEEEvT1_mT2_T3_, .Lfunc_end103-_ZN7rocprim17ROCPRIM_304000_NS6detail16transform_kernelINS1_24wrapped_transform_configINS0_14default_configElEElPlS6_NS0_8identityIlEEEEvT1_mT2_T3_
                                        ; -- End function
	.section	.AMDGPU.csdata,"",@progbits
; Kernel info:
; codeLenInByte = 300
; NumSgprs: 16
; NumVgprs: 8
; NumAgprs: 0
; TotalNumVgprs: 8
; ScratchSize: 0
; MemoryBound: 1
; FloatMode: 240
; IeeeMode: 1
; LDSByteSize: 0 bytes/workgroup (compile time only)
; SGPRBlocks: 1
; VGPRBlocks: 0
; NumSGPRsForWavesPerEU: 16
; NumVGPRsForWavesPerEU: 8
; AccumOffset: 8
; Occupancy: 8
; WaveLimiterHint : 1
; COMPUTE_PGM_RSRC2:SCRATCH_EN: 0
; COMPUTE_PGM_RSRC2:USER_SGPR: 6
; COMPUTE_PGM_RSRC2:TRAP_HANDLER: 0
; COMPUTE_PGM_RSRC2:TGID_X_EN: 1
; COMPUTE_PGM_RSRC2:TGID_Y_EN: 0
; COMPUTE_PGM_RSRC2:TGID_Z_EN: 0
; COMPUTE_PGM_RSRC2:TIDIG_COMP_CNT: 0
; COMPUTE_PGM_RSRC3_GFX90A:ACCUM_OFFSET: 1
; COMPUTE_PGM_RSRC3_GFX90A:TG_SPLIT: 0
	.section	.text._ZN7rocprim17ROCPRIM_304000_NS6detail45device_block_merge_mergepath_partition_kernelINS1_37wrapped_merge_sort_block_merge_configINS0_14default_configElN2at4cuda3cub6detail10OpaqueTypeILi8EEEEEPljNS1_19radix_merge_compareILb1ELb1ElNS0_19identity_decomposerEEEEEvT0_T1_jPSH_T2_SH_,"axG",@progbits,_ZN7rocprim17ROCPRIM_304000_NS6detail45device_block_merge_mergepath_partition_kernelINS1_37wrapped_merge_sort_block_merge_configINS0_14default_configElN2at4cuda3cub6detail10OpaqueTypeILi8EEEEEPljNS1_19radix_merge_compareILb1ELb1ElNS0_19identity_decomposerEEEEEvT0_T1_jPSH_T2_SH_,comdat
	.protected	_ZN7rocprim17ROCPRIM_304000_NS6detail45device_block_merge_mergepath_partition_kernelINS1_37wrapped_merge_sort_block_merge_configINS0_14default_configElN2at4cuda3cub6detail10OpaqueTypeILi8EEEEEPljNS1_19radix_merge_compareILb1ELb1ElNS0_19identity_decomposerEEEEEvT0_T1_jPSH_T2_SH_ ; -- Begin function _ZN7rocprim17ROCPRIM_304000_NS6detail45device_block_merge_mergepath_partition_kernelINS1_37wrapped_merge_sort_block_merge_configINS0_14default_configElN2at4cuda3cub6detail10OpaqueTypeILi8EEEEEPljNS1_19radix_merge_compareILb1ELb1ElNS0_19identity_decomposerEEEEEvT0_T1_jPSH_T2_SH_
	.globl	_ZN7rocprim17ROCPRIM_304000_NS6detail45device_block_merge_mergepath_partition_kernelINS1_37wrapped_merge_sort_block_merge_configINS0_14default_configElN2at4cuda3cub6detail10OpaqueTypeILi8EEEEEPljNS1_19radix_merge_compareILb1ELb1ElNS0_19identity_decomposerEEEEEvT0_T1_jPSH_T2_SH_
	.p2align	8
	.type	_ZN7rocprim17ROCPRIM_304000_NS6detail45device_block_merge_mergepath_partition_kernelINS1_37wrapped_merge_sort_block_merge_configINS0_14default_configElN2at4cuda3cub6detail10OpaqueTypeILi8EEEEEPljNS1_19radix_merge_compareILb1ELb1ElNS0_19identity_decomposerEEEEEvT0_T1_jPSH_T2_SH_,@function
_ZN7rocprim17ROCPRIM_304000_NS6detail45device_block_merge_mergepath_partition_kernelINS1_37wrapped_merge_sort_block_merge_configINS0_14default_configElN2at4cuda3cub6detail10OpaqueTypeILi8EEEEEPljNS1_19radix_merge_compareILb1ELb1ElNS0_19identity_decomposerEEEEEvT0_T1_jPSH_T2_SH_: ; @_ZN7rocprim17ROCPRIM_304000_NS6detail45device_block_merge_mergepath_partition_kernelINS1_37wrapped_merge_sort_block_merge_configINS0_14default_configElN2at4cuda3cub6detail10OpaqueTypeILi8EEEEEPljNS1_19radix_merge_compareILb1ELb1ElNS0_19identity_decomposerEEEEEvT0_T1_jPSH_T2_SH_
; %bb.0:
	s_load_dwordx2 s[8:9], s[4:5], 0x8
	v_lshl_or_b32 v0, s6, 7, v0
	s_waitcnt lgkmcnt(0)
	v_cmp_gt_u32_e32 vcc, s9, v0
	s_and_saveexec_b64 s[0:1], vcc
	s_cbranch_execz .LBB104_6
; %bb.1:
	s_load_dword s6, s[4:5], 0x20
	s_load_dwordx4 s[0:3], s[4:5], 0x10
	s_waitcnt lgkmcnt(0)
	s_lshr_b32 s7, s6, 9
	s_and_b32 s7, s7, 0x7ffffe
	s_add_i32 s9, s7, -1
	s_sub_i32 s7, 0, s7
	v_and_b32_e32 v1, s7, v0
	v_lshlrev_b32_e32 v1, 10, v1
	v_min_u32_e32 v2, s8, v1
	v_add_u32_e32 v1, s6, v1
	v_min_u32_e32 v4, s8, v1
	v_add_u32_e32 v1, s6, v4
	v_and_b32_e32 v3, s9, v0
	v_min_u32_e32 v1, s8, v1
	v_sub_u32_e32 v5, v1, v2
	v_lshlrev_b32_e32 v3, 10, v3
	v_min_u32_e32 v6, v5, v3
	v_sub_u32_e32 v3, v4, v2
	v_sub_u32_e32 v1, v1, v4
	v_sub_u32_e64 v1, v6, v1 clamp
	v_min_u32_e32 v7, v6, v3
	v_cmp_lt_u32_e32 vcc, v1, v7
	s_and_saveexec_b64 s[6:7], vcc
	s_cbranch_execz .LBB104_5
; %bb.2:
	s_load_dwordx2 s[4:5], s[4:5], 0x0
	v_mov_b32_e32 v5, 0
	v_mov_b32_e32 v3, v5
	v_lshlrev_b64 v[8:9], 3, v[2:3]
	v_lshlrev_b64 v[10:11], 3, v[4:5]
	s_waitcnt lgkmcnt(0)
	v_mov_b32_e32 v12, s5
	v_add_co_u32_e32 v3, vcc, s4, v8
	v_addc_co_u32_e32 v8, vcc, v12, v9, vcc
	v_add_co_u32_e32 v9, vcc, s4, v10
	v_addc_co_u32_e32 v10, vcc, v12, v11, vcc
	s_mov_b64 s[4:5], 0
.LBB104_3:                              ; =>This Inner Loop Header: Depth=1
	v_add_u32_e32 v4, v7, v1
	v_lshrrev_b32_e32 v4, 1, v4
	v_lshlrev_b64 v[14:15], 3, v[4:5]
	v_mov_b32_e32 v13, v5
	v_xad_u32 v12, v4, -1, v6
	v_add_co_u32_e32 v14, vcc, v3, v14
	v_addc_co_u32_e32 v15, vcc, v8, v15, vcc
	v_lshlrev_b64 v[12:13], 3, v[12:13]
	v_add_co_u32_e32 v12, vcc, v9, v12
	v_addc_co_u32_e32 v13, vcc, v10, v13, vcc
	global_load_dwordx2 v[14:15], v[14:15], off
	v_add_u32_e32 v11, 1, v4
	global_load_dwordx2 v[12:13], v[12:13], off
	s_waitcnt vmcnt(1)
	v_and_b32_e32 v15, s3, v15
	v_and_b32_e32 v14, s2, v14
	s_waitcnt vmcnt(0)
	v_and_b32_e32 v13, s3, v13
	v_and_b32_e32 v12, s2, v12
	v_cmp_gt_i64_e32 vcc, v[12:13], v[14:15]
	v_cndmask_b32_e32 v7, v7, v4, vcc
	v_cndmask_b32_e32 v1, v11, v1, vcc
	v_cmp_ge_u32_e32 vcc, v1, v7
	s_or_b64 s[4:5], vcc, s[4:5]
	s_andn2_b64 exec, exec, s[4:5]
	s_cbranch_execnz .LBB104_3
; %bb.4:
	s_or_b64 exec, exec, s[4:5]
.LBB104_5:
	s_or_b64 exec, exec, s[6:7]
	v_add_u32_e32 v2, v1, v2
	v_mov_b32_e32 v1, 0
	v_lshlrev_b64 v[0:1], 2, v[0:1]
	v_mov_b32_e32 v3, s1
	v_add_co_u32_e32 v0, vcc, s0, v0
	v_addc_co_u32_e32 v1, vcc, v3, v1, vcc
	global_store_dword v[0:1], v2, off
.LBB104_6:
	s_endpgm
	.section	.rodata,"a",@progbits
	.p2align	6, 0x0
	.amdhsa_kernel _ZN7rocprim17ROCPRIM_304000_NS6detail45device_block_merge_mergepath_partition_kernelINS1_37wrapped_merge_sort_block_merge_configINS0_14default_configElN2at4cuda3cub6detail10OpaqueTypeILi8EEEEEPljNS1_19radix_merge_compareILb1ELb1ElNS0_19identity_decomposerEEEEEvT0_T1_jPSH_T2_SH_
		.amdhsa_group_segment_fixed_size 0
		.amdhsa_private_segment_fixed_size 0
		.amdhsa_kernarg_size 36
		.amdhsa_user_sgpr_count 6
		.amdhsa_user_sgpr_private_segment_buffer 1
		.amdhsa_user_sgpr_dispatch_ptr 0
		.amdhsa_user_sgpr_queue_ptr 0
		.amdhsa_user_sgpr_kernarg_segment_ptr 1
		.amdhsa_user_sgpr_dispatch_id 0
		.amdhsa_user_sgpr_flat_scratch_init 0
		.amdhsa_user_sgpr_kernarg_preload_length 0
		.amdhsa_user_sgpr_kernarg_preload_offset 0
		.amdhsa_user_sgpr_private_segment_size 0
		.amdhsa_uses_dynamic_stack 0
		.amdhsa_system_sgpr_private_segment_wavefront_offset 0
		.amdhsa_system_sgpr_workgroup_id_x 1
		.amdhsa_system_sgpr_workgroup_id_y 0
		.amdhsa_system_sgpr_workgroup_id_z 0
		.amdhsa_system_sgpr_workgroup_info 0
		.amdhsa_system_vgpr_workitem_id 0
		.amdhsa_next_free_vgpr 16
		.amdhsa_next_free_sgpr 10
		.amdhsa_accum_offset 16
		.amdhsa_reserve_vcc 1
		.amdhsa_reserve_flat_scratch 0
		.amdhsa_float_round_mode_32 0
		.amdhsa_float_round_mode_16_64 0
		.amdhsa_float_denorm_mode_32 3
		.amdhsa_float_denorm_mode_16_64 3
		.amdhsa_dx10_clamp 1
		.amdhsa_ieee_mode 1
		.amdhsa_fp16_overflow 0
		.amdhsa_tg_split 0
		.amdhsa_exception_fp_ieee_invalid_op 0
		.amdhsa_exception_fp_denorm_src 0
		.amdhsa_exception_fp_ieee_div_zero 0
		.amdhsa_exception_fp_ieee_overflow 0
		.amdhsa_exception_fp_ieee_underflow 0
		.amdhsa_exception_fp_ieee_inexact 0
		.amdhsa_exception_int_div_zero 0
	.end_amdhsa_kernel
	.section	.text._ZN7rocprim17ROCPRIM_304000_NS6detail45device_block_merge_mergepath_partition_kernelINS1_37wrapped_merge_sort_block_merge_configINS0_14default_configElN2at4cuda3cub6detail10OpaqueTypeILi8EEEEEPljNS1_19radix_merge_compareILb1ELb1ElNS0_19identity_decomposerEEEEEvT0_T1_jPSH_T2_SH_,"axG",@progbits,_ZN7rocprim17ROCPRIM_304000_NS6detail45device_block_merge_mergepath_partition_kernelINS1_37wrapped_merge_sort_block_merge_configINS0_14default_configElN2at4cuda3cub6detail10OpaqueTypeILi8EEEEEPljNS1_19radix_merge_compareILb1ELb1ElNS0_19identity_decomposerEEEEEvT0_T1_jPSH_T2_SH_,comdat
.Lfunc_end104:
	.size	_ZN7rocprim17ROCPRIM_304000_NS6detail45device_block_merge_mergepath_partition_kernelINS1_37wrapped_merge_sort_block_merge_configINS0_14default_configElN2at4cuda3cub6detail10OpaqueTypeILi8EEEEEPljNS1_19radix_merge_compareILb1ELb1ElNS0_19identity_decomposerEEEEEvT0_T1_jPSH_T2_SH_, .Lfunc_end104-_ZN7rocprim17ROCPRIM_304000_NS6detail45device_block_merge_mergepath_partition_kernelINS1_37wrapped_merge_sort_block_merge_configINS0_14default_configElN2at4cuda3cub6detail10OpaqueTypeILi8EEEEEPljNS1_19radix_merge_compareILb1ELb1ElNS0_19identity_decomposerEEEEEvT0_T1_jPSH_T2_SH_
                                        ; -- End function
	.section	.AMDGPU.csdata,"",@progbits
; Kernel info:
; codeLenInByte = 380
; NumSgprs: 14
; NumVgprs: 16
; NumAgprs: 0
; TotalNumVgprs: 16
; ScratchSize: 0
; MemoryBound: 0
; FloatMode: 240
; IeeeMode: 1
; LDSByteSize: 0 bytes/workgroup (compile time only)
; SGPRBlocks: 1
; VGPRBlocks: 1
; NumSGPRsForWavesPerEU: 14
; NumVGPRsForWavesPerEU: 16
; AccumOffset: 16
; Occupancy: 8
; WaveLimiterHint : 0
; COMPUTE_PGM_RSRC2:SCRATCH_EN: 0
; COMPUTE_PGM_RSRC2:USER_SGPR: 6
; COMPUTE_PGM_RSRC2:TRAP_HANDLER: 0
; COMPUTE_PGM_RSRC2:TGID_X_EN: 1
; COMPUTE_PGM_RSRC2:TGID_Y_EN: 0
; COMPUTE_PGM_RSRC2:TGID_Z_EN: 0
; COMPUTE_PGM_RSRC2:TIDIG_COMP_CNT: 0
; COMPUTE_PGM_RSRC3_GFX90A:ACCUM_OFFSET: 3
; COMPUTE_PGM_RSRC3_GFX90A:TG_SPLIT: 0
	.section	.text._ZN7rocprim17ROCPRIM_304000_NS6detail35device_block_merge_mergepath_kernelINS1_37wrapped_merge_sort_block_merge_configINS0_14default_configElN2at4cuda3cub6detail10OpaqueTypeILi8EEEEEPlSC_PSA_SD_jNS1_19radix_merge_compareILb1ELb1ElNS0_19identity_decomposerEEEEEvT0_T1_T2_T3_T4_SL_jT5_PKSL_NS1_7vsmem_tE,"axG",@progbits,_ZN7rocprim17ROCPRIM_304000_NS6detail35device_block_merge_mergepath_kernelINS1_37wrapped_merge_sort_block_merge_configINS0_14default_configElN2at4cuda3cub6detail10OpaqueTypeILi8EEEEEPlSC_PSA_SD_jNS1_19radix_merge_compareILb1ELb1ElNS0_19identity_decomposerEEEEEvT0_T1_T2_T3_T4_SL_jT5_PKSL_NS1_7vsmem_tE,comdat
	.protected	_ZN7rocprim17ROCPRIM_304000_NS6detail35device_block_merge_mergepath_kernelINS1_37wrapped_merge_sort_block_merge_configINS0_14default_configElN2at4cuda3cub6detail10OpaqueTypeILi8EEEEEPlSC_PSA_SD_jNS1_19radix_merge_compareILb1ELb1ElNS0_19identity_decomposerEEEEEvT0_T1_T2_T3_T4_SL_jT5_PKSL_NS1_7vsmem_tE ; -- Begin function _ZN7rocprim17ROCPRIM_304000_NS6detail35device_block_merge_mergepath_kernelINS1_37wrapped_merge_sort_block_merge_configINS0_14default_configElN2at4cuda3cub6detail10OpaqueTypeILi8EEEEEPlSC_PSA_SD_jNS1_19radix_merge_compareILb1ELb1ElNS0_19identity_decomposerEEEEEvT0_T1_T2_T3_T4_SL_jT5_PKSL_NS1_7vsmem_tE
	.globl	_ZN7rocprim17ROCPRIM_304000_NS6detail35device_block_merge_mergepath_kernelINS1_37wrapped_merge_sort_block_merge_configINS0_14default_configElN2at4cuda3cub6detail10OpaqueTypeILi8EEEEEPlSC_PSA_SD_jNS1_19radix_merge_compareILb1ELb1ElNS0_19identity_decomposerEEEEEvT0_T1_T2_T3_T4_SL_jT5_PKSL_NS1_7vsmem_tE
	.p2align	8
	.type	_ZN7rocprim17ROCPRIM_304000_NS6detail35device_block_merge_mergepath_kernelINS1_37wrapped_merge_sort_block_merge_configINS0_14default_configElN2at4cuda3cub6detail10OpaqueTypeILi8EEEEEPlSC_PSA_SD_jNS1_19radix_merge_compareILb1ELb1ElNS0_19identity_decomposerEEEEEvT0_T1_T2_T3_T4_SL_jT5_PKSL_NS1_7vsmem_tE,@function
_ZN7rocprim17ROCPRIM_304000_NS6detail35device_block_merge_mergepath_kernelINS1_37wrapped_merge_sort_block_merge_configINS0_14default_configElN2at4cuda3cub6detail10OpaqueTypeILi8EEEEEPlSC_PSA_SD_jNS1_19radix_merge_compareILb1ELb1ElNS0_19identity_decomposerEEEEEvT0_T1_T2_T3_T4_SL_jT5_PKSL_NS1_7vsmem_tE: ; @_ZN7rocprim17ROCPRIM_304000_NS6detail35device_block_merge_mergepath_kernelINS1_37wrapped_merge_sort_block_merge_configINS0_14default_configElN2at4cuda3cub6detail10OpaqueTypeILi8EEEEEPlSC_PSA_SD_jNS1_19radix_merge_compareILb1ELb1ElNS0_19identity_decomposerEEEEEvT0_T1_T2_T3_T4_SL_jT5_PKSL_NS1_7vsmem_tE
; %bb.0:
	s_load_dwordx2 s[26:27], s[4:5], 0x48
	s_load_dwordx4 s[16:19], s[4:5], 0x20
	s_add_u32 s2, s4, 0x48
	s_addc_u32 s3, s5, 0
	s_waitcnt lgkmcnt(0)
	s_mul_i32 s0, s27, s8
	s_add_i32 s0, s0, s7
	s_mul_i32 s0, s0, s26
	s_add_i32 s0, s0, s6
	s_cmp_ge_u32 s0, s18
	s_cbranch_scc1 .LBB105_53
; %bb.1:
	s_load_dwordx8 s[8:15], s[4:5], 0x0
	s_load_dwordx4 s[20:23], s[4:5], 0x30
	s_lshr_b32 s30, s16, 10
	s_cmp_lg_u32 s0, s30
	s_mov_b32 s1, 0
	s_cselect_b64 s[24:25], -1, 0
	s_lshl_b64 s[4:5], s[0:1], 2
	s_waitcnt lgkmcnt(0)
	s_add_u32 s4, s22, s4
	s_addc_u32 s5, s23, s5
	s_lshr_b32 s7, s17, 9
	s_and_b32 s7, s7, 0x7ffffe
	s_load_dwordx2 s[4:5], s[4:5], 0x0
	s_sub_i32 s7, 0, s7
	s_and_b32 s19, s0, s7
	s_lshl_b32 s23, s19, 10
	s_lshl_b32 s18, s0, 10
	;; [unrolled: 1-line block ×3, first 2 shown]
	s_sub_i32 s22, s18, s23
	s_add_i32 s19, s19, s17
	s_add_i32 s27, s19, s22
	s_waitcnt lgkmcnt(0)
	s_sub_i32 s22, s27, s4
	s_sub_i32 s27, s27, s5
	;; [unrolled: 1-line block ×3, first 2 shown]
	s_min_u32 s22, s16, s22
	s_addk_i32 s27, 0x400
	s_or_b32 s7, s0, s7
	s_min_u32 s23, s16, s19
	s_add_i32 s19, s19, s17
	s_cmp_eq_u32 s7, -1
	s_cselect_b32 s7, s19, s27
	s_cselect_b32 s5, s23, s5
	s_min_u32 s7, s7, s16
	s_sub_i32 s19, s5, s4
	s_mov_b32 s5, s1
	s_sub_i32 s27, s7, s22
	s_lshl_b64 s[4:5], s[4:5], 3
	s_add_u32 s28, s8, s4
	s_mov_b32 s23, s1
	s_addc_u32 s29, s9, s5
	s_lshl_b64 s[22:23], s[22:23], 3
	s_add_u32 s7, s8, s22
	s_addc_u32 s8, s9, s23
	s_cmp_lt_u32 s6, s26
	v_mov_b32_e32 v5, 0
	s_cselect_b32 s1, 12, 18
	global_load_dword v1, v5, s[2:3] offset:14
	s_add_u32 s2, s2, s1
	s_addc_u32 s3, s3, 0
	global_load_ushort v2, v5, s[2:3]
	v_cmp_gt_u32_e32 vcc, s19, v0
	s_cmp_eq_u32 s0, s30
	s_waitcnt vmcnt(1)
	v_lshrrev_b32_e32 v3, 16, v1
	v_and_b32_e32 v1, 0xffff, v1
	v_mul_lo_u32 v1, v1, v3
	s_waitcnt vmcnt(0)
	v_mul_lo_u32 v1, v1, v2
	v_add_u32_e32 v8, v1, v0
	v_lshlrev_b32_e32 v1, 3, v0
	s_cbranch_scc1 .LBB105_3
; %bb.2:
	v_mov_b32_e32 v2, s29
	v_add_co_u32_e64 v6, s[0:1], s28, v1
	v_subrev_u32_e32 v4, s19, v0
	v_addc_co_u32_e64 v7, s[0:1], 0, v2, s[0:1]
	v_lshlrev_b64 v[2:3], 3, v[4:5]
	v_mov_b32_e32 v4, s8
	v_add_co_u32_e64 v2, s[0:1], s7, v2
	v_addc_co_u32_e64 v3, s[0:1], v4, v3, s[0:1]
	v_mov_b32_e32 v9, v5
	v_cndmask_b32_e32 v3, v3, v7, vcc
	v_cndmask_b32_e32 v2, v2, v6, vcc
	v_lshlrev_b64 v[6:7], 3, v[8:9]
	v_mov_b32_e32 v4, s29
	v_add_co_u32_e32 v6, vcc, s28, v6
	v_addc_co_u32_e32 v7, vcc, v4, v7, vcc
	v_subrev_u32_e32 v4, s19, v8
	v_lshlrev_b64 v[4:5], 3, v[4:5]
	v_mov_b32_e32 v9, s8
	v_add_co_u32_e32 v4, vcc, s7, v4
	v_addc_co_u32_e32 v5, vcc, v9, v5, vcc
	v_cmp_gt_u32_e32 vcc, s19, v8
	v_cndmask_b32_e32 v5, v5, v7, vcc
	v_cndmask_b32_e32 v4, v4, v6, vcc
	global_load_dwordx2 v[2:3], v[2:3], off
	s_add_i32 s17, s27, s19
	global_load_dwordx2 v[6:7], v[4:5], off
	s_cbranch_execz .LBB105_4
	s_branch .LBB105_9
.LBB105_3:
                                        ; implicit-def: $vgpr6_vgpr7
                                        ; implicit-def: $sgpr17
                                        ; implicit-def: $vgpr2_vgpr3_vgpr4_vgpr5
.LBB105_4:
	s_add_i32 s17, s27, s19
	v_cmp_gt_u32_e32 vcc, s17, v0
                                        ; implicit-def: $vgpr2_vgpr3
	s_and_saveexec_b64 s[0:1], vcc
	s_cbranch_execz .LBB105_6
; %bb.5:
	s_waitcnt vmcnt(1)
	v_mov_b32_e32 v2, s29
	v_add_co_u32_e32 v4, vcc, s28, v1
	v_mov_b32_e32 v3, 0
	v_addc_co_u32_e32 v5, vcc, 0, v2, vcc
	v_subrev_u32_e32 v2, s19, v0
	v_lshlrev_b64 v[2:3], 3, v[2:3]
	s_waitcnt vmcnt(0)
	v_mov_b32_e32 v6, s8
	v_add_co_u32_e32 v2, vcc, s7, v2
	v_addc_co_u32_e32 v3, vcc, v6, v3, vcc
	v_cmp_gt_u32_e32 vcc, s19, v0
	v_cndmask_b32_e32 v3, v3, v5, vcc
	v_cndmask_b32_e32 v2, v2, v4, vcc
	global_load_dwordx2 v[2:3], v[2:3], off
.LBB105_6:
	s_or_b64 exec, exec, s[0:1]
	v_cmp_gt_u32_e32 vcc, s17, v8
	s_and_saveexec_b64 s[2:3], vcc
                                        ; implicit-def: $vgpr4_vgpr5_vgpr6_vgpr7
	s_cbranch_execz .LBB105_8
; %bb.7:
	v_mov_b32_e32 v9, 0
	v_lshlrev_b64 v[4:5], 3, v[8:9]
	s_waitcnt vmcnt(0)
	v_mov_b32_e32 v6, s29
	v_add_co_u32_e32 v7, vcc, s28, v4
	v_addc_co_u32_e32 v6, vcc, v6, v5, vcc
	v_cmp_gt_u32_e32 vcc, s19, v8
	v_subrev_u32_e32 v8, s19, v8
	v_lshlrev_b64 v[4:5], 3, v[8:9]
	v_mov_b32_e32 v8, s8
	v_add_co_u32_e64 v4, s[0:1], s7, v4
	v_addc_co_u32_e64 v5, s[0:1], v8, v5, s[0:1]
	v_cndmask_b32_e32 v5, v5, v6, vcc
	v_cndmask_b32_e32 v4, v4, v7, vcc
	global_load_dwordx2 v[6:7], v[4:5], off
.LBB105_8:
	s_or_b64 exec, exec, s[2:3]
.LBB105_9:
	v_lshlrev_b32_e32 v10, 1, v0
	v_min_u32_e32 v4, s17, v10
	v_sub_u32_e64 v8, v4, s27 clamp
	v_min_u32_e32 v5, s19, v4
	v_cmp_lt_u32_e32 vcc, v8, v5
	s_waitcnt vmcnt(0)
	ds_write2st64_b64 v1, v[2:3], v[6:7] offset1:8
	s_waitcnt lgkmcnt(0)
	s_barrier
	s_and_saveexec_b64 s[0:1], vcc
	s_cbranch_execz .LBB105_13
; %bb.10:
	v_lshlrev_b32_e32 v9, 3, v4
	v_lshl_add_u32 v9, s19, 3, v9
	s_mov_b64 s[2:3], 0
.LBB105_11:                             ; =>This Inner Loop Header: Depth=1
	v_add_u32_e32 v11, v5, v8
	v_lshrrev_b32_e32 v11, 1, v11
	v_not_b32_e32 v14, v11
	v_lshlrev_b32_e32 v12, 3, v11
	v_lshl_add_u32 v14, v14, 3, v9
	ds_read_b64 v[12:13], v12
	ds_read_b64 v[14:15], v14
	v_add_u32_e32 v16, 1, v11
	s_waitcnt lgkmcnt(1)
	v_and_b32_e32 v13, s21, v13
	v_and_b32_e32 v12, s20, v12
	s_waitcnt lgkmcnt(0)
	v_and_b32_e32 v15, s21, v15
	v_and_b32_e32 v14, s20, v14
	v_cmp_gt_i64_e32 vcc, v[14:15], v[12:13]
	v_cndmask_b32_e32 v5, v5, v11, vcc
	v_cndmask_b32_e32 v8, v16, v8, vcc
	v_cmp_ge_u32_e32 vcc, v8, v5
	s_or_b64 s[2:3], vcc, s[2:3]
	s_andn2_b64 exec, exec, s[2:3]
	s_cbranch_execnz .LBB105_11
; %bb.12:
	s_or_b64 exec, exec, s[2:3]
.LBB105_13:
	s_or_b64 exec, exec, s[0:1]
	v_sub_u32_e32 v4, v4, v8
	v_add_u32_e32 v9, s19, v4
	v_cmp_ge_u32_e32 vcc, s19, v8
	v_cmp_ge_u32_e64 s[0:1], s17, v9
	s_or_b64 s[0:1], vcc, s[0:1]
                                        ; implicit-def: $vgpr11
                                        ; implicit-def: $vgpr12
	s_and_saveexec_b64 s[6:7], s[0:1]
	s_cbranch_execz .LBB105_19
; %bb.14:
	v_cmp_gt_u32_e32 vcc, s19, v8
                                        ; implicit-def: $vgpr4_vgpr5
	s_and_saveexec_b64 s[0:1], vcc
	s_cbranch_execz .LBB105_16
; %bb.15:
	v_lshlrev_b32_e32 v2, 3, v8
	ds_read_b64 v[4:5], v2
.LBB105_16:
	s_or_b64 exec, exec, s[0:1]
	v_cmp_le_u32_e64 s[0:1], s17, v9
	v_cmp_gt_u32_e64 s[2:3], s17, v9
                                        ; implicit-def: $vgpr6_vgpr7
	s_and_saveexec_b64 s[8:9], s[2:3]
	s_cbranch_execz .LBB105_18
; %bb.17:
	v_lshlrev_b32_e32 v2, 3, v9
	ds_read_b64 v[6:7], v2
.LBB105_18:
	s_or_b64 exec, exec, s[8:9]
	s_waitcnt lgkmcnt(0)
	v_and_b32_e32 v3, s21, v7
	v_and_b32_e32 v2, s20, v6
	;; [unrolled: 1-line block ×4, first 2 shown]
	v_cmp_le_i64_e64 s[2:3], v[2:3], v[12:13]
	s_and_b64 s[2:3], vcc, s[2:3]
	s_or_b64 vcc, s[0:1], s[2:3]
	v_mov_b32_e32 v2, s17
	v_mov_b32_e32 v3, s19
	v_cndmask_b32_e32 v12, v9, v8, vcc
	v_cndmask_b32_e32 v2, v2, v3, vcc
	v_add_u32_e32 v11, 1, v12
	v_add_u32_e32 v2, -1, v2
	v_min_u32_e32 v2, v11, v2
	v_lshlrev_b32_e32 v2, 3, v2
	ds_read_b64 v[14:15], v2
	v_cndmask_b32_e32 v3, v7, v5, vcc
	v_cndmask_b32_e32 v2, v6, v4, vcc
	;; [unrolled: 1-line block ×4, first 2 shown]
	s_waitcnt lgkmcnt(0)
	v_cndmask_b32_e32 v13, v15, v7, vcc
	v_cndmask_b32_e32 v16, v14, v6, vcc
	;; [unrolled: 1-line block ×4, first 2 shown]
	v_and_b32_e32 v5, s21, v13
	v_and_b32_e32 v4, s20, v16
	;; [unrolled: 1-line block ×4, first 2 shown]
	v_cmp_gt_u32_e64 s[0:1], s19, v8
	v_cmp_le_i64_e64 s[2:3], v[4:5], v[6:7]
	v_cmp_le_u32_e32 vcc, s17, v9
	s_and_b64 s[0:1], s[0:1], s[2:3]
	s_or_b64 vcc, vcc, s[0:1]
	v_cndmask_b32_e32 v11, v9, v8, vcc
	v_cndmask_b32_e32 v7, v13, v15, vcc
	;; [unrolled: 1-line block ×3, first 2 shown]
.LBB105_19:
	s_or_b64 exec, exec, s[6:7]
	s_add_u32 s20, s12, s4
	s_addc_u32 s21, s13, s5
	s_add_u32 s12, s12, s22
	v_cndmask_b32_e64 v4, 0, 1, s[24:25]
	s_addc_u32 s13, s13, s23
	v_cmp_gt_u32_e64 s[4:5], s19, v0
	v_cmp_ne_u32_e64 s[0:1], 1, v4
	s_andn2_b64 vcc, exec, s[24:25]
	v_cmp_le_u32_e64 s[2:3], s19, v0
	s_barrier
	s_cbranch_vccnz .LBB105_21
; %bb.20:
	v_subrev_u32_e32 v4, s19, v0
	v_mov_b32_e32 v5, 0
	v_lshlrev_b64 v[8:9], 3, v[4:5]
	v_mov_b32_e32 v4, s13
	v_add_co_u32_e32 v8, vcc, s12, v8
	v_addc_co_u32_e32 v4, vcc, v4, v9, vcc
	v_mov_b32_e32 v9, s21
	v_add_co_u32_e32 v13, vcc, s20, v1
	v_addc_co_u32_e32 v14, vcc, 0, v9, vcc
	v_cndmask_b32_e64 v9, v4, v14, s[4:5]
	v_cndmask_b32_e64 v8, v8, v13, s[4:5]
	global_load_dwordx2 v[8:9], v[8:9], off
	v_or_b32_e32 v15, 0x200, v0
	s_movk_i32 s4, 0x1000
	v_add_co_u32_e32 v13, vcc, s4, v13
	v_subrev_u32_e32 v4, s19, v15
	v_addc_co_u32_e32 v14, vcc, 0, v14, vcc
	v_lshlrev_b64 v[4:5], 3, v[4:5]
	v_mov_b32_e32 v16, s13
	v_add_co_u32_e32 v4, vcc, s12, v4
	v_addc_co_u32_e32 v5, vcc, v16, v5, vcc
	v_cmp_gt_u32_e32 vcc, s19, v15
	v_cndmask_b32_e32 v5, v5, v14, vcc
	v_cndmask_b32_e32 v4, v4, v13, vcc
	s_mov_b64 s[4:5], -1
	s_waitcnt vmcnt(0)
	ds_write_b64 v1, v[8:9]
	s_cbranch_execz .LBB105_22
	s_branch .LBB105_33
.LBB105_21:
	s_mov_b64 s[4:5], 0
                                        ; implicit-def: $vgpr4_vgpr5
.LBB105_22:
	s_mov_b64 s[6:7], 0
                                        ; implicit-def: $vgpr4_vgpr5
	s_and_saveexec_b64 s[8:9], s[2:3]
	s_xor_b64 s[2:3], exec, s[8:9]
	s_cbranch_execnz .LBB105_54
; %bb.23:
	s_andn2_saveexec_b64 s[2:3], s[2:3]
	s_cbranch_execnz .LBB105_57
.LBB105_24:
	s_or_b64 exec, exec, s[2:3]
	s_and_saveexec_b64 s[2:3], s[6:7]
	s_cbranch_execz .LBB105_26
.LBB105_25:
	global_load_dwordx2 v[4:5], v[4:5], off
	s_waitcnt vmcnt(0)
	ds_write_b64 v1, v[4:5]
.LBB105_26:
	s_or_b64 exec, exec, s[2:3]
	v_or_b32_e32 v8, 0x200, v0
	v_cmp_le_u32_e32 vcc, s19, v8
                                        ; implicit-def: $vgpr4_vgpr5
	s_and_saveexec_b64 s[2:3], vcc
	s_xor_b64 s[2:3], exec, s[2:3]
	s_cbranch_execz .LBB105_30
; %bb.27:
	v_subrev_u32_e32 v8, s19, v8
	v_cmp_gt_u32_e32 vcc, s27, v8
	s_mov_b64 s[8:9], s[4:5]
                                        ; implicit-def: $vgpr4_vgpr5
	s_and_saveexec_b64 s[6:7], vcc
; %bb.28:
	v_mov_b32_e32 v9, 0
	v_lshlrev_b64 v[4:5], 3, v[8:9]
	v_mov_b32_e32 v8, s13
	v_add_co_u32_e32 v4, vcc, s12, v4
	v_addc_co_u32_e32 v5, vcc, v8, v5, vcc
	s_or_b64 s[8:9], s[4:5], exec
; %bb.29:
	s_or_b64 exec, exec, s[6:7]
	s_andn2_b64 s[4:5], s[4:5], exec
	s_and_b64 s[6:7], s[8:9], exec
	s_or_b64 s[4:5], s[4:5], s[6:7]
                                        ; implicit-def: $vgpr8
.LBB105_30:
	s_andn2_saveexec_b64 s[2:3], s[2:3]
; %bb.31:
	v_lshlrev_b32_e32 v4, 3, v8
	v_mov_b32_e32 v5, s21
	v_add_co_u32_e32 v4, vcc, s20, v4
	v_addc_co_u32_e32 v5, vcc, 0, v5, vcc
	s_or_b64 s[4:5], s[4:5], exec
; %bb.32:
	s_or_b64 exec, exec, s[2:3]
.LBB105_33:
	s_and_saveexec_b64 s[2:3], s[4:5]
	s_cbranch_execz .LBB105_35
; %bb.34:
	global_load_dwordx2 v[4:5], v[4:5], off
	s_waitcnt vmcnt(0)
	ds_write_b64 v1, v[4:5] offset:4096
.LBB105_35:
	s_or_b64 exec, exec, s[2:3]
	s_and_b64 vcc, exec, s[0:1]
	v_add_u32_e32 v4, s18, v10
	s_waitcnt lgkmcnt(0)
	s_barrier
	s_cbranch_vccnz .LBB105_37
; %bb.36:
	v_lshlrev_b32_e32 v13, 3, v12
	ds_read_b64 v[14:15], v13
	v_mov_b32_e32 v5, 0
	v_lshlrev_b64 v[8:9], 3, v[4:5]
	v_mov_b32_e32 v16, s15
	v_add_co_u32_e32 v8, vcc, s14, v8
	v_addc_co_u32_e32 v9, vcc, v16, v9, vcc
	s_mov_b64 s[0:1], -1
	s_waitcnt lgkmcnt(0)
	global_store_dwordx2 v[8:9], v[14:15], off
	s_cbranch_execz .LBB105_38
	s_branch .LBB105_43
.LBB105_37:
	s_mov_b64 s[0:1], 0
.LBB105_38:
	v_cmp_gt_u32_e32 vcc, s17, v10
	s_and_saveexec_b64 s[2:3], vcc
	s_cbranch_execz .LBB105_40
; %bb.39:
	v_lshlrev_b32_e32 v12, 3, v12
	ds_read_b64 v[12:13], v12
	v_mov_b32_e32 v5, 0
	v_lshlrev_b64 v[8:9], 3, v[4:5]
	v_mov_b32_e32 v5, s15
	v_add_co_u32_e32 v8, vcc, s14, v8
	v_addc_co_u32_e32 v9, vcc, v5, v9, vcc
	s_waitcnt lgkmcnt(0)
	global_store_dwordx2 v[8:9], v[12:13], off
.LBB105_40:
	s_or_b64 exec, exec, s[2:3]
	v_or_b32_e32 v5, 1, v10
	v_cmp_gt_u32_e32 vcc, s17, v5
	s_and_saveexec_b64 s[2:3], vcc
; %bb.41:
	v_mov_b32_e32 v5, 0
	s_or_b64 s[0:1], s[0:1], exec
; %bb.42:
	s_or_b64 exec, exec, s[2:3]
.LBB105_43:
	s_and_saveexec_b64 s[2:3], s[0:1]
	s_cbranch_execz .LBB105_45
; %bb.44:
	v_lshlrev_b32_e32 v8, 3, v11
	ds_read_b64 v[8:9], v8
	v_lshlrev_b64 v[4:5], 3, v[4:5]
	v_mov_b32_e32 v12, s15
	v_add_co_u32_e32 v4, vcc, s14, v4
	v_addc_co_u32_e32 v5, vcc, v12, v5, vcc
	s_waitcnt lgkmcnt(0)
	global_store_dwordx2 v[4:5], v[8:9], off offset:8
.LBB105_45:
	s_or_b64 exec, exec, s[2:3]
	v_lshrrev_b32_e32 v4, 1, v0
	v_and_b32_e32 v4, 0xf8, v4
	v_lshl_add_u32 v4, v10, 3, v4
	s_barrier
	s_barrier
	s_mov_b32 s19, 0
	ds_write2_b64 v4, v[2:3], v[6:7] offset1:1
	v_lshrrev_b32_e32 v2, 2, v0
	s_lshl_b64 s[0:1], s[18:19], 3
	v_and_b32_e32 v2, 0x78, v2
	v_or_b32_e32 v6, 0x200, v0
	s_add_u32 s0, s10, s0
	v_add_u32_e32 v7, v1, v2
	v_lshrrev_b32_e32 v2, 2, v6
	s_addc_u32 s1, s11, s1
	v_and_b32_e32 v2, 0xf8, v2
	v_add_u32_e32 v8, v1, v2
	v_mov_b32_e32 v3, s1
	v_add_co_u32_e32 v2, vcc, s0, v1
	v_addc_co_u32_e32 v3, vcc, 0, v3, vcc
	s_and_b64 vcc, exec, s[24:25]
	s_waitcnt lgkmcnt(0)
	s_cbranch_vccz .LBB105_47
; %bb.46:
	s_barrier
	ds_read_b64 v[10:11], v7
	ds_read_b64 v[4:5], v8 offset:4096
	s_mov_b64 s[0:1], -1
	s_waitcnt lgkmcnt(1)
	global_store_dwordx2 v[2:3], v[10:11], off
	s_cbranch_execz .LBB105_48
	s_branch .LBB105_51
.LBB105_47:
	s_mov_b64 s[0:1], 0
                                        ; implicit-def: $vgpr4_vgpr5
.LBB105_48:
	s_barrier
	s_waitcnt lgkmcnt(0)
	ds_read_b64 v[4:5], v8 offset:4096
	s_sub_i32 s2, s16, s18
	v_cmp_gt_u32_e32 vcc, s2, v0
	s_and_saveexec_b64 s[0:1], vcc
	s_cbranch_execz .LBB105_50
; %bb.49:
	ds_read_b64 v[0:1], v7
	s_waitcnt lgkmcnt(0)
	global_store_dwordx2 v[2:3], v[0:1], off
.LBB105_50:
	s_or_b64 exec, exec, s[0:1]
	v_cmp_gt_u32_e64 s[0:1], s2, v6
.LBB105_51:
	s_and_saveexec_b64 s[2:3], s[0:1]
	s_cbranch_execz .LBB105_53
; %bb.52:
	v_add_co_u32_e32 v0, vcc, 0x1000, v2
	v_addc_co_u32_e32 v1, vcc, 0, v3, vcc
	s_waitcnt lgkmcnt(0)
	global_store_dwordx2 v[0:1], v[4:5], off
.LBB105_53:
	s_endpgm
.LBB105_54:
	v_subrev_u32_e32 v8, s19, v0
	v_cmp_gt_u32_e32 vcc, s27, v8
                                        ; implicit-def: $vgpr4_vgpr5
	s_and_saveexec_b64 s[8:9], vcc
	s_xor_b64 s[8:9], exec, s[8:9]
; %bb.55:
	v_mov_b32_e32 v9, 0
	v_lshlrev_b64 v[4:5], 3, v[8:9]
	v_mov_b32_e32 v8, s13
	v_add_co_u32_e32 v4, vcc, s12, v4
	s_mov_b64 s[6:7], exec
	v_addc_co_u32_e32 v5, vcc, v8, v5, vcc
; %bb.56:
	s_or_b64 exec, exec, s[8:9]
	s_and_b64 s[6:7], s[6:7], exec
	s_andn2_saveexec_b64 s[2:3], s[2:3]
	s_cbranch_execz .LBB105_24
.LBB105_57:
	v_mov_b32_e32 v5, s21
	v_add_co_u32_e32 v4, vcc, s20, v1
	v_addc_co_u32_e32 v5, vcc, 0, v5, vcc
	s_or_b64 s[6:7], s[6:7], exec
	s_or_b64 exec, exec, s[2:3]
	s_and_saveexec_b64 s[2:3], s[6:7]
	s_cbranch_execnz .LBB105_25
	s_branch .LBB105_26
	.section	.rodata,"a",@progbits
	.p2align	6, 0x0
	.amdhsa_kernel _ZN7rocprim17ROCPRIM_304000_NS6detail35device_block_merge_mergepath_kernelINS1_37wrapped_merge_sort_block_merge_configINS0_14default_configElN2at4cuda3cub6detail10OpaqueTypeILi8EEEEEPlSC_PSA_SD_jNS1_19radix_merge_compareILb1ELb1ElNS0_19identity_decomposerEEEEEvT0_T1_T2_T3_T4_SL_jT5_PKSL_NS1_7vsmem_tE
		.amdhsa_group_segment_fixed_size 8448
		.amdhsa_private_segment_fixed_size 0
		.amdhsa_kernarg_size 328
		.amdhsa_user_sgpr_count 6
		.amdhsa_user_sgpr_private_segment_buffer 1
		.amdhsa_user_sgpr_dispatch_ptr 0
		.amdhsa_user_sgpr_queue_ptr 0
		.amdhsa_user_sgpr_kernarg_segment_ptr 1
		.amdhsa_user_sgpr_dispatch_id 0
		.amdhsa_user_sgpr_flat_scratch_init 0
		.amdhsa_user_sgpr_kernarg_preload_length 0
		.amdhsa_user_sgpr_kernarg_preload_offset 0
		.amdhsa_user_sgpr_private_segment_size 0
		.amdhsa_uses_dynamic_stack 0
		.amdhsa_system_sgpr_private_segment_wavefront_offset 0
		.amdhsa_system_sgpr_workgroup_id_x 1
		.amdhsa_system_sgpr_workgroup_id_y 1
		.amdhsa_system_sgpr_workgroup_id_z 1
		.amdhsa_system_sgpr_workgroup_info 0
		.amdhsa_system_vgpr_workitem_id 0
		.amdhsa_next_free_vgpr 17
		.amdhsa_next_free_sgpr 31
		.amdhsa_accum_offset 20
		.amdhsa_reserve_vcc 1
		.amdhsa_reserve_flat_scratch 0
		.amdhsa_float_round_mode_32 0
		.amdhsa_float_round_mode_16_64 0
		.amdhsa_float_denorm_mode_32 3
		.amdhsa_float_denorm_mode_16_64 3
		.amdhsa_dx10_clamp 1
		.amdhsa_ieee_mode 1
		.amdhsa_fp16_overflow 0
		.amdhsa_tg_split 0
		.amdhsa_exception_fp_ieee_invalid_op 0
		.amdhsa_exception_fp_denorm_src 0
		.amdhsa_exception_fp_ieee_div_zero 0
		.amdhsa_exception_fp_ieee_overflow 0
		.amdhsa_exception_fp_ieee_underflow 0
		.amdhsa_exception_fp_ieee_inexact 0
		.amdhsa_exception_int_div_zero 0
	.end_amdhsa_kernel
	.section	.text._ZN7rocprim17ROCPRIM_304000_NS6detail35device_block_merge_mergepath_kernelINS1_37wrapped_merge_sort_block_merge_configINS0_14default_configElN2at4cuda3cub6detail10OpaqueTypeILi8EEEEEPlSC_PSA_SD_jNS1_19radix_merge_compareILb1ELb1ElNS0_19identity_decomposerEEEEEvT0_T1_T2_T3_T4_SL_jT5_PKSL_NS1_7vsmem_tE,"axG",@progbits,_ZN7rocprim17ROCPRIM_304000_NS6detail35device_block_merge_mergepath_kernelINS1_37wrapped_merge_sort_block_merge_configINS0_14default_configElN2at4cuda3cub6detail10OpaqueTypeILi8EEEEEPlSC_PSA_SD_jNS1_19radix_merge_compareILb1ELb1ElNS0_19identity_decomposerEEEEEvT0_T1_T2_T3_T4_SL_jT5_PKSL_NS1_7vsmem_tE,comdat
.Lfunc_end105:
	.size	_ZN7rocprim17ROCPRIM_304000_NS6detail35device_block_merge_mergepath_kernelINS1_37wrapped_merge_sort_block_merge_configINS0_14default_configElN2at4cuda3cub6detail10OpaqueTypeILi8EEEEEPlSC_PSA_SD_jNS1_19radix_merge_compareILb1ELb1ElNS0_19identity_decomposerEEEEEvT0_T1_T2_T3_T4_SL_jT5_PKSL_NS1_7vsmem_tE, .Lfunc_end105-_ZN7rocprim17ROCPRIM_304000_NS6detail35device_block_merge_mergepath_kernelINS1_37wrapped_merge_sort_block_merge_configINS0_14default_configElN2at4cuda3cub6detail10OpaqueTypeILi8EEEEEPlSC_PSA_SD_jNS1_19radix_merge_compareILb1ELb1ElNS0_19identity_decomposerEEEEEvT0_T1_T2_T3_T4_SL_jT5_PKSL_NS1_7vsmem_tE
                                        ; -- End function
	.section	.AMDGPU.csdata,"",@progbits
; Kernel info:
; codeLenInByte = 2112
; NumSgprs: 35
; NumVgprs: 17
; NumAgprs: 0
; TotalNumVgprs: 17
; ScratchSize: 0
; MemoryBound: 1
; FloatMode: 240
; IeeeMode: 1
; LDSByteSize: 8448 bytes/workgroup (compile time only)
; SGPRBlocks: 4
; VGPRBlocks: 2
; NumSGPRsForWavesPerEU: 35
; NumVGPRsForWavesPerEU: 17
; AccumOffset: 20
; Occupancy: 8
; WaveLimiterHint : 1
; COMPUTE_PGM_RSRC2:SCRATCH_EN: 0
; COMPUTE_PGM_RSRC2:USER_SGPR: 6
; COMPUTE_PGM_RSRC2:TRAP_HANDLER: 0
; COMPUTE_PGM_RSRC2:TGID_X_EN: 1
; COMPUTE_PGM_RSRC2:TGID_Y_EN: 1
; COMPUTE_PGM_RSRC2:TGID_Z_EN: 1
; COMPUTE_PGM_RSRC2:TIDIG_COMP_CNT: 0
; COMPUTE_PGM_RSRC3_GFX90A:ACCUM_OFFSET: 4
; COMPUTE_PGM_RSRC3_GFX90A:TG_SPLIT: 0
	.section	.text._ZN7rocprim17ROCPRIM_304000_NS6detail33device_block_merge_oddeven_kernelINS1_37wrapped_merge_sort_block_merge_configINS0_14default_configElN2at4cuda3cub6detail10OpaqueTypeILi8EEEEEPlSC_PSA_SD_jNS1_19radix_merge_compareILb1ELb1ElNS0_19identity_decomposerEEEEEvT0_T1_T2_T3_T4_SL_T5_,"axG",@progbits,_ZN7rocprim17ROCPRIM_304000_NS6detail33device_block_merge_oddeven_kernelINS1_37wrapped_merge_sort_block_merge_configINS0_14default_configElN2at4cuda3cub6detail10OpaqueTypeILi8EEEEEPlSC_PSA_SD_jNS1_19radix_merge_compareILb1ELb1ElNS0_19identity_decomposerEEEEEvT0_T1_T2_T3_T4_SL_T5_,comdat
	.protected	_ZN7rocprim17ROCPRIM_304000_NS6detail33device_block_merge_oddeven_kernelINS1_37wrapped_merge_sort_block_merge_configINS0_14default_configElN2at4cuda3cub6detail10OpaqueTypeILi8EEEEEPlSC_PSA_SD_jNS1_19radix_merge_compareILb1ELb1ElNS0_19identity_decomposerEEEEEvT0_T1_T2_T3_T4_SL_T5_ ; -- Begin function _ZN7rocprim17ROCPRIM_304000_NS6detail33device_block_merge_oddeven_kernelINS1_37wrapped_merge_sort_block_merge_configINS0_14default_configElN2at4cuda3cub6detail10OpaqueTypeILi8EEEEEPlSC_PSA_SD_jNS1_19radix_merge_compareILb1ELb1ElNS0_19identity_decomposerEEEEEvT0_T1_T2_T3_T4_SL_T5_
	.globl	_ZN7rocprim17ROCPRIM_304000_NS6detail33device_block_merge_oddeven_kernelINS1_37wrapped_merge_sort_block_merge_configINS0_14default_configElN2at4cuda3cub6detail10OpaqueTypeILi8EEEEEPlSC_PSA_SD_jNS1_19radix_merge_compareILb1ELb1ElNS0_19identity_decomposerEEEEEvT0_T1_T2_T3_T4_SL_T5_
	.p2align	8
	.type	_ZN7rocprim17ROCPRIM_304000_NS6detail33device_block_merge_oddeven_kernelINS1_37wrapped_merge_sort_block_merge_configINS0_14default_configElN2at4cuda3cub6detail10OpaqueTypeILi8EEEEEPlSC_PSA_SD_jNS1_19radix_merge_compareILb1ELb1ElNS0_19identity_decomposerEEEEEvT0_T1_T2_T3_T4_SL_T5_,@function
_ZN7rocprim17ROCPRIM_304000_NS6detail33device_block_merge_oddeven_kernelINS1_37wrapped_merge_sort_block_merge_configINS0_14default_configElN2at4cuda3cub6detail10OpaqueTypeILi8EEEEEPlSC_PSA_SD_jNS1_19radix_merge_compareILb1ELb1ElNS0_19identity_decomposerEEEEEvT0_T1_T2_T3_T4_SL_T5_: ; @_ZN7rocprim17ROCPRIM_304000_NS6detail33device_block_merge_oddeven_kernelINS1_37wrapped_merge_sort_block_merge_configINS0_14default_configElN2at4cuda3cub6detail10OpaqueTypeILi8EEEEEPlSC_PSA_SD_jNS1_19radix_merge_compareILb1ELb1ElNS0_19identity_decomposerEEEEEvT0_T1_T2_T3_T4_SL_T5_
; %bb.0:
	s_load_dwordx2 s[18:19], s[4:5], 0x20
	s_waitcnt lgkmcnt(0)
	s_lshr_b32 s2, s18, 8
	s_cmp_lg_u32 s6, s2
	s_cselect_b64 s[0:1], -1, 0
	s_cmp_eq_u32 s6, s2
	s_cselect_b64 s[16:17], -1, 0
	s_lshl_b32 s20, s6, 8
	s_sub_i32 s2, s18, s20
	v_cmp_gt_u32_e64 s[2:3], s2, v0
	s_or_b64 s[0:1], s[0:1], s[2:3]
	s_and_saveexec_b64 s[8:9], s[0:1]
	s_cbranch_execz .LBB106_26
; %bb.1:
	s_load_dwordx8 s[8:15], s[4:5], 0x0
	s_mov_b32 s21, 0
	s_lshl_b64 s[0:1], s[20:21], 3
	v_lshlrev_b32_e32 v1, 3, v0
	v_add_u32_e32 v6, s20, v0
	s_waitcnt lgkmcnt(0)
	s_add_u32 s22, s8, s0
	s_addc_u32 s23, s9, s1
	s_add_u32 s0, s12, s0
	s_addc_u32 s1, s13, s1
	global_load_dwordx2 v[2:3], v1, s[0:1]
	global_load_dwordx2 v[4:5], v1, s[22:23]
	s_lshr_b32 s0, s19, 8
	s_sub_i32 s1, 0, s0
	s_and_b32 s1, s6, s1
	s_and_b32 s0, s1, s0
	s_lshl_b32 s23, s1, 8
	s_sub_i32 s12, 0, s19
	s_cmp_eq_u32 s0, 0
	s_cselect_b64 s[0:1], -1, 0
	s_and_b64 s[6:7], s[0:1], exec
	s_cselect_b32 s22, s19, s12
	s_add_i32 s22, s22, s23
	s_cmp_lt_u32 s22, s18
	s_cbranch_scc1 .LBB106_6
; %bb.2:
	s_and_b64 vcc, exec, s[16:17]
	s_cbranch_vccz .LBB106_7
; %bb.3:
	v_cmp_gt_u32_e32 vcc, s18, v6
	s_mov_b64 s[12:13], 0
	s_mov_b64 s[6:7], 0
                                        ; implicit-def: $vgpr0_vgpr1
	s_and_saveexec_b64 s[20:21], vcc
	s_cbranch_execz .LBB106_5
; %bb.4:
	v_mov_b32_e32 v7, 0
	v_lshlrev_b64 v[8:9], 3, v[6:7]
	v_mov_b32_e32 v1, s15
	v_add_co_u32_e32 v0, vcc, s14, v8
	v_addc_co_u32_e32 v1, vcc, v1, v9, vcc
	v_mov_b32_e32 v7, s11
	v_add_co_u32_e32 v8, vcc, s10, v8
	s_mov_b64 s[6:7], exec
	v_addc_co_u32_e32 v9, vcc, v7, v9, vcc
	s_waitcnt vmcnt(0)
	global_store_dwordx2 v[8:9], v[4:5], off
.LBB106_5:
	s_or_b64 exec, exec, s[20:21]
	s_and_b64 vcc, exec, s[12:13]
	s_cbranch_vccnz .LBB106_8
	s_branch .LBB106_9
.LBB106_6:
	s_mov_b64 s[6:7], 0
                                        ; implicit-def: $vgpr0_vgpr1
	s_cbranch_execnz .LBB106_10
	s_branch .LBB106_24
.LBB106_7:
	s_mov_b64 s[6:7], 0
                                        ; implicit-def: $vgpr0_vgpr1
	s_cbranch_execz .LBB106_9
.LBB106_8:
	v_mov_b32_e32 v7, 0
	v_lshlrev_b64 v[0:1], 3, v[6:7]
	v_mov_b32_e32 v7, s11
	v_add_co_u32_e32 v8, vcc, s10, v0
	v_addc_co_u32_e32 v9, vcc, v7, v1, vcc
	v_mov_b32_e32 v7, s15
	v_add_co_u32_e32 v0, vcc, s14, v0
	v_addc_co_u32_e32 v1, vcc, v7, v1, vcc
	s_or_b64 s[6:7], s[6:7], exec
	s_waitcnt vmcnt(0)
	global_store_dwordx2 v[8:9], v[4:5], off
.LBB106_9:
	s_branch .LBB106_24
.LBB106_10:
	s_min_u32 s20, s22, s18
	s_load_dwordx2 s[4:5], s[4:5], 0x28
	s_add_i32 s12, s20, s19
	s_min_u32 s18, s12, s18
	s_min_u32 s12, s23, s20
	s_add_i32 s23, s23, s20
	v_subrev_u32_e32 v0, s23, v6
	v_add_u32_e32 v8, s12, v0
	s_and_b64 vcc, exec, s[16:17]
	s_cbranch_vccz .LBB106_18
; %bb.11:
                                        ; implicit-def: $vgpr0_vgpr1
	s_and_saveexec_b64 s[12:13], s[2:3]
	s_cbranch_execz .LBB106_17
; %bb.12:
	s_cmp_ge_u32 s22, s18
	v_mov_b32_e32 v9, s20
	s_cbranch_scc1 .LBB106_16
; %bb.13:
	s_waitcnt vmcnt(0) lgkmcnt(0)
	v_and_b32_e32 v1, s5, v5
	v_and_b32_e32 v0, s4, v4
	s_mov_b64 s[2:3], 0
	v_mov_b32_e32 v10, s18
	v_mov_b32_e32 v9, s20
	;; [unrolled: 1-line block ×4, first 2 shown]
.LBB106_14:                             ; =>This Inner Loop Header: Depth=1
	v_add_u32_e32 v6, v9, v10
	v_lshrrev_b32_e32 v6, 1, v6
	v_lshlrev_b64 v[12:13], 3, v[6:7]
	v_add_co_u32_e32 v12, vcc, s8, v12
	v_addc_co_u32_e32 v13, vcc, v11, v13, vcc
	global_load_dwordx2 v[12:13], v[12:13], off
	v_add_u32_e32 v14, 1, v6
	s_waitcnt vmcnt(0)
	v_and_b32_e32 v13, s5, v13
	v_and_b32_e32 v12, s4, v12
	v_cmp_gt_i64_e32 vcc, v[12:13], v[0:1]
	v_cndmask_b32_e64 v15, 0, 1, vcc
	v_cmp_le_i64_e32 vcc, v[0:1], v[12:13]
	v_cndmask_b32_e64 v12, 0, 1, vcc
	v_cndmask_b32_e64 v12, v12, v15, s[0:1]
	v_and_b32_e32 v12, 1, v12
	v_cmp_eq_u32_e32 vcc, 1, v12
	v_cndmask_b32_e32 v10, v6, v10, vcc
	v_cndmask_b32_e32 v9, v9, v14, vcc
	v_cmp_ge_u32_e32 vcc, v9, v10
	s_or_b64 s[2:3], vcc, s[2:3]
	s_andn2_b64 exec, exec, s[2:3]
	s_cbranch_execnz .LBB106_14
; %bb.15:
	s_or_b64 exec, exec, s[2:3]
.LBB106_16:
	v_add_u32_e32 v0, v9, v8
	v_mov_b32_e32 v1, 0
	v_lshlrev_b64 v[0:1], 3, v[0:1]
	v_mov_b32_e32 v7, s11
	v_add_co_u32_e32 v6, vcc, s10, v0
	v_addc_co_u32_e32 v7, vcc, v7, v1, vcc
	s_waitcnt vmcnt(0)
	global_store_dwordx2 v[6:7], v[4:5], off
	v_mov_b32_e32 v6, s15
	v_add_co_u32_e32 v0, vcc, s14, v0
	v_addc_co_u32_e32 v1, vcc, v6, v1, vcc
	s_or_b64 s[6:7], s[6:7], exec
.LBB106_17:
	s_or_b64 exec, exec, s[12:13]
	s_branch .LBB106_24
.LBB106_18:
                                        ; implicit-def: $vgpr0_vgpr1
	s_cbranch_execz .LBB106_24
; %bb.19:
	s_cmp_ge_u32 s22, s18
	v_mov_b32_e32 v9, s20
	s_cbranch_scc1 .LBB106_23
; %bb.20:
	s_waitcnt vmcnt(0) lgkmcnt(0)
	v_and_b32_e32 v1, s5, v5
	v_and_b32_e32 v0, s4, v4
	s_mov_b64 s[2:3], 0
	v_mov_b32_e32 v10, s18
	v_mov_b32_e32 v9, s20
	;; [unrolled: 1-line block ×4, first 2 shown]
.LBB106_21:                             ; =>This Inner Loop Header: Depth=1
	v_add_u32_e32 v6, v9, v10
	v_lshrrev_b32_e32 v6, 1, v6
	v_lshlrev_b64 v[12:13], 3, v[6:7]
	v_add_co_u32_e32 v12, vcc, s8, v12
	v_addc_co_u32_e32 v13, vcc, v11, v13, vcc
	global_load_dwordx2 v[12:13], v[12:13], off
	v_add_u32_e32 v14, 1, v6
	s_waitcnt vmcnt(0)
	v_and_b32_e32 v13, s5, v13
	v_and_b32_e32 v12, s4, v12
	v_cmp_gt_i64_e32 vcc, v[12:13], v[0:1]
	v_cndmask_b32_e64 v15, 0, 1, vcc
	v_cmp_le_i64_e32 vcc, v[0:1], v[12:13]
	v_cndmask_b32_e64 v12, 0, 1, vcc
	v_cndmask_b32_e64 v12, v12, v15, s[0:1]
	v_and_b32_e32 v12, 1, v12
	v_cmp_eq_u32_e32 vcc, 1, v12
	v_cndmask_b32_e32 v10, v6, v10, vcc
	v_cndmask_b32_e32 v9, v9, v14, vcc
	v_cmp_ge_u32_e32 vcc, v9, v10
	s_or_b64 s[2:3], vcc, s[2:3]
	s_andn2_b64 exec, exec, s[2:3]
	s_cbranch_execnz .LBB106_21
; %bb.22:
	s_or_b64 exec, exec, s[2:3]
.LBB106_23:
	v_add_u32_e32 v0, v9, v8
	v_mov_b32_e32 v1, 0
	v_lshlrev_b64 v[0:1], 3, v[0:1]
	v_mov_b32_e32 v7, s11
	v_add_co_u32_e32 v6, vcc, s10, v0
	v_addc_co_u32_e32 v7, vcc, v7, v1, vcc
	s_waitcnt vmcnt(0)
	global_store_dwordx2 v[6:7], v[4:5], off
	v_mov_b32_e32 v4, s15
	v_add_co_u32_e32 v0, vcc, s14, v0
	v_addc_co_u32_e32 v1, vcc, v4, v1, vcc
	s_mov_b64 s[6:7], -1
.LBB106_24:
	s_and_b64 exec, exec, s[6:7]
	s_cbranch_execz .LBB106_26
; %bb.25:
	s_waitcnt vmcnt(1)
	global_store_dwordx2 v[0:1], v[2:3], off
.LBB106_26:
	s_endpgm
	.section	.rodata,"a",@progbits
	.p2align	6, 0x0
	.amdhsa_kernel _ZN7rocprim17ROCPRIM_304000_NS6detail33device_block_merge_oddeven_kernelINS1_37wrapped_merge_sort_block_merge_configINS0_14default_configElN2at4cuda3cub6detail10OpaqueTypeILi8EEEEEPlSC_PSA_SD_jNS1_19radix_merge_compareILb1ELb1ElNS0_19identity_decomposerEEEEEvT0_T1_T2_T3_T4_SL_T5_
		.amdhsa_group_segment_fixed_size 0
		.amdhsa_private_segment_fixed_size 0
		.amdhsa_kernarg_size 48
		.amdhsa_user_sgpr_count 6
		.amdhsa_user_sgpr_private_segment_buffer 1
		.amdhsa_user_sgpr_dispatch_ptr 0
		.amdhsa_user_sgpr_queue_ptr 0
		.amdhsa_user_sgpr_kernarg_segment_ptr 1
		.amdhsa_user_sgpr_dispatch_id 0
		.amdhsa_user_sgpr_flat_scratch_init 0
		.amdhsa_user_sgpr_kernarg_preload_length 0
		.amdhsa_user_sgpr_kernarg_preload_offset 0
		.amdhsa_user_sgpr_private_segment_size 0
		.amdhsa_uses_dynamic_stack 0
		.amdhsa_system_sgpr_private_segment_wavefront_offset 0
		.amdhsa_system_sgpr_workgroup_id_x 1
		.amdhsa_system_sgpr_workgroup_id_y 0
		.amdhsa_system_sgpr_workgroup_id_z 0
		.amdhsa_system_sgpr_workgroup_info 0
		.amdhsa_system_vgpr_workitem_id 0
		.amdhsa_next_free_vgpr 16
		.amdhsa_next_free_sgpr 24
		.amdhsa_accum_offset 16
		.amdhsa_reserve_vcc 1
		.amdhsa_reserve_flat_scratch 0
		.amdhsa_float_round_mode_32 0
		.amdhsa_float_round_mode_16_64 0
		.amdhsa_float_denorm_mode_32 3
		.amdhsa_float_denorm_mode_16_64 3
		.amdhsa_dx10_clamp 1
		.amdhsa_ieee_mode 1
		.amdhsa_fp16_overflow 0
		.amdhsa_tg_split 0
		.amdhsa_exception_fp_ieee_invalid_op 0
		.amdhsa_exception_fp_denorm_src 0
		.amdhsa_exception_fp_ieee_div_zero 0
		.amdhsa_exception_fp_ieee_overflow 0
		.amdhsa_exception_fp_ieee_underflow 0
		.amdhsa_exception_fp_ieee_inexact 0
		.amdhsa_exception_int_div_zero 0
	.end_amdhsa_kernel
	.section	.text._ZN7rocprim17ROCPRIM_304000_NS6detail33device_block_merge_oddeven_kernelINS1_37wrapped_merge_sort_block_merge_configINS0_14default_configElN2at4cuda3cub6detail10OpaqueTypeILi8EEEEEPlSC_PSA_SD_jNS1_19radix_merge_compareILb1ELb1ElNS0_19identity_decomposerEEEEEvT0_T1_T2_T3_T4_SL_T5_,"axG",@progbits,_ZN7rocprim17ROCPRIM_304000_NS6detail33device_block_merge_oddeven_kernelINS1_37wrapped_merge_sort_block_merge_configINS0_14default_configElN2at4cuda3cub6detail10OpaqueTypeILi8EEEEEPlSC_PSA_SD_jNS1_19radix_merge_compareILb1ELb1ElNS0_19identity_decomposerEEEEEvT0_T1_T2_T3_T4_SL_T5_,comdat
.Lfunc_end106:
	.size	_ZN7rocprim17ROCPRIM_304000_NS6detail33device_block_merge_oddeven_kernelINS1_37wrapped_merge_sort_block_merge_configINS0_14default_configElN2at4cuda3cub6detail10OpaqueTypeILi8EEEEEPlSC_PSA_SD_jNS1_19radix_merge_compareILb1ELb1ElNS0_19identity_decomposerEEEEEvT0_T1_T2_T3_T4_SL_T5_, .Lfunc_end106-_ZN7rocprim17ROCPRIM_304000_NS6detail33device_block_merge_oddeven_kernelINS1_37wrapped_merge_sort_block_merge_configINS0_14default_configElN2at4cuda3cub6detail10OpaqueTypeILi8EEEEEPlSC_PSA_SD_jNS1_19radix_merge_compareILb1ELb1ElNS0_19identity_decomposerEEEEEvT0_T1_T2_T3_T4_SL_T5_
                                        ; -- End function
	.section	.AMDGPU.csdata,"",@progbits
; Kernel info:
; codeLenInByte = 864
; NumSgprs: 28
; NumVgprs: 16
; NumAgprs: 0
; TotalNumVgprs: 16
; ScratchSize: 0
; MemoryBound: 0
; FloatMode: 240
; IeeeMode: 1
; LDSByteSize: 0 bytes/workgroup (compile time only)
; SGPRBlocks: 3
; VGPRBlocks: 1
; NumSGPRsForWavesPerEU: 28
; NumVGPRsForWavesPerEU: 16
; AccumOffset: 16
; Occupancy: 8
; WaveLimiterHint : 0
; COMPUTE_PGM_RSRC2:SCRATCH_EN: 0
; COMPUTE_PGM_RSRC2:USER_SGPR: 6
; COMPUTE_PGM_RSRC2:TRAP_HANDLER: 0
; COMPUTE_PGM_RSRC2:TGID_X_EN: 1
; COMPUTE_PGM_RSRC2:TGID_Y_EN: 0
; COMPUTE_PGM_RSRC2:TGID_Z_EN: 0
; COMPUTE_PGM_RSRC2:TIDIG_COMP_CNT: 0
; COMPUTE_PGM_RSRC3_GFX90A:ACCUM_OFFSET: 3
; COMPUTE_PGM_RSRC3_GFX90A:TG_SPLIT: 0
	.section	.text._ZN7rocprim17ROCPRIM_304000_NS6detail26onesweep_histograms_kernelINS1_34wrapped_radix_sort_onesweep_configINS0_14default_configElN2at4cuda3cub6detail10OpaqueTypeILi8EEEEELb1EPKlmNS0_19identity_decomposerEEEvT1_PT2_SG_SG_T3_jj,"axG",@progbits,_ZN7rocprim17ROCPRIM_304000_NS6detail26onesweep_histograms_kernelINS1_34wrapped_radix_sort_onesweep_configINS0_14default_configElN2at4cuda3cub6detail10OpaqueTypeILi8EEEEELb1EPKlmNS0_19identity_decomposerEEEvT1_PT2_SG_SG_T3_jj,comdat
	.protected	_ZN7rocprim17ROCPRIM_304000_NS6detail26onesweep_histograms_kernelINS1_34wrapped_radix_sort_onesweep_configINS0_14default_configElN2at4cuda3cub6detail10OpaqueTypeILi8EEEEELb1EPKlmNS0_19identity_decomposerEEEvT1_PT2_SG_SG_T3_jj ; -- Begin function _ZN7rocprim17ROCPRIM_304000_NS6detail26onesweep_histograms_kernelINS1_34wrapped_radix_sort_onesweep_configINS0_14default_configElN2at4cuda3cub6detail10OpaqueTypeILi8EEEEELb1EPKlmNS0_19identity_decomposerEEEvT1_PT2_SG_SG_T3_jj
	.globl	_ZN7rocprim17ROCPRIM_304000_NS6detail26onesweep_histograms_kernelINS1_34wrapped_radix_sort_onesweep_configINS0_14default_configElN2at4cuda3cub6detail10OpaqueTypeILi8EEEEELb1EPKlmNS0_19identity_decomposerEEEvT1_PT2_SG_SG_T3_jj
	.p2align	8
	.type	_ZN7rocprim17ROCPRIM_304000_NS6detail26onesweep_histograms_kernelINS1_34wrapped_radix_sort_onesweep_configINS0_14default_configElN2at4cuda3cub6detail10OpaqueTypeILi8EEEEELb1EPKlmNS0_19identity_decomposerEEEvT1_PT2_SG_SG_T3_jj,@function
_ZN7rocprim17ROCPRIM_304000_NS6detail26onesweep_histograms_kernelINS1_34wrapped_radix_sort_onesweep_configINS0_14default_configElN2at4cuda3cub6detail10OpaqueTypeILi8EEEEELb1EPKlmNS0_19identity_decomposerEEEvT1_PT2_SG_SG_T3_jj: ; @_ZN7rocprim17ROCPRIM_304000_NS6detail26onesweep_histograms_kernelINS1_34wrapped_radix_sort_onesweep_configINS0_14default_configElN2at4cuda3cub6detail10OpaqueTypeILi8EEEEELb1EPKlmNS0_19identity_decomposerEEEvT1_PT2_SG_SG_T3_jj
; %bb.0:
	s_load_dwordx8 s[12:19], s[4:5], 0x0
	s_load_dwordx2 s[20:21], s[4:5], 0x24
	s_mov_b32 s7, 0
	s_mul_i32 s1, s6, 0xc000
	s_mul_hi_u32 s0, s6, 0xc000
	s_waitcnt lgkmcnt(0)
	v_pk_mov_b32 v[2:3], s[18:19], s[18:19] op_sel:[0,1]
	v_cmp_ge_u64_e32 vcc, s[6:7], v[2:3]
	s_add_u32 s12, s12, s1
	s_addc_u32 s13, s13, s0
	s_mov_b64 s[0:1], -1
	v_lshlrev_b32_e32 v16, 3, v0
	s_cbranch_vccz .LBB107_44
; %bb.1:
	s_mul_i32 s0, s18, 0xffffe800
	s_add_i32 s16, s0, s16
	v_mov_b32_e32 v1, s13
	v_add_co_u32_e32 v14, vcc, s12, v16
	v_addc_co_u32_e32 v15, vcc, 0, v1, vcc
	v_cmp_gt_u32_e64 s[10:11], s16, v0
                                        ; implicit-def: $vgpr12_vgpr13
	s_and_saveexec_b64 s[0:1], s[10:11]
	s_cbranch_execz .LBB107_3
; %bb.2:
	global_load_dwordx2 v[2:3], v[14:15], off
	s_waitcnt vmcnt(0)
	v_xor_b32_e32 v13, 0x7fffffff, v3
	v_not_b32_e32 v12, v2
.LBB107_3:
	s_or_b64 exec, exec, s[0:1]
	v_or_b32_e32 v1, 0x400, v0
	v_cmp_gt_u32_e64 s[8:9], s16, v1
                                        ; implicit-def: $vgpr10_vgpr11
	s_and_saveexec_b64 s[0:1], s[8:9]
	s_cbranch_execz .LBB107_5
; %bb.4:
	v_add_co_u32_e32 v2, vcc, 0x2000, v14
	v_addc_co_u32_e32 v3, vcc, 0, v15, vcc
	global_load_dwordx2 v[2:3], v[2:3], off
	s_waitcnt vmcnt(0)
	v_xor_b32_e32 v11, 0x7fffffff, v3
	v_not_b32_e32 v10, v2
.LBB107_5:
	s_or_b64 exec, exec, s[0:1]
	v_or_b32_e32 v1, 0x800, v0
	v_cmp_gt_u32_e64 s[6:7], s16, v1
                                        ; implicit-def: $vgpr8_vgpr9
	s_and_saveexec_b64 s[0:1], s[6:7]
	s_cbranch_execz .LBB107_7
; %bb.6:
	v_add_co_u32_e32 v2, vcc, 0x4000, v14
	v_addc_co_u32_e32 v3, vcc, 0, v15, vcc
	global_load_dwordx2 v[2:3], v[2:3], off
	s_waitcnt vmcnt(0)
	v_xor_b32_e32 v9, 0x7fffffff, v3
	v_not_b32_e32 v8, v2
.LBB107_7:
	s_or_b64 exec, exec, s[0:1]
	v_or_b32_e32 v1, 0xc00, v0
	v_cmp_gt_u32_e64 s[4:5], s16, v1
                                        ; implicit-def: $vgpr6_vgpr7
	s_and_saveexec_b64 s[0:1], s[4:5]
	s_cbranch_execz .LBB107_9
; %bb.8:
	v_add_co_u32_e32 v2, vcc, 0x6000, v14
	v_addc_co_u32_e32 v3, vcc, 0, v15, vcc
	global_load_dwordx2 v[2:3], v[2:3], off
	s_waitcnt vmcnt(0)
	v_xor_b32_e32 v7, 0x7fffffff, v3
	v_not_b32_e32 v6, v2
.LBB107_9:
	s_or_b64 exec, exec, s[0:1]
	v_or_b32_e32 v1, 0x1000, v0
	v_cmp_gt_u32_e64 s[2:3], s16, v1
                                        ; implicit-def: $vgpr4_vgpr5
	s_and_saveexec_b64 s[0:1], s[2:3]
	s_cbranch_execz .LBB107_11
; %bb.10:
	v_add_co_u32_e32 v2, vcc, 0x8000, v14
	v_addc_co_u32_e32 v3, vcc, 0, v15, vcc
	global_load_dwordx2 v[2:3], v[2:3], off
	s_waitcnt vmcnt(0)
	v_xor_b32_e32 v5, 0x7fffffff, v3
	v_not_b32_e32 v4, v2
.LBB107_11:
	s_or_b64 exec, exec, s[0:1]
	v_or_b32_e32 v1, 0x1400, v0
	v_cmp_gt_u32_e64 s[0:1], s16, v1
                                        ; implicit-def: $vgpr2_vgpr3
	s_and_saveexec_b64 s[16:17], s[0:1]
	s_cbranch_execz .LBB107_13
; %bb.12:
	v_add_co_u32_e32 v2, vcc, 0xa000, v14
	v_addc_co_u32_e32 v3, vcc, 0, v15, vcc
	global_load_dwordx2 v[2:3], v[2:3], off
	s_waitcnt vmcnt(0)
	v_xor_b32_e32 v3, 0x7fffffff, v3
	v_not_b32_e32 v2, v2
.LBB107_13:
	s_or_b64 exec, exec, s[16:17]
	s_cmp_gt_u32 s21, s20
	v_lshlrev_b32_e32 v1, 2, v0
	v_mov_b32_e32 v14, 0
	s_cselect_b64 s[16:17], -1, 0
	s_cmp_le_u32 s21, s20
	ds_write2st64_b32 v1, v14, v14 offset1:16
	ds_write2st64_b32 v1, v14, v14 offset0:32 offset1:48
	ds_write2st64_b32 v1, v14, v14 offset0:64 offset1:80
	;; [unrolled: 1-line block ×3, first 2 shown]
	s_waitcnt lgkmcnt(0)
	s_barrier
	s_cbranch_scc1 .LBB107_38
; %bb.14:
	v_and_b32_e32 v1, 3, v0
	v_lshlrev_b32_e32 v1, 2, v1
	s_sub_i32 s22, s21, s20
	v_mov_b32_e32 v14, 1
	s_mov_b32 s23, s22
	v_mov_b32_e32 v15, v1
	s_mov_b32 s24, s20
	s_branch .LBB107_16
.LBB107_15:                             ;   in Loop: Header=BB107_16 Depth=1
	s_or_b64 exec, exec, s[18:19]
	s_add_i32 s24, s24, 8
	s_add_i32 s23, s23, -8
	s_cmp_lt_u32 s24, s21
	v_add_u32_e32 v15, 0x1000, v15
	s_cbranch_scc0 .LBB107_18
.LBB107_16:                             ; =>This Inner Loop Header: Depth=1
	s_and_saveexec_b64 s[18:19], s[10:11]
	s_cbranch_execz .LBB107_15
; %bb.17:                               ;   in Loop: Header=BB107_16 Depth=1
	s_min_u32 s25, s23, 8
	v_lshrrev_b64 v[18:19], s24, v[12:13]
	v_bfe_u32 v17, v18, 0, s25
	v_lshl_add_u32 v17, v17, 4, v15
	ds_add_u32 v17, v14
	s_branch .LBB107_15
.LBB107_18:
	v_mov_b32_e32 v12, 1
	s_mov_b32 s18, s22
	v_mov_b32_e32 v13, v1
	s_mov_b32 s19, s20
	s_branch .LBB107_20
.LBB107_19:                             ;   in Loop: Header=BB107_20 Depth=1
	s_or_b64 exec, exec, s[10:11]
	s_add_i32 s19, s19, 8
	s_add_i32 s18, s18, -8
	s_cmp_lt_u32 s19, s21
	v_add_u32_e32 v13, 0x1000, v13
	s_cbranch_scc0 .LBB107_22
.LBB107_20:                             ; =>This Inner Loop Header: Depth=1
	s_and_saveexec_b64 s[10:11], s[8:9]
	s_cbranch_execz .LBB107_19
; %bb.21:                               ;   in Loop: Header=BB107_20 Depth=1
	s_min_u32 s23, s18, 8
	v_lshrrev_b64 v[14:15], s19, v[10:11]
	v_bfe_u32 v14, v14, 0, s23
	v_lshl_add_u32 v14, v14, 4, v13
	ds_add_u32 v14, v12
	s_branch .LBB107_19
.LBB107_22:
	;; [unrolled: 23-line block ×5, first 2 shown]
	v_mov_b32_e32 v4, 1
	s_mov_b32 s4, s20
	s_branch .LBB107_36
.LBB107_35:                             ;   in Loop: Header=BB107_36 Depth=1
	s_or_b64 exec, exec, s[2:3]
	s_add_i32 s4, s4, 8
	s_add_i32 s22, s22, -8
	s_cmp_lt_u32 s4, s21
	v_add_u32_e32 v1, 0x1000, v1
	s_cbranch_scc0 .LBB107_38
.LBB107_36:                             ; =>This Inner Loop Header: Depth=1
	s_and_saveexec_b64 s[2:3], s[0:1]
	s_cbranch_execz .LBB107_35
; %bb.37:                               ;   in Loop: Header=BB107_36 Depth=1
	s_min_u32 s5, s22, 8
	v_lshrrev_b64 v[6:7], s4, v[2:3]
	v_bfe_u32 v5, v6, 0, s5
	v_lshl_add_u32 v5, v5, 4, v1
	ds_add_u32 v5, v4
	s_branch .LBB107_35
.LBB107_38:
	s_and_b64 vcc, exec, s[16:17]
	s_waitcnt lgkmcnt(0)
	s_barrier
	s_cbranch_vccz .LBB107_43
; %bb.39:
	s_movk_i32 s0, 0x100
	v_cmp_gt_u32_e32 vcc, s0, v0
	v_lshlrev_b32_e32 v1, 4, v0
	v_mov_b32_e32 v3, 0
	v_mov_b32_e32 v2, v0
	s_mov_b32 s4, s20
	s_branch .LBB107_41
.LBB107_40:                             ;   in Loop: Header=BB107_41 Depth=1
	s_or_b64 exec, exec, s[2:3]
	s_add_i32 s4, s4, 8
	v_add_u32_e32 v2, 0x100, v2
	s_cmp_lt_u32 s4, s21
	v_add_u32_e32 v1, 0x1000, v1
	s_cbranch_scc0 .LBB107_43
.LBB107_41:                             ; =>This Inner Loop Header: Depth=1
	s_and_saveexec_b64 s[2:3], vcc
	s_cbranch_execz .LBB107_40
; %bb.42:                               ;   in Loop: Header=BB107_41 Depth=1
	ds_read2_b32 v[4:5], v1 offset1:1
	ds_read2_b32 v[6:7], v1 offset0:2 offset1:3
	v_lshlrev_b64 v[8:9], 3, v[2:3]
	v_mov_b32_e32 v10, s15
	s_waitcnt lgkmcnt(1)
	v_add_u32_e32 v4, v5, v4
	s_waitcnt lgkmcnt(0)
	v_add3_u32 v4, v4, v6, v7
	v_add_co_u32_e64 v6, s[0:1], s14, v8
	v_addc_co_u32_e64 v7, s[0:1], v10, v9, s[0:1]
	v_mov_b32_e32 v5, v3
	global_atomic_add_x2 v[6:7], v[4:5], off
	s_branch .LBB107_40
.LBB107_43:
	s_mov_b64 s[0:1], 0
.LBB107_44:
	s_and_b64 vcc, exec, s[0:1]
	s_cbranch_vccz .LBB107_68
; %bb.45:
	v_mov_b32_e32 v1, s13
	v_add_co_u32_e32 v17, vcc, s12, v16
	v_addc_co_u32_e32 v1, vcc, 0, v1, vcc
	v_add_co_u32_e32 v10, vcc, 0x2000, v17
	v_addc_co_u32_e32 v11, vcc, 0, v1, vcc
	;; [unrolled: 2-line block ×5, first 2 shown]
	global_load_dwordx2 v[8:9], v[10:11], off
	global_load_dwordx2 v[4:5], v[12:13], off
	;; [unrolled: 1-line block ×4, first 2 shown]
	v_add_co_u32_e32 v14, vcc, 0xa000, v17
	v_addc_co_u32_e32 v15, vcc, 0, v1, vcc
	global_load_dwordx2 v[12:13], v16, s[12:13]
	global_load_dwordx2 v[10:11], v[14:15], off
	s_cmp_eq_u32 s20, 0
	s_cselect_b64 s[0:1], -1, 0
	s_cmp_eq_u32 s21, 64
	s_cselect_b64 s[2:3], -1, 0
	s_and_b64 s[2:3], s[0:1], s[2:3]
	s_mov_b64 s[0:1], -1
	s_and_b64 vcc, exec, s[2:3]
	v_lshlrev_b32_e32 v17, 2, v0
	s_cbranch_vccnz .LBB107_65
; %bb.46:
	s_cmp_gt_u32 s21, s20
	v_mov_b32_e32 v1, 0
	s_cselect_b64 s[0:1], -1, 0
	s_cmp_le_u32 s21, s20
	ds_write2st64_b32 v17, v1, v1 offset1:16
	ds_write2st64_b32 v17, v1, v1 offset0:32 offset1:48
	ds_write2st64_b32 v17, v1, v1 offset0:64 offset1:80
	;; [unrolled: 1-line block ×3, first 2 shown]
	s_waitcnt lgkmcnt(0)
	s_barrier
	s_cbranch_scc1 .LBB107_59
; %bb.47:
	v_and_b32_e32 v1, 3, v0
	v_lshlrev_b32_e32 v1, 2, v1
	s_sub_i32 s2, s21, s20
	s_waitcnt vmcnt(1)
	v_xor_b32_e32 v15, 0x7fffffff, v13
	v_not_b32_e32 v14, v12
	v_mov_b32_e32 v18, 1
	s_mov_b32 s3, s2
	v_mov_b32_e32 v19, v1
	s_mov_b32 s4, s20
.LBB107_48:                             ; =>This Inner Loop Header: Depth=1
	s_min_u32 s5, s3, 8
	v_lshrrev_b64 v[20:21], s4, v[14:15]
	v_bfe_u32 v20, v20, 0, s5
	v_lshl_add_u32 v20, v20, 4, v19
	ds_add_u32 v20, v18
	s_add_i32 s4, s4, 8
	s_add_i32 s3, s3, -8
	s_cmp_lt_u32 s4, s21
	v_add_u32_e32 v19, 0x1000, v19
	s_cbranch_scc1 .LBB107_48
; %bb.49:
	v_xor_b32_e32 v15, 0x7fffffff, v9
	v_not_b32_e32 v14, v8
	v_mov_b32_e32 v18, 1
	s_mov_b32 s3, s2
	v_mov_b32_e32 v19, v1
	s_mov_b32 s4, s20
.LBB107_50:                             ; =>This Inner Loop Header: Depth=1
	s_min_u32 s5, s3, 8
	v_lshrrev_b64 v[20:21], s4, v[14:15]
	v_bfe_u32 v20, v20, 0, s5
	v_lshl_add_u32 v20, v20, 4, v19
	ds_add_u32 v20, v18
	s_add_i32 s4, s4, 8
	s_add_i32 s3, s3, -8
	s_cmp_lt_u32 s4, s21
	v_add_u32_e32 v19, 0x1000, v19
	s_cbranch_scc1 .LBB107_50
; %bb.51:
	;; [unrolled: 18-line block ×5, first 2 shown]
	s_waitcnt vmcnt(0)
	v_xor_b32_e32 v15, 0x7fffffff, v11
	v_not_b32_e32 v14, v10
	v_mov_b32_e32 v18, 1
	s_mov_b32 s3, s20
.LBB107_58:                             ; =>This Inner Loop Header: Depth=1
	s_min_u32 s4, s2, 8
	v_lshrrev_b64 v[20:21], s3, v[14:15]
	v_bfe_u32 v19, v20, 0, s4
	v_lshl_add_u32 v19, v19, 4, v1
	ds_add_u32 v19, v18
	s_add_i32 s3, s3, 8
	s_add_i32 s2, s2, -8
	s_cmp_lt_u32 s3, s21
	v_add_u32_e32 v1, 0x1000, v1
	s_cbranch_scc1 .LBB107_58
.LBB107_59:
	s_and_b64 vcc, exec, s[0:1]
	s_waitcnt lgkmcnt(0)
	s_barrier
	s_cbranch_vccz .LBB107_64
; %bb.60:
	s_movk_i32 s0, 0x100
	v_cmp_gt_u32_e32 vcc, s0, v0
	v_lshlrev_b32_e32 v1, 4, v0
	v_mov_b32_e32 v15, 0
	v_mov_b32_e32 v14, v0
	s_branch .LBB107_62
.LBB107_61:                             ;   in Loop: Header=BB107_62 Depth=1
	s_or_b64 exec, exec, s[2:3]
	s_add_i32 s20, s20, 8
	v_add_u32_e32 v14, 0x100, v14
	s_cmp_ge_u32 s20, s21
	v_add_u32_e32 v1, 0x1000, v1
	s_cbranch_scc1 .LBB107_64
.LBB107_62:                             ; =>This Inner Loop Header: Depth=1
	s_and_saveexec_b64 s[2:3], vcc
	s_cbranch_execz .LBB107_61
; %bb.63:                               ;   in Loop: Header=BB107_62 Depth=1
	ds_read2_b32 v[18:19], v1 offset1:1
	ds_read2_b32 v[20:21], v1 offset0:2 offset1:3
	v_lshlrev_b64 v[22:23], 3, v[14:15]
	v_mov_b32_e32 v24, s15
	s_waitcnt lgkmcnt(1)
	v_add_u32_e32 v18, v19, v18
	s_waitcnt lgkmcnt(0)
	v_add3_u32 v18, v18, v20, v21
	v_add_co_u32_e64 v20, s[0:1], s14, v22
	v_addc_co_u32_e64 v21, s[0:1], v24, v23, s[0:1]
	v_mov_b32_e32 v19, v15
	global_atomic_add_x2 v[20:21], v[18:19], off
	s_branch .LBB107_61
.LBB107_64:
	s_mov_b64 s[0:1], 0
.LBB107_65:
	s_and_b64 vcc, exec, s[0:1]
	s_cbranch_vccz .LBB107_68
; %bb.66:
	s_waitcnt vmcnt(1)
	v_xor_b32_e32 v12, -1, v12
	v_and_b32_e32 v14, 3, v0
	v_lshlrev_b32_e32 v15, 2, v12
	s_movk_i32 s0, 0x3fc
	v_mov_b32_e32 v1, 0
	v_and_or_b32 v15, v15, s0, v14
	ds_write2st64_b32 v17, v1, v1 offset1:16
	ds_write2st64_b32 v17, v1, v1 offset0:32 offset1:48
	ds_write2st64_b32 v17, v1, v1 offset0:64 offset1:80
	;; [unrolled: 1-line block ×3, first 2 shown]
	v_lshlrev_b32_e32 v15, 2, v15
	v_mov_b32_e32 v17, 1
	s_waitcnt lgkmcnt(0)
	s_barrier
	ds_add_u32 v15, v17
	v_bfe_u32 v15, v12, 8, 8
	v_lshl_or_b32 v15, v15, 2, v14
	v_lshlrev_b32_e32 v15, 2, v15
	ds_add_u32 v15, v17 offset:4096
	v_bfe_u32 v15, v12, 16, 8
	v_lshl_or_b32 v15, v15, 2, v14
	v_lshlrev_b32_e32 v15, 2, v15
	v_xor_b32_e32 v13, 0x7fffffff, v13
	ds_add_u32 v15, v17 offset:8192
	v_lshrrev_b32_e32 v15, 24, v12
	v_lshl_or_b32 v15, v15, 2, v14
	v_alignbit_b32 v12, v13, v12, 30
	v_lshlrev_b32_e32 v15, 2, v15
	v_and_or_b32 v12, v12, s0, v14
	ds_add_u32 v15, v17 offset:12288
	v_lshlrev_b32_e32 v12, 2, v12
	ds_add_u32 v12, v17 offset:16384
	v_bfe_u32 v12, v13, 8, 8
	v_lshl_or_b32 v12, v12, 2, v14
	v_lshlrev_b32_e32 v12, 2, v12
	ds_add_u32 v12, v17 offset:20480
	v_bfe_u32 v12, v13, 16, 8
	v_lshl_or_b32 v12, v12, 2, v14
	v_lshlrev_b32_e32 v12, 2, v12
	ds_add_u32 v12, v17 offset:24576
	v_lshrrev_b32_e32 v12, 24, v13
	v_lshl_or_b32 v12, v12, 2, v14
	v_xor_b32_e32 v8, -1, v8
	v_lshlrev_b32_e32 v12, 2, v12
	ds_add_u32 v12, v17 offset:28672
	v_lshlrev_b32_e32 v12, 2, v8
	v_and_or_b32 v12, v12, s0, v14
	v_lshlrev_b32_e32 v12, 2, v12
	ds_add_u32 v12, v17
	v_bfe_u32 v12, v8, 8, 8
	v_lshl_or_b32 v12, v12, 2, v14
	v_lshlrev_b32_e32 v12, 2, v12
	ds_add_u32 v12, v17 offset:4096
	v_bfe_u32 v12, v8, 16, 8
	v_lshl_or_b32 v12, v12, 2, v14
	v_lshlrev_b32_e32 v12, 2, v12
	v_xor_b32_e32 v9, 0x7fffffff, v9
	ds_add_u32 v12, v17 offset:8192
	v_lshrrev_b32_e32 v12, 24, v8
	v_lshl_or_b32 v12, v12, 2, v14
	v_alignbit_b32 v8, v9, v8, 30
	v_lshlrev_b32_e32 v12, 2, v12
	v_and_or_b32 v8, v8, s0, v14
	ds_add_u32 v12, v17 offset:12288
	v_lshlrev_b32_e32 v8, 2, v8
	ds_add_u32 v8, v17 offset:16384
	v_bfe_u32 v8, v9, 8, 8
	v_lshl_or_b32 v8, v8, 2, v14
	v_lshlrev_b32_e32 v8, 2, v8
	ds_add_u32 v8, v17 offset:20480
	v_bfe_u32 v8, v9, 16, 8
	v_lshl_or_b32 v8, v8, 2, v14
	v_lshlrev_b32_e32 v8, 2, v8
	ds_add_u32 v8, v17 offset:24576
	v_lshrrev_b32_e32 v8, 24, v9
	v_lshl_or_b32 v8, v8, 2, v14
	v_xor_b32_e32 v4, -1, v4
	v_lshlrev_b32_e32 v8, 2, v8
	ds_add_u32 v8, v17 offset:28672
	v_lshlrev_b32_e32 v8, 2, v4
	v_and_or_b32 v8, v8, s0, v14
	v_lshlrev_b32_e32 v8, 2, v8
	;; [unrolled: 34-line block ×4, first 2 shown]
	ds_add_u32 v2, v17
	v_bfe_u32 v2, v6, 8, 8
	v_lshl_or_b32 v2, v2, 2, v14
	v_lshlrev_b32_e32 v2, 2, v2
	ds_add_u32 v2, v17 offset:4096
	v_bfe_u32 v2, v6, 16, 8
	v_lshl_or_b32 v2, v2, 2, v14
	v_lshlrev_b32_e32 v2, 2, v2
	ds_add_u32 v2, v17 offset:8192
	v_lshrrev_b32_e32 v2, 24, v6
	v_lshl_or_b32 v2, v2, 2, v14
	v_xor_b32_e32 v7, 0x7fffffff, v7
	v_lshlrev_b32_e32 v2, 2, v2
	ds_add_u32 v2, v17 offset:12288
	v_alignbit_b32 v2, v7, v6, 30
	v_and_or_b32 v2, v2, s0, v14
	v_lshlrev_b32_e32 v2, 2, v2
	ds_add_u32 v2, v17 offset:16384
	v_bfe_u32 v2, v7, 8, 8
	v_lshl_or_b32 v2, v2, 2, v14
	v_lshlrev_b32_e32 v2, 2, v2
	ds_add_u32 v2, v17 offset:20480
	v_bfe_u32 v2, v7, 16, 8
	v_lshl_or_b32 v2, v2, 2, v14
	v_lshlrev_b32_e32 v2, 2, v2
	ds_add_u32 v2, v17 offset:24576
	v_lshrrev_b32_e32 v2, 24, v7
	v_lshl_or_b32 v2, v2, 2, v14
	s_waitcnt vmcnt(0)
	v_xor_b32_e32 v10, -1, v10
	v_lshlrev_b32_e32 v2, 2, v2
	ds_add_u32 v2, v17 offset:28672
	v_lshlrev_b32_e32 v2, 2, v10
	v_and_or_b32 v2, v2, s0, v14
	v_lshlrev_b32_e32 v2, 2, v2
	ds_add_u32 v2, v17
	v_bfe_u32 v2, v10, 8, 8
	v_lshl_or_b32 v2, v2, 2, v14
	v_lshlrev_b32_e32 v2, 2, v2
	ds_add_u32 v2, v17 offset:4096
	v_bfe_u32 v2, v10, 16, 8
	v_lshl_or_b32 v2, v2, 2, v14
	v_lshlrev_b32_e32 v2, 2, v2
	ds_add_u32 v2, v17 offset:8192
	v_lshrrev_b32_e32 v2, 24, v10
	v_lshl_or_b32 v2, v2, 2, v14
	v_xor_b32_e32 v11, 0x7fffffff, v11
	v_lshlrev_b32_e32 v2, 2, v2
	ds_add_u32 v2, v17 offset:12288
	v_alignbit_b32 v2, v11, v10, 30
	v_and_or_b32 v2, v2, s0, v14
	v_lshlrev_b32_e32 v2, 2, v2
	ds_add_u32 v2, v17 offset:16384
	v_bfe_u32 v2, v11, 8, 8
	v_lshl_or_b32 v2, v2, 2, v14
	v_lshlrev_b32_e32 v2, 2, v2
	ds_add_u32 v2, v17 offset:20480
	v_bfe_u32 v2, v11, 16, 8
	v_lshl_or_b32 v2, v2, 2, v14
	v_lshlrev_b32_e32 v2, 2, v2
	ds_add_u32 v2, v17 offset:24576
	v_lshrrev_b32_e32 v2, 24, v11
	v_lshl_or_b32 v2, v2, 2, v14
	v_lshlrev_b32_e32 v2, 2, v2
	ds_add_u32 v2, v17 offset:28672
	s_movk_i32 s0, 0x100
	v_cmp_gt_u32_e32 vcc, s0, v0
	s_waitcnt lgkmcnt(0)
	s_barrier
	s_and_saveexec_b64 s[0:1], vcc
	s_cbranch_execz .LBB107_68
; %bb.67:
	v_lshlrev_b32_e32 v6, 4, v0
	ds_read2_b32 v[2:3], v6 offset1:1
	ds_read2_b32 v[4:5], v6 offset0:2 offset1:3
	v_add_u32_e32 v7, 0x1000, v6
	v_add_u32_e32 v8, 0x1008, v6
	;; [unrolled: 1-line block ×3, first 2 shown]
	s_waitcnt lgkmcnt(1)
	v_add_u32_e32 v0, v3, v2
	s_waitcnt lgkmcnt(0)
	v_add3_u32 v0, v0, v4, v5
	global_atomic_add_x2 v16, v[0:1], s[14:15]
	ds_read2_b32 v[2:3], v7 offset1:1
	ds_read2_b32 v[4:5], v8 offset1:1
	v_add_u32_e32 v7, 0x2000, v6
	v_add_u32_e32 v8, 0x2008, v6
	s_waitcnt lgkmcnt(1)
	v_add_u32_e32 v0, v3, v2
	s_waitcnt lgkmcnt(0)
	v_add3_u32 v0, v0, v4, v5
	global_atomic_add_x2 v16, v[0:1], s[14:15] offset:2048
	ds_read2_b32 v[2:3], v7 offset1:1
	ds_read2_b32 v[4:5], v8 offset1:1
	v_or_b32_e32 v7, 0x1000, v16
	v_add_u32_e32 v8, 0x3000, v6
	s_waitcnt lgkmcnt(1)
	v_add_u32_e32 v0, v3, v2
	s_waitcnt lgkmcnt(0)
	v_add3_u32 v0, v0, v4, v5
	global_atomic_add_x2 v7, v[0:1], s[14:15]
	ds_read2_b32 v[2:3], v8 offset1:1
	ds_read2_b32 v[4:5], v9 offset1:1
	v_or_b32_e32 v7, 0x1800, v16
	v_or_b32_e32 v8, 0x4000, v6
	;; [unrolled: 1-line block ×3, first 2 shown]
	s_waitcnt lgkmcnt(1)
	v_add_u32_e32 v0, v3, v2
	s_waitcnt lgkmcnt(0)
	v_add3_u32 v0, v0, v4, v5
	global_atomic_add_x2 v7, v[0:1], s[14:15]
	ds_read2_b32 v[2:3], v8 offset1:1
	ds_read2_b32 v[4:5], v9 offset1:1
	v_or_b32_e32 v7, 0x2000, v16
	v_add_u32_e32 v8, 0x5000, v6
	v_add_u32_e32 v9, 0x5008, v6
	s_waitcnt lgkmcnt(1)
	v_add_u32_e32 v0, v3, v2
	s_waitcnt lgkmcnt(0)
	v_add3_u32 v0, v0, v4, v5
	global_atomic_add_x2 v7, v[0:1], s[14:15]
	ds_read2_b32 v[2:3], v8 offset1:1
	ds_read2_b32 v[4:5], v9 offset1:1
	v_or_b32_e32 v7, 0x2800, v16
	v_add_u32_e32 v8, 0x6000, v6
	v_add_u32_e32 v9, 0x6008, v6
	;; [unrolled: 10-line block ×3, first 2 shown]
	s_waitcnt lgkmcnt(1)
	v_add_u32_e32 v0, v3, v2
	s_waitcnt lgkmcnt(0)
	v_add3_u32 v0, v0, v4, v5
	global_atomic_add_x2 v7, v[0:1], s[14:15]
	ds_read2_b32 v[2:3], v8 offset1:1
	ds_read2_b32 v[4:5], v6 offset1:1
	s_waitcnt lgkmcnt(1)
	v_add_u32_e32 v0, v3, v2
	s_waitcnt lgkmcnt(0)
	v_add3_u32 v0, v0, v4, v5
	v_or_b32_e32 v2, 0x3800, v16
	global_atomic_add_x2 v2, v[0:1], s[14:15]
.LBB107_68:
	s_endpgm
	.section	.rodata,"a",@progbits
	.p2align	6, 0x0
	.amdhsa_kernel _ZN7rocprim17ROCPRIM_304000_NS6detail26onesweep_histograms_kernelINS1_34wrapped_radix_sort_onesweep_configINS0_14default_configElN2at4cuda3cub6detail10OpaqueTypeILi8EEEEELb1EPKlmNS0_19identity_decomposerEEEvT1_PT2_SG_SG_T3_jj
		.amdhsa_group_segment_fixed_size 32768
		.amdhsa_private_segment_fixed_size 0
		.amdhsa_kernarg_size 44
		.amdhsa_user_sgpr_count 6
		.amdhsa_user_sgpr_private_segment_buffer 1
		.amdhsa_user_sgpr_dispatch_ptr 0
		.amdhsa_user_sgpr_queue_ptr 0
		.amdhsa_user_sgpr_kernarg_segment_ptr 1
		.amdhsa_user_sgpr_dispatch_id 0
		.amdhsa_user_sgpr_flat_scratch_init 0
		.amdhsa_user_sgpr_kernarg_preload_length 0
		.amdhsa_user_sgpr_kernarg_preload_offset 0
		.amdhsa_user_sgpr_private_segment_size 0
		.amdhsa_uses_dynamic_stack 0
		.amdhsa_system_sgpr_private_segment_wavefront_offset 0
		.amdhsa_system_sgpr_workgroup_id_x 1
		.amdhsa_system_sgpr_workgroup_id_y 0
		.amdhsa_system_sgpr_workgroup_id_z 0
		.amdhsa_system_sgpr_workgroup_info 0
		.amdhsa_system_vgpr_workitem_id 0
		.amdhsa_next_free_vgpr 25
		.amdhsa_next_free_sgpr 26
		.amdhsa_accum_offset 28
		.amdhsa_reserve_vcc 1
		.amdhsa_reserve_flat_scratch 0
		.amdhsa_float_round_mode_32 0
		.amdhsa_float_round_mode_16_64 0
		.amdhsa_float_denorm_mode_32 3
		.amdhsa_float_denorm_mode_16_64 3
		.amdhsa_dx10_clamp 1
		.amdhsa_ieee_mode 1
		.amdhsa_fp16_overflow 0
		.amdhsa_tg_split 0
		.amdhsa_exception_fp_ieee_invalid_op 0
		.amdhsa_exception_fp_denorm_src 0
		.amdhsa_exception_fp_ieee_div_zero 0
		.amdhsa_exception_fp_ieee_overflow 0
		.amdhsa_exception_fp_ieee_underflow 0
		.amdhsa_exception_fp_ieee_inexact 0
		.amdhsa_exception_int_div_zero 0
	.end_amdhsa_kernel
	.section	.text._ZN7rocprim17ROCPRIM_304000_NS6detail26onesweep_histograms_kernelINS1_34wrapped_radix_sort_onesweep_configINS0_14default_configElN2at4cuda3cub6detail10OpaqueTypeILi8EEEEELb1EPKlmNS0_19identity_decomposerEEEvT1_PT2_SG_SG_T3_jj,"axG",@progbits,_ZN7rocprim17ROCPRIM_304000_NS6detail26onesweep_histograms_kernelINS1_34wrapped_radix_sort_onesweep_configINS0_14default_configElN2at4cuda3cub6detail10OpaqueTypeILi8EEEEELb1EPKlmNS0_19identity_decomposerEEEvT1_PT2_SG_SG_T3_jj,comdat
.Lfunc_end107:
	.size	_ZN7rocprim17ROCPRIM_304000_NS6detail26onesweep_histograms_kernelINS1_34wrapped_radix_sort_onesweep_configINS0_14default_configElN2at4cuda3cub6detail10OpaqueTypeILi8EEEEELb1EPKlmNS0_19identity_decomposerEEEvT1_PT2_SG_SG_T3_jj, .Lfunc_end107-_ZN7rocprim17ROCPRIM_304000_NS6detail26onesweep_histograms_kernelINS1_34wrapped_radix_sort_onesweep_configINS0_14default_configElN2at4cuda3cub6detail10OpaqueTypeILi8EEEEELb1EPKlmNS0_19identity_decomposerEEEvT1_PT2_SG_SG_T3_jj
                                        ; -- End function
	.section	.AMDGPU.csdata,"",@progbits
; Kernel info:
; codeLenInByte = 4160
; NumSgprs: 30
; NumVgprs: 25
; NumAgprs: 0
; TotalNumVgprs: 25
; ScratchSize: 0
; MemoryBound: 1
; FloatMode: 240
; IeeeMode: 1
; LDSByteSize: 32768 bytes/workgroup (compile time only)
; SGPRBlocks: 3
; VGPRBlocks: 3
; NumSGPRsForWavesPerEU: 30
; NumVGPRsForWavesPerEU: 25
; AccumOffset: 28
; Occupancy: 8
; WaveLimiterHint : 1
; COMPUTE_PGM_RSRC2:SCRATCH_EN: 0
; COMPUTE_PGM_RSRC2:USER_SGPR: 6
; COMPUTE_PGM_RSRC2:TRAP_HANDLER: 0
; COMPUTE_PGM_RSRC2:TGID_X_EN: 1
; COMPUTE_PGM_RSRC2:TGID_Y_EN: 0
; COMPUTE_PGM_RSRC2:TGID_Z_EN: 0
; COMPUTE_PGM_RSRC2:TIDIG_COMP_CNT: 0
; COMPUTE_PGM_RSRC3_GFX90A:ACCUM_OFFSET: 6
; COMPUTE_PGM_RSRC3_GFX90A:TG_SPLIT: 0
	.section	.text._ZN7rocprim17ROCPRIM_304000_NS6detail31onesweep_scan_histograms_kernelINS1_34wrapped_radix_sort_onesweep_configINS0_14default_configElN2at4cuda3cub6detail10OpaqueTypeILi8EEEEEmEEvPT0_,"axG",@progbits,_ZN7rocprim17ROCPRIM_304000_NS6detail31onesweep_scan_histograms_kernelINS1_34wrapped_radix_sort_onesweep_configINS0_14default_configElN2at4cuda3cub6detail10OpaqueTypeILi8EEEEEmEEvPT0_,comdat
	.protected	_ZN7rocprim17ROCPRIM_304000_NS6detail31onesweep_scan_histograms_kernelINS1_34wrapped_radix_sort_onesweep_configINS0_14default_configElN2at4cuda3cub6detail10OpaqueTypeILi8EEEEEmEEvPT0_ ; -- Begin function _ZN7rocprim17ROCPRIM_304000_NS6detail31onesweep_scan_histograms_kernelINS1_34wrapped_radix_sort_onesweep_configINS0_14default_configElN2at4cuda3cub6detail10OpaqueTypeILi8EEEEEmEEvPT0_
	.globl	_ZN7rocprim17ROCPRIM_304000_NS6detail31onesweep_scan_histograms_kernelINS1_34wrapped_radix_sort_onesweep_configINS0_14default_configElN2at4cuda3cub6detail10OpaqueTypeILi8EEEEEmEEvPT0_
	.p2align	8
	.type	_ZN7rocprim17ROCPRIM_304000_NS6detail31onesweep_scan_histograms_kernelINS1_34wrapped_radix_sort_onesweep_configINS0_14default_configElN2at4cuda3cub6detail10OpaqueTypeILi8EEEEEmEEvPT0_,@function
_ZN7rocprim17ROCPRIM_304000_NS6detail31onesweep_scan_histograms_kernelINS1_34wrapped_radix_sort_onesweep_configINS0_14default_configElN2at4cuda3cub6detail10OpaqueTypeILi8EEEEEmEEvPT0_: ; @_ZN7rocprim17ROCPRIM_304000_NS6detail31onesweep_scan_histograms_kernelINS1_34wrapped_radix_sort_onesweep_configINS0_14default_configElN2at4cuda3cub6detail10OpaqueTypeILi8EEEEEmEEvPT0_
; %bb.0:
	s_load_dwordx2 s[0:1], s[4:5], 0x0
	s_lshl_b32 s2, s6, 8
	s_mov_b32 s3, 0
	s_lshl_b64 s[2:3], s[2:3], 3
	v_lshlrev_b32_e32 v5, 3, v0
	s_waitcnt lgkmcnt(0)
	s_add_u32 s14, s0, s2
	s_movk_i32 s0, 0x100
	s_addc_u32 s15, s1, s3
	v_cmp_gt_u32_e32 vcc, s0, v0
                                        ; implicit-def: $vgpr2_vgpr3
	s_and_saveexec_b64 s[0:1], vcc
	s_cbranch_execz .LBB108_2
; %bb.1:
	global_load_dwordx2 v[2:3], v5, s[14:15]
.LBB108_2:
	s_or_b64 exec, exec, s[0:1]
	v_mbcnt_lo_u32_b32 v1, -1, 0
	s_waitcnt vmcnt(0)
	v_mov_b32_dpp v4, v2 row_shr:1 row_mask:0xf bank_mask:0xf
	v_mbcnt_hi_u32_b32 v6, -1, v1
	v_add_co_u32_e64 v4, s[0:1], v2, v4
	v_and_b32_e32 v1, 15, v6
	v_addc_co_u32_e64 v8, s[0:1], 0, v3, s[0:1]
	v_mov_b32_dpp v7, v3 row_shr:1 row_mask:0xf bank_mask:0xf
	v_add_co_u32_e64 v9, s[0:1], 0, v4
	v_cmp_eq_u32_e64 s[2:3], 0, v1
	v_addc_co_u32_e64 v7, s[0:1], v7, v8, s[0:1]
	v_cndmask_b32_e64 v4, v4, v2, s[2:3]
	v_cndmask_b32_e64 v7, v7, v3, s[2:3]
	v_cndmask_b32_e64 v8, v9, v2, s[2:3]
	v_mov_b32_dpp v9, v4 row_shr:2 row_mask:0xf bank_mask:0xf
	v_mov_b32_dpp v10, v7 row_shr:2 row_mask:0xf bank_mask:0xf
	v_add_co_u32_e64 v9, s[0:1], v9, v8
	v_cmp_lt_u32_e64 s[4:5], 1, v1
	v_addc_co_u32_e64 v10, s[0:1], v10, v7, s[0:1]
	v_cndmask_b32_e64 v4, v4, v9, s[4:5]
	v_cndmask_b32_e64 v7, v7, v10, s[4:5]
	v_cndmask_b32_e64 v8, v8, v9, s[4:5]
	v_mov_b32_dpp v9, v4 row_shr:4 row_mask:0xf bank_mask:0xf
	v_mov_b32_dpp v10, v7 row_shr:4 row_mask:0xf bank_mask:0xf
	v_add_co_u32_e64 v9, s[0:1], v9, v8
	v_cmp_lt_u32_e64 s[6:7], 3, v1
	;; [unrolled: 8-line block ×3, first 2 shown]
	v_addc_co_u32_e64 v10, s[0:1], v10, v7, s[0:1]
	v_cndmask_b32_e64 v11, v4, v9, s[8:9]
	v_cndmask_b32_e64 v1, v7, v10, s[8:9]
	;; [unrolled: 1-line block ×3, first 2 shown]
	v_mov_b32_dpp v7, v11 row_bcast:15 row_mask:0xf bank_mask:0xf
	v_mov_b32_dpp v8, v1 row_bcast:15 row_mask:0xf bank_mask:0xf
	v_and_b32_e32 v10, 16, v6
	v_add_co_u32_e64 v7, s[0:1], v7, v4
	v_addc_co_u32_e64 v9, s[0:1], v8, v1, s[0:1]
	v_cmp_eq_u32_e64 s[10:11], 0, v10
	v_cndmask_b32_e64 v10, v9, v1, s[10:11]
	v_cndmask_b32_e64 v8, v7, v11, s[10:11]
	v_cmp_eq_u32_e64 s[0:1], 0, v6
	v_mov_b32_dpp v10, v10 row_bcast:31 row_mask:0xf bank_mask:0xf
	v_mov_b32_dpp v8, v8 row_bcast:31 row_mask:0xf bank_mask:0xf
	v_cmp_ne_u32_e64 s[12:13], 0, v6
	s_and_saveexec_b64 s[16:17], s[12:13]
; %bb.3:
	v_cndmask_b32_e64 v1, v9, v1, s[10:11]
	v_cndmask_b32_e64 v2, v7, v4, s[10:11]
	v_cmp_lt_u32_e64 s[10:11], 31, v6
	v_cndmask_b32_e64 v4, 0, v8, s[10:11]
	v_cndmask_b32_e64 v3, 0, v10, s[10:11]
	v_add_co_u32_e64 v2, s[10:11], v4, v2
	v_addc_co_u32_e64 v3, s[10:11], v3, v1, s[10:11]
; %bb.4:
	s_or_b64 exec, exec, s[16:17]
	v_and_b32_e32 v1, 63, v0
	v_lshrrev_b32_e32 v4, 6, v0
	v_cmp_eq_u32_e64 s[10:11], 63, v1
	s_and_saveexec_b64 s[12:13], s[10:11]
	s_cbranch_execz .LBB108_6
; %bb.5:
	v_lshlrev_b32_e32 v1, 3, v4
	ds_write_b64 v1, v[2:3]
.LBB108_6:
	s_or_b64 exec, exec, s[12:13]
	v_cmp_gt_u32_e64 s[10:11], 16, v0
	s_waitcnt lgkmcnt(0)
	s_barrier
	s_and_saveexec_b64 s[12:13], s[10:11]
	s_cbranch_execz .LBB108_8
; %bb.7:
	ds_read_b64 v[8:9], v5
	s_waitcnt lgkmcnt(0)
	s_nop 0
	v_mov_b32_dpp v1, v8 row_shr:1 row_mask:0xf bank_mask:0xf
	v_add_co_u32_e64 v1, s[10:11], v8, v1
	v_addc_co_u32_e64 v10, s[10:11], 0, v9, s[10:11]
	v_mov_b32_dpp v7, v9 row_shr:1 row_mask:0xf bank_mask:0xf
	v_add_co_u32_e64 v11, s[10:11], 0, v1
	v_addc_co_u32_e64 v7, s[10:11], v7, v10, s[10:11]
	v_cndmask_b32_e64 v1, v1, v8, s[2:3]
	v_cndmask_b32_e64 v7, v7, v9, s[2:3]
	;; [unrolled: 1-line block ×3, first 2 shown]
	v_mov_b32_dpp v8, v1 row_shr:2 row_mask:0xf bank_mask:0xf
	v_add_co_u32_e64 v8, s[2:3], v9, v8
	v_addc_co_u32_e64 v11, s[2:3], 0, v7, s[2:3]
	v_mov_b32_dpp v10, v7 row_shr:2 row_mask:0xf bank_mask:0xf
	v_add_co_u32_e64 v12, s[2:3], 0, v8
	v_cndmask_b32_e64 v1, v1, v8, s[4:5]
	v_addc_co_u32_e64 v10, s[2:3], v11, v10, s[2:3]
	v_cndmask_b32_e64 v8, v9, v12, s[4:5]
	v_mov_b32_dpp v9, v1 row_shr:4 row_mask:0xf bank_mask:0xf
	v_cndmask_b32_e64 v7, v7, v10, s[4:5]
	v_add_co_u32_e64 v9, s[2:3], v8, v9
	v_addc_co_u32_e64 v11, s[2:3], 0, v7, s[2:3]
	v_mov_b32_dpp v10, v7 row_shr:4 row_mask:0xf bank_mask:0xf
	v_add_co_u32_e64 v12, s[2:3], 0, v9
	v_addc_co_u32_e64 v10, s[2:3], v11, v10, s[2:3]
	v_cndmask_b32_e64 v1, v1, v9, s[6:7]
	v_cndmask_b32_e64 v7, v7, v10, s[6:7]
	;; [unrolled: 1-line block ×3, first 2 shown]
	v_mov_b32_dpp v1, v1 row_shr:8 row_mask:0xf bank_mask:0xf
	v_mov_b32_dpp v9, v7 row_shr:8 row_mask:0xf bank_mask:0xf
	v_cndmask_b32_e64 v1, 0, v1, s[8:9]
	v_cndmask_b32_e64 v9, 0, v9, s[8:9]
	v_add_co_u32_e64 v8, s[2:3], v1, v8
	v_addc_co_u32_e64 v9, s[2:3], v9, v7, s[2:3]
	ds_write_b64 v5, v[8:9]
.LBB108_8:
	s_or_b64 exec, exec, s[12:13]
	v_cmp_lt_u32_e64 s[2:3], 63, v0
	v_pk_mov_b32 v[0:1], 0, 0
	s_waitcnt lgkmcnt(0)
	s_barrier
	s_and_saveexec_b64 s[4:5], s[2:3]
	s_cbranch_execz .LBB108_10
; %bb.9:
	v_lshl_add_u32 v0, v4, 3, -8
	ds_read_b64 v[0:1], v0
.LBB108_10:
	s_or_b64 exec, exec, s[4:5]
	s_waitcnt lgkmcnt(0)
	v_add_co_u32_e64 v2, s[2:3], v0, v2
	v_addc_co_u32_e64 v3, s[2:3], v1, v3, s[2:3]
	v_add_u32_e32 v4, -1, v6
	v_and_b32_e32 v7, 64, v6
	v_cmp_lt_i32_e64 s[2:3], v4, v7
	v_cndmask_b32_e64 v4, v4, v6, s[2:3]
	v_lshlrev_b32_e32 v4, 2, v4
	ds_bpermute_b32 v2, v4, v2
	ds_bpermute_b32 v3, v4, v3
	s_and_saveexec_b64 s[2:3], vcc
	s_cbranch_execz .LBB108_12
; %bb.11:
	s_waitcnt lgkmcnt(0)
	v_cndmask_b32_e64 v1, v3, v1, s[0:1]
	v_cndmask_b32_e64 v0, v2, v0, s[0:1]
	global_store_dwordx2 v5, v[0:1], s[14:15]
.LBB108_12:
	s_endpgm
	.section	.rodata,"a",@progbits
	.p2align	6, 0x0
	.amdhsa_kernel _ZN7rocprim17ROCPRIM_304000_NS6detail31onesweep_scan_histograms_kernelINS1_34wrapped_radix_sort_onesweep_configINS0_14default_configElN2at4cuda3cub6detail10OpaqueTypeILi8EEEEEmEEvPT0_
		.amdhsa_group_segment_fixed_size 128
		.amdhsa_private_segment_fixed_size 0
		.amdhsa_kernarg_size 8
		.amdhsa_user_sgpr_count 6
		.amdhsa_user_sgpr_private_segment_buffer 1
		.amdhsa_user_sgpr_dispatch_ptr 0
		.amdhsa_user_sgpr_queue_ptr 0
		.amdhsa_user_sgpr_kernarg_segment_ptr 1
		.amdhsa_user_sgpr_dispatch_id 0
		.amdhsa_user_sgpr_flat_scratch_init 0
		.amdhsa_user_sgpr_kernarg_preload_length 0
		.amdhsa_user_sgpr_kernarg_preload_offset 0
		.amdhsa_user_sgpr_private_segment_size 0
		.amdhsa_uses_dynamic_stack 0
		.amdhsa_system_sgpr_private_segment_wavefront_offset 0
		.amdhsa_system_sgpr_workgroup_id_x 1
		.amdhsa_system_sgpr_workgroup_id_y 0
		.amdhsa_system_sgpr_workgroup_id_z 0
		.amdhsa_system_sgpr_workgroup_info 0
		.amdhsa_system_vgpr_workitem_id 0
		.amdhsa_next_free_vgpr 13
		.amdhsa_next_free_sgpr 18
		.amdhsa_accum_offset 16
		.amdhsa_reserve_vcc 1
		.amdhsa_reserve_flat_scratch 0
		.amdhsa_float_round_mode_32 0
		.amdhsa_float_round_mode_16_64 0
		.amdhsa_float_denorm_mode_32 3
		.amdhsa_float_denorm_mode_16_64 3
		.amdhsa_dx10_clamp 1
		.amdhsa_ieee_mode 1
		.amdhsa_fp16_overflow 0
		.amdhsa_tg_split 0
		.amdhsa_exception_fp_ieee_invalid_op 0
		.amdhsa_exception_fp_denorm_src 0
		.amdhsa_exception_fp_ieee_div_zero 0
		.amdhsa_exception_fp_ieee_overflow 0
		.amdhsa_exception_fp_ieee_underflow 0
		.amdhsa_exception_fp_ieee_inexact 0
		.amdhsa_exception_int_div_zero 0
	.end_amdhsa_kernel
	.section	.text._ZN7rocprim17ROCPRIM_304000_NS6detail31onesweep_scan_histograms_kernelINS1_34wrapped_radix_sort_onesweep_configINS0_14default_configElN2at4cuda3cub6detail10OpaqueTypeILi8EEEEEmEEvPT0_,"axG",@progbits,_ZN7rocprim17ROCPRIM_304000_NS6detail31onesweep_scan_histograms_kernelINS1_34wrapped_radix_sort_onesweep_configINS0_14default_configElN2at4cuda3cub6detail10OpaqueTypeILi8EEEEEmEEvPT0_,comdat
.Lfunc_end108:
	.size	_ZN7rocprim17ROCPRIM_304000_NS6detail31onesweep_scan_histograms_kernelINS1_34wrapped_radix_sort_onesweep_configINS0_14default_configElN2at4cuda3cub6detail10OpaqueTypeILi8EEEEEmEEvPT0_, .Lfunc_end108-_ZN7rocprim17ROCPRIM_304000_NS6detail31onesweep_scan_histograms_kernelINS1_34wrapped_radix_sort_onesweep_configINS0_14default_configElN2at4cuda3cub6detail10OpaqueTypeILi8EEEEEmEEvPT0_
                                        ; -- End function
	.section	.AMDGPU.csdata,"",@progbits
; Kernel info:
; codeLenInByte = 1028
; NumSgprs: 22
; NumVgprs: 13
; NumAgprs: 0
; TotalNumVgprs: 13
; ScratchSize: 0
; MemoryBound: 0
; FloatMode: 240
; IeeeMode: 1
; LDSByteSize: 128 bytes/workgroup (compile time only)
; SGPRBlocks: 2
; VGPRBlocks: 1
; NumSGPRsForWavesPerEU: 22
; NumVGPRsForWavesPerEU: 13
; AccumOffset: 16
; Occupancy: 8
; WaveLimiterHint : 0
; COMPUTE_PGM_RSRC2:SCRATCH_EN: 0
; COMPUTE_PGM_RSRC2:USER_SGPR: 6
; COMPUTE_PGM_RSRC2:TRAP_HANDLER: 0
; COMPUTE_PGM_RSRC2:TGID_X_EN: 1
; COMPUTE_PGM_RSRC2:TGID_Y_EN: 0
; COMPUTE_PGM_RSRC2:TGID_Z_EN: 0
; COMPUTE_PGM_RSRC2:TIDIG_COMP_CNT: 0
; COMPUTE_PGM_RSRC3_GFX90A:ACCUM_OFFSET: 3
; COMPUTE_PGM_RSRC3_GFX90A:TG_SPLIT: 0
	.section	.text._ZN7rocprim17ROCPRIM_304000_NS6detail16transform_kernelINS1_24wrapped_transform_configINS0_14default_configElEElPKlPlNS0_8identityIlEEEEvT1_mT2_T3_,"axG",@progbits,_ZN7rocprim17ROCPRIM_304000_NS6detail16transform_kernelINS1_24wrapped_transform_configINS0_14default_configElEElPKlPlNS0_8identityIlEEEEvT1_mT2_T3_,comdat
	.protected	_ZN7rocprim17ROCPRIM_304000_NS6detail16transform_kernelINS1_24wrapped_transform_configINS0_14default_configElEElPKlPlNS0_8identityIlEEEEvT1_mT2_T3_ ; -- Begin function _ZN7rocprim17ROCPRIM_304000_NS6detail16transform_kernelINS1_24wrapped_transform_configINS0_14default_configElEElPKlPlNS0_8identityIlEEEEvT1_mT2_T3_
	.globl	_ZN7rocprim17ROCPRIM_304000_NS6detail16transform_kernelINS1_24wrapped_transform_configINS0_14default_configElEElPKlPlNS0_8identityIlEEEEvT1_mT2_T3_
	.p2align	8
	.type	_ZN7rocprim17ROCPRIM_304000_NS6detail16transform_kernelINS1_24wrapped_transform_configINS0_14default_configElEElPKlPlNS0_8identityIlEEEEvT1_mT2_T3_,@function
_ZN7rocprim17ROCPRIM_304000_NS6detail16transform_kernelINS1_24wrapped_transform_configINS0_14default_configElEElPKlPlNS0_8identityIlEEEEvT1_mT2_T3_: ; @_ZN7rocprim17ROCPRIM_304000_NS6detail16transform_kernelINS1_24wrapped_transform_configINS0_14default_configElEElPKlPlNS0_8identityIlEEEEvT1_mT2_T3_
; %bb.0:
	s_load_dword s7, s[4:5], 0x20
	s_load_dwordx4 s[0:3], s[4:5], 0x0
	s_load_dwordx2 s[8:9], s[4:5], 0x10
	s_lshl_b32 s10, s6, 9
	s_mov_b32 s11, 0
	s_waitcnt lgkmcnt(0)
	s_add_i32 s7, s7, -1
	s_lshl_b64 s[4:5], s[10:11], 3
	s_add_u32 s0, s0, s4
	s_addc_u32 s1, s1, s5
	v_lshlrev_b32_e32 v1, 3, v0
	v_mov_b32_e32 v2, s1
	v_add_co_u32_e32 v6, vcc, s0, v1
	s_cmp_lg_u32 s6, s7
	v_addc_co_u32_e32 v7, vcc, 0, v2, vcc
	s_cbranch_scc0 .LBB109_2
; %bb.1:
	global_load_dwordx2 v[2:3], v[6:7], off
	global_load_dwordx2 v[4:5], v[6:7], off offset:2048
	s_add_u32 s6, s8, s4
	s_addc_u32 s7, s9, s5
	s_waitcnt vmcnt(1)
	global_store_dwordx2 v1, v[2:3], s[6:7]
	s_mov_b64 s[6:7], -1
	s_cbranch_execz .LBB109_3
	s_branch .LBB109_10
.LBB109_2:
	s_mov_b64 s[6:7], 0
                                        ; implicit-def: $vgpr4_vgpr5
.LBB109_3:
	s_sub_i32 s2, s2, s10
	v_cmp_gt_u32_e32 vcc, s2, v0
                                        ; implicit-def: $vgpr2_vgpr3_vgpr4_vgpr5
	s_and_saveexec_b64 s[0:1], vcc
	s_cbranch_execz .LBB109_5
; %bb.4:
	global_load_dwordx2 v[2:3], v[6:7], off
.LBB109_5:
	s_or_b64 exec, exec, s[0:1]
	v_or_b32_e32 v0, 0x100, v0
	v_cmp_gt_u32_e64 s[0:1], s2, v0
	s_and_saveexec_b64 s[2:3], s[0:1]
	s_cbranch_execnz .LBB109_13
; %bb.6:
	s_or_b64 exec, exec, s[2:3]
	s_and_saveexec_b64 s[2:3], vcc
	s_cbranch_execnz .LBB109_14
.LBB109_7:
	s_or_b64 exec, exec, s[2:3]
	s_and_saveexec_b64 s[2:3], s[0:1]
.LBB109_8:
	s_or_b64 s[6:7], s[6:7], exec
.LBB109_9:
	s_or_b64 exec, exec, s[2:3]
.LBB109_10:
	s_and_saveexec_b64 s[0:1], s[6:7]
	s_cbranch_execnz .LBB109_12
; %bb.11:
	s_endpgm
.LBB109_12:
	s_add_u32 s0, s8, s4
	s_addc_u32 s1, s9, s5
	s_waitcnt vmcnt(0)
	global_store_dwordx2 v1, v[4:5], s[0:1] offset:2048
	s_endpgm
.LBB109_13:
	global_load_dwordx2 v[4:5], v[6:7], off offset:2048
	s_or_b64 exec, exec, s[2:3]
	s_and_saveexec_b64 s[2:3], vcc
	s_cbranch_execz .LBB109_7
.LBB109_14:
	s_add_u32 s10, s8, s4
	s_addc_u32 s11, s9, s5
	s_waitcnt vmcnt(0)
	global_store_dwordx2 v1, v[2:3], s[10:11]
	s_or_b64 exec, exec, s[2:3]
	s_and_saveexec_b64 s[2:3], s[0:1]
	s_cbranch_execnz .LBB109_8
	s_branch .LBB109_9
	.section	.rodata,"a",@progbits
	.p2align	6, 0x0
	.amdhsa_kernel _ZN7rocprim17ROCPRIM_304000_NS6detail16transform_kernelINS1_24wrapped_transform_configINS0_14default_configElEElPKlPlNS0_8identityIlEEEEvT1_mT2_T3_
		.amdhsa_group_segment_fixed_size 0
		.amdhsa_private_segment_fixed_size 0
		.amdhsa_kernarg_size 288
		.amdhsa_user_sgpr_count 6
		.amdhsa_user_sgpr_private_segment_buffer 1
		.amdhsa_user_sgpr_dispatch_ptr 0
		.amdhsa_user_sgpr_queue_ptr 0
		.amdhsa_user_sgpr_kernarg_segment_ptr 1
		.amdhsa_user_sgpr_dispatch_id 0
		.amdhsa_user_sgpr_flat_scratch_init 0
		.amdhsa_user_sgpr_kernarg_preload_length 0
		.amdhsa_user_sgpr_kernarg_preload_offset 0
		.amdhsa_user_sgpr_private_segment_size 0
		.amdhsa_uses_dynamic_stack 0
		.amdhsa_system_sgpr_private_segment_wavefront_offset 0
		.amdhsa_system_sgpr_workgroup_id_x 1
		.amdhsa_system_sgpr_workgroup_id_y 0
		.amdhsa_system_sgpr_workgroup_id_z 0
		.amdhsa_system_sgpr_workgroup_info 0
		.amdhsa_system_vgpr_workitem_id 0
		.amdhsa_next_free_vgpr 8
		.amdhsa_next_free_sgpr 12
		.amdhsa_accum_offset 8
		.amdhsa_reserve_vcc 1
		.amdhsa_reserve_flat_scratch 0
		.amdhsa_float_round_mode_32 0
		.amdhsa_float_round_mode_16_64 0
		.amdhsa_float_denorm_mode_32 3
		.amdhsa_float_denorm_mode_16_64 3
		.amdhsa_dx10_clamp 1
		.amdhsa_ieee_mode 1
		.amdhsa_fp16_overflow 0
		.amdhsa_tg_split 0
		.amdhsa_exception_fp_ieee_invalid_op 0
		.amdhsa_exception_fp_denorm_src 0
		.amdhsa_exception_fp_ieee_div_zero 0
		.amdhsa_exception_fp_ieee_overflow 0
		.amdhsa_exception_fp_ieee_underflow 0
		.amdhsa_exception_fp_ieee_inexact 0
		.amdhsa_exception_int_div_zero 0
	.end_amdhsa_kernel
	.section	.text._ZN7rocprim17ROCPRIM_304000_NS6detail16transform_kernelINS1_24wrapped_transform_configINS0_14default_configElEElPKlPlNS0_8identityIlEEEEvT1_mT2_T3_,"axG",@progbits,_ZN7rocprim17ROCPRIM_304000_NS6detail16transform_kernelINS1_24wrapped_transform_configINS0_14default_configElEElPKlPlNS0_8identityIlEEEEvT1_mT2_T3_,comdat
.Lfunc_end109:
	.size	_ZN7rocprim17ROCPRIM_304000_NS6detail16transform_kernelINS1_24wrapped_transform_configINS0_14default_configElEElPKlPlNS0_8identityIlEEEEvT1_mT2_T3_, .Lfunc_end109-_ZN7rocprim17ROCPRIM_304000_NS6detail16transform_kernelINS1_24wrapped_transform_configINS0_14default_configElEElPKlPlNS0_8identityIlEEEEvT1_mT2_T3_
                                        ; -- End function
	.section	.AMDGPU.csdata,"",@progbits
; Kernel info:
; codeLenInByte = 300
; NumSgprs: 16
; NumVgprs: 8
; NumAgprs: 0
; TotalNumVgprs: 8
; ScratchSize: 0
; MemoryBound: 1
; FloatMode: 240
; IeeeMode: 1
; LDSByteSize: 0 bytes/workgroup (compile time only)
; SGPRBlocks: 1
; VGPRBlocks: 0
; NumSGPRsForWavesPerEU: 16
; NumVGPRsForWavesPerEU: 8
; AccumOffset: 8
; Occupancy: 8
; WaveLimiterHint : 1
; COMPUTE_PGM_RSRC2:SCRATCH_EN: 0
; COMPUTE_PGM_RSRC2:USER_SGPR: 6
; COMPUTE_PGM_RSRC2:TRAP_HANDLER: 0
; COMPUTE_PGM_RSRC2:TGID_X_EN: 1
; COMPUTE_PGM_RSRC2:TGID_Y_EN: 0
; COMPUTE_PGM_RSRC2:TGID_Z_EN: 0
; COMPUTE_PGM_RSRC2:TIDIG_COMP_CNT: 0
; COMPUTE_PGM_RSRC3_GFX90A:ACCUM_OFFSET: 1
; COMPUTE_PGM_RSRC3_GFX90A:TG_SPLIT: 0
	.section	.text._ZN7rocprim17ROCPRIM_304000_NS6detail25onesweep_iteration_kernelINS1_34wrapped_radix_sort_onesweep_configINS0_14default_configElN2at4cuda3cub6detail10OpaqueTypeILi8EEEEELb1EPKlPlPKSA_PSA_mNS0_19identity_decomposerEEEvT1_T2_T3_T4_jPT5_SO_PNS1_23onesweep_lookback_stateET6_jjj,"axG",@progbits,_ZN7rocprim17ROCPRIM_304000_NS6detail25onesweep_iteration_kernelINS1_34wrapped_radix_sort_onesweep_configINS0_14default_configElN2at4cuda3cub6detail10OpaqueTypeILi8EEEEELb1EPKlPlPKSA_PSA_mNS0_19identity_decomposerEEEvT1_T2_T3_T4_jPT5_SO_PNS1_23onesweep_lookback_stateET6_jjj,comdat
	.protected	_ZN7rocprim17ROCPRIM_304000_NS6detail25onesweep_iteration_kernelINS1_34wrapped_radix_sort_onesweep_configINS0_14default_configElN2at4cuda3cub6detail10OpaqueTypeILi8EEEEELb1EPKlPlPKSA_PSA_mNS0_19identity_decomposerEEEvT1_T2_T3_T4_jPT5_SO_PNS1_23onesweep_lookback_stateET6_jjj ; -- Begin function _ZN7rocprim17ROCPRIM_304000_NS6detail25onesweep_iteration_kernelINS1_34wrapped_radix_sort_onesweep_configINS0_14default_configElN2at4cuda3cub6detail10OpaqueTypeILi8EEEEELb1EPKlPlPKSA_PSA_mNS0_19identity_decomposerEEEvT1_T2_T3_T4_jPT5_SO_PNS1_23onesweep_lookback_stateET6_jjj
	.globl	_ZN7rocprim17ROCPRIM_304000_NS6detail25onesweep_iteration_kernelINS1_34wrapped_radix_sort_onesweep_configINS0_14default_configElN2at4cuda3cub6detail10OpaqueTypeILi8EEEEELb1EPKlPlPKSA_PSA_mNS0_19identity_decomposerEEEvT1_T2_T3_T4_jPT5_SO_PNS1_23onesweep_lookback_stateET6_jjj
	.p2align	8
	.type	_ZN7rocprim17ROCPRIM_304000_NS6detail25onesweep_iteration_kernelINS1_34wrapped_radix_sort_onesweep_configINS0_14default_configElN2at4cuda3cub6detail10OpaqueTypeILi8EEEEELb1EPKlPlPKSA_PSA_mNS0_19identity_decomposerEEEvT1_T2_T3_T4_jPT5_SO_PNS1_23onesweep_lookback_stateET6_jjj,@function
_ZN7rocprim17ROCPRIM_304000_NS6detail25onesweep_iteration_kernelINS1_34wrapped_radix_sort_onesweep_configINS0_14default_configElN2at4cuda3cub6detail10OpaqueTypeILi8EEEEELb1EPKlPlPKSA_PSA_mNS0_19identity_decomposerEEEvT1_T2_T3_T4_jPT5_SO_PNS1_23onesweep_lookback_stateET6_jjj: ; @_ZN7rocprim17ROCPRIM_304000_NS6detail25onesweep_iteration_kernelINS1_34wrapped_radix_sort_onesweep_configINS0_14default_configElN2at4cuda3cub6detail10OpaqueTypeILi8EEEEELb1EPKlPlPKSA_PSA_mNS0_19identity_decomposerEEEvT1_T2_T3_T4_jPT5_SO_PNS1_23onesweep_lookback_stateET6_jjj
; %bb.0:
	s_load_dwordx4 s[48:51], s[4:5], 0x44
	s_load_dwordx8 s[36:43], s[4:5], 0x0
	s_load_dwordx4 s[44:47], s[4:5], 0x28
	s_load_dwordx2 s[30:31], s[4:5], 0x38
	s_mul_i32 s34, s6, 0x1800
	s_waitcnt lgkmcnt(0)
	s_cmp_ge_u32 s6, s50
	v_mbcnt_lo_u32_b32 v1, -1, 0
	s_cbranch_scc0 .LBB110_86
; %bb.1:
	s_load_dword s0, s[4:5], 0x20
	s_mul_i32 s52, s50, 0xffffe800
	s_mov_b32 s35, 0
	v_and_b32_e32 v2, 0x3ff, v0
	s_lshl_b64 s[50:51], s[34:35], 3
	s_waitcnt lgkmcnt(0)
	s_add_i32 s52, s52, s0
	s_add_u32 s0, s36, s50
	v_mbcnt_hi_u32_b32 v21, -1, v1
	v_and_b32_e32 v3, 0x3c0, v2
	s_addc_u32 s1, s37, s51
	v_mul_u32_u24_e32 v4, 6, v3
	v_lshlrev_b32_e32 v3, 3, v21
	v_mov_b32_e32 v5, s1
	v_add_co_u32_e32 v6, vcc, s0, v3
	v_addc_co_u32_e32 v5, vcc, 0, v5, vcc
	v_lshlrev_b32_e32 v20, 3, v4
	v_add_co_u32_e32 v16, vcc, v6, v20
	v_addc_co_u32_e32 v17, vcc, 0, v5, vcc
	v_or_b32_e32 v8, v21, v4
	s_brev_b32 s3, 1
	s_mov_b32 s2, s35
	v_cmp_gt_u32_e32 vcc, s52, v8
	v_pk_mov_b32 v[4:5], s[2:3], s[2:3] op_sel:[0,1]
	s_and_saveexec_b64 s[0:1], vcc
	s_cbranch_execz .LBB110_3
; %bb.2:
	global_load_dwordx2 v[4:5], v[16:17], off
.LBB110_3:
	s_or_b64 exec, exec, s[0:1]
	v_add_u32_e32 v6, 64, v8
	v_cmp_gt_u32_e64 s[0:1], s52, v6
	v_pk_mov_b32 v[6:7], s[2:3], s[2:3] op_sel:[0,1]
	s_and_saveexec_b64 s[2:3], s[0:1]
	s_cbranch_execz .LBB110_5
; %bb.4:
	global_load_dwordx2 v[6:7], v[16:17], off offset:512
.LBB110_5:
	s_or_b64 exec, exec, s[2:3]
	s_mov_b32 s8, 0
	v_add_u32_e32 v9, 0x80, v8
	s_brev_b32 s9, 1
	v_cmp_gt_u32_e64 s[2:3], s52, v9
	v_pk_mov_b32 v[10:11], s[8:9], s[8:9] op_sel:[0,1]
	s_and_saveexec_b64 s[10:11], s[2:3]
	s_cbranch_execz .LBB110_7
; %bb.6:
	global_load_dwordx2 v[10:11], v[16:17], off offset:1024
.LBB110_7:
	s_or_b64 exec, exec, s[10:11]
	v_add_u32_e32 v9, 0xc0, v8
	v_cmp_gt_u32_e64 s[26:27], s52, v9
	v_pk_mov_b32 v[14:15], s[8:9], s[8:9] op_sel:[0,1]
	s_and_saveexec_b64 s[8:9], s[26:27]
	s_cbranch_execz .LBB110_9
; %bb.8:
	global_load_dwordx2 v[14:15], v[16:17], off offset:1536
.LBB110_9:
	s_or_b64 exec, exec, s[8:9]
	s_mov_b32 s12, 0
	v_add_u32_e32 v9, 0x100, v8
	s_brev_b32 s13, 1
	v_cmp_gt_u32_e64 s[8:9], s52, v9
	v_pk_mov_b32 v[12:13], s[12:13], s[12:13] op_sel:[0,1]
	s_and_saveexec_b64 s[10:11], s[8:9]
	s_cbranch_execz .LBB110_11
; %bb.10:
	global_load_dwordx2 v[12:13], v[16:17], off offset:2048
.LBB110_11:
	s_or_b64 exec, exec, s[10:11]
	v_add_u32_e32 v8, 0x140, v8
	v_cmp_gt_u32_e64 s[10:11], s52, v8
	v_pk_mov_b32 v[8:9], s[12:13], s[12:13] op_sel:[0,1]
	s_and_saveexec_b64 s[12:13], s[10:11]
	s_cbranch_execz .LBB110_13
; %bb.12:
	global_load_dwordx2 v[8:9], v[16:17], off offset:2560
.LBB110_13:
	s_or_b64 exec, exec, s[12:13]
	s_load_dword s12, s[4:5], 0x5c
	s_load_dword s7, s[4:5], 0x50
	s_add_u32 s13, s4, 0x50
	s_addc_u32 s14, s5, 0
	v_mov_b32_e32 v16, 0
	s_waitcnt lgkmcnt(0)
	s_lshr_b32 s15, s12, 16
	s_cmp_lt_u32 s6, s7
	s_cselect_b32 s12, 12, 18
	s_add_u32 s12, s13, s12
	s_addc_u32 s13, s14, 0
	global_load_ushort v23, v16, s[12:13]
	s_waitcnt vmcnt(1)
	v_xor_b32_e32 v5, 0x7fffffff, v5
	v_not_b32_e32 v4, v4
	v_mul_u32_u24_e32 v18, 5, v2
	s_lshl_b32 s12, -1, s49
	v_lshlrev_b32_e32 v22, 2, v18
	v_lshrrev_b64 v[18:19], s48, v[4:5]
	s_not_b32 s33, s12
	v_and_b32_e32 v18, s33, v18
	v_and_b32_e32 v25, 1, v18
	v_bfe_u32 v17, v0, 10, 10
	v_bfe_u32 v24, v0, 20, 10
	v_add_co_u32_e64 v26, s[12:13], -1, v25
	v_mad_u32_u24 v19, v24, s15, v17
	v_lshlrev_b32_e32 v17, 30, v18
	v_addc_co_u32_e64 v27, s[12:13], 0, -1, s[12:13]
	v_cmp_ne_u32_e64 s[12:13], 0, v25
	v_cmp_gt_i64_e64 s[14:15], 0, v[16:17]
	v_not_b32_e32 v25, v17
	v_lshlrev_b32_e32 v17, 29, v18
	v_xor_b32_e32 v27, s13, v27
	v_xor_b32_e32 v26, s12, v26
	v_ashrrev_i32_e32 v25, 31, v25
	v_cmp_gt_i64_e64 s[12:13], 0, v[16:17]
	v_not_b32_e32 v28, v17
	v_lshlrev_b32_e32 v17, 28, v18
	v_and_b32_e32 v27, exec_hi, v27
	v_and_b32_e32 v26, exec_lo, v26
	v_xor_b32_e32 v29, s15, v25
	v_xor_b32_e32 v25, s14, v25
	v_ashrrev_i32_e32 v28, 31, v28
	v_cmp_gt_i64_e64 s[14:15], 0, v[16:17]
	v_not_b32_e32 v30, v17
	v_lshlrev_b32_e32 v17, 27, v18
	v_and_b32_e32 v27, v27, v29
	v_and_b32_e32 v25, v26, v25
	v_xor_b32_e32 v26, s13, v28
	v_xor_b32_e32 v28, s12, v28
	v_ashrrev_i32_e32 v29, 31, v30
	v_cmp_gt_i64_e64 s[12:13], 0, v[16:17]
	v_not_b32_e32 v30, v17
	v_lshlrev_b32_e32 v17, 26, v18
	v_and_b32_e32 v26, v27, v26
	v_and_b32_e32 v25, v25, v28
	;; [unrolled: 8-line block ×3, first 2 shown]
	v_xor_b32_e32 v27, s13, v29
	v_xor_b32_e32 v28, s12, v29
	v_ashrrev_i32_e32 v29, 31, v30
	v_not_b32_e32 v30, v17
	v_lshl_add_u32 v24, v18, 4, v18
	v_cmp_gt_i64_e64 s[12:13], 0, v[16:17]
	v_lshlrev_b32_e32 v17, 24, v18
	v_and_b32_e32 v18, v26, v27
	v_and_b32_e32 v25, v25, v28
	v_xor_b32_e32 v26, s15, v29
	v_ashrrev_i32_e32 v28, 31, v30
	v_xor_b32_e32 v27, s14, v29
	v_cmp_gt_i64_e64 s[14:15], 0, v[16:17]
	v_and_b32_e32 v18, v18, v26
	v_xor_b32_e32 v26, s13, v28
	v_not_b32_e32 v17, v17
	v_and_b32_e32 v25, v25, v27
	v_xor_b32_e32 v27, s12, v28
	v_and_b32_e32 v26, v18, v26
	v_ashrrev_i32_e32 v17, 31, v17
	v_and_b32_e32 v27, v25, v27
	ds_write2_b32 v22, v16, v16 offset0:16 offset1:17
	ds_write2_b32 v22, v16, v16 offset0:18 offset1:19
	ds_write_b32 v22, v16 offset:80
	s_waitcnt lgkmcnt(0)
	s_barrier
	s_waitcnt vmcnt(0)
	v_mad_u64_u32 v[18:19], s[12:13], v19, v23, v[2:3]
	v_lshrrev_b32_e32 v32, 6, v18
	v_xor_b32_e32 v18, s15, v17
	v_xor_b32_e32 v17, s14, v17
	v_and_b32_e32 v19, v26, v18
	v_and_b32_e32 v18, v27, v17
	v_mbcnt_lo_u32_b32 v17, v18, 0
	v_mbcnt_hi_u32_b32 v23, v19, v17
	v_cmp_eq_u32_e64 s[12:13], 0, v23
	v_cmp_ne_u64_e64 s[14:15], 0, v[18:19]
	v_add_lshl_u32 v25, v32, v24, 2
	s_and_b64 s[14:15], s[14:15], s[12:13]
	; wave barrier
	s_and_saveexec_b64 s[12:13], s[14:15]
	s_cbranch_execz .LBB110_15
; %bb.14:
	v_bcnt_u32_b32 v17, v18, 0
	v_bcnt_u32_b32 v17, v19, v17
	ds_write_b32 v25, v17 offset:64
.LBB110_15:
	s_or_b64 exec, exec, s[12:13]
	v_xor_b32_e32 v7, 0x7fffffff, v7
	v_not_b32_e32 v6, v6
	v_lshrrev_b64 v[18:19], s48, v[6:7]
	v_and_b32_e32 v18, s33, v18
	v_lshl_add_u32 v17, v18, 4, v18
	v_add_lshl_u32 v26, v32, v17, 2
	v_and_b32_e32 v17, 1, v18
	v_add_co_u32_e64 v19, s[12:13], -1, v17
	v_addc_co_u32_e64 v27, s[12:13], 0, -1, s[12:13]
	v_cmp_ne_u32_e64 s[12:13], 0, v17
	v_xor_b32_e32 v17, s13, v27
	v_and_b32_e32 v27, exec_hi, v17
	v_lshlrev_b32_e32 v17, 30, v18
	v_xor_b32_e32 v19, s12, v19
	v_cmp_gt_i64_e64 s[12:13], 0, v[16:17]
	v_not_b32_e32 v17, v17
	v_ashrrev_i32_e32 v17, 31, v17
	v_and_b32_e32 v19, exec_lo, v19
	v_xor_b32_e32 v28, s13, v17
	v_xor_b32_e32 v17, s12, v17
	v_and_b32_e32 v19, v19, v17
	v_lshlrev_b32_e32 v17, 29, v18
	v_cmp_gt_i64_e64 s[12:13], 0, v[16:17]
	v_not_b32_e32 v17, v17
	v_ashrrev_i32_e32 v17, 31, v17
	v_and_b32_e32 v27, v27, v28
	v_xor_b32_e32 v28, s13, v17
	v_xor_b32_e32 v17, s12, v17
	v_and_b32_e32 v19, v19, v17
	v_lshlrev_b32_e32 v17, 28, v18
	v_cmp_gt_i64_e64 s[12:13], 0, v[16:17]
	v_not_b32_e32 v17, v17
	v_ashrrev_i32_e32 v17, 31, v17
	v_and_b32_e32 v27, v27, v28
	;; [unrolled: 8-line block ×5, first 2 shown]
	v_xor_b32_e32 v28, s13, v17
	v_xor_b32_e32 v17, s12, v17
	v_and_b32_e32 v19, v19, v17
	v_lshlrev_b32_e32 v17, 24, v18
	v_cmp_gt_i64_e64 s[12:13], 0, v[16:17]
	v_not_b32_e32 v16, v17
	v_ashrrev_i32_e32 v16, 31, v16
	v_xor_b32_e32 v17, s13, v16
	v_xor_b32_e32 v16, s12, v16
	; wave barrier
	ds_read_b32 v24, v26 offset:64
	v_and_b32_e32 v27, v27, v28
	v_and_b32_e32 v16, v19, v16
	;; [unrolled: 1-line block ×3, first 2 shown]
	v_mbcnt_lo_u32_b32 v18, v16, 0
	v_mbcnt_hi_u32_b32 v27, v17, v18
	v_cmp_eq_u32_e64 s[12:13], 0, v27
	v_cmp_ne_u64_e64 s[14:15], 0, v[16:17]
	s_and_b64 s[14:15], s[14:15], s[12:13]
	; wave barrier
	s_and_saveexec_b64 s[12:13], s[14:15]
	s_cbranch_execz .LBB110_17
; %bb.16:
	v_bcnt_u32_b32 v16, v16, 0
	v_bcnt_u32_b32 v16, v17, v16
	s_waitcnt lgkmcnt(0)
	v_add_u32_e32 v16, v24, v16
	ds_write_b32 v26, v16 offset:64
.LBB110_17:
	s_or_b64 exec, exec, s[12:13]
	v_xor_b32_e32 v11, 0x7fffffff, v11
	v_not_b32_e32 v10, v10
	v_lshrrev_b64 v[16:17], s48, v[10:11]
	v_and_b32_e32 v18, s33, v16
	v_and_b32_e32 v17, 1, v18
	v_add_co_u32_e64 v19, s[12:13], -1, v17
	v_addc_co_u32_e64 v30, s[12:13], 0, -1, s[12:13]
	v_cmp_ne_u32_e64 s[12:13], 0, v17
	v_lshl_add_u32 v16, v18, 4, v18
	v_xor_b32_e32 v17, s13, v30
	v_add_lshl_u32 v29, v32, v16, 2
	v_mov_b32_e32 v16, 0
	v_and_b32_e32 v30, exec_hi, v17
	v_lshlrev_b32_e32 v17, 30, v18
	v_xor_b32_e32 v19, s12, v19
	v_cmp_gt_i64_e64 s[12:13], 0, v[16:17]
	v_not_b32_e32 v17, v17
	v_ashrrev_i32_e32 v17, 31, v17
	v_and_b32_e32 v19, exec_lo, v19
	v_xor_b32_e32 v31, s13, v17
	v_xor_b32_e32 v17, s12, v17
	v_and_b32_e32 v19, v19, v17
	v_lshlrev_b32_e32 v17, 29, v18
	v_cmp_gt_i64_e64 s[12:13], 0, v[16:17]
	v_not_b32_e32 v17, v17
	v_ashrrev_i32_e32 v17, 31, v17
	v_and_b32_e32 v30, v30, v31
	v_xor_b32_e32 v31, s13, v17
	v_xor_b32_e32 v17, s12, v17
	v_and_b32_e32 v19, v19, v17
	v_lshlrev_b32_e32 v17, 28, v18
	v_cmp_gt_i64_e64 s[12:13], 0, v[16:17]
	v_not_b32_e32 v17, v17
	v_ashrrev_i32_e32 v17, 31, v17
	v_and_b32_e32 v30, v30, v31
	v_xor_b32_e32 v31, s13, v17
	v_xor_b32_e32 v17, s12, v17
	v_and_b32_e32 v19, v19, v17
	v_lshlrev_b32_e32 v17, 27, v18
	v_cmp_gt_i64_e64 s[12:13], 0, v[16:17]
	v_not_b32_e32 v17, v17
	v_ashrrev_i32_e32 v17, 31, v17
	v_and_b32_e32 v30, v30, v31
	v_xor_b32_e32 v31, s13, v17
	v_xor_b32_e32 v17, s12, v17
	v_and_b32_e32 v19, v19, v17
	v_lshlrev_b32_e32 v17, 26, v18
	v_cmp_gt_i64_e64 s[12:13], 0, v[16:17]
	v_not_b32_e32 v17, v17
	v_ashrrev_i32_e32 v17, 31, v17
	v_and_b32_e32 v30, v30, v31
	v_xor_b32_e32 v31, s13, v17
	v_xor_b32_e32 v17, s12, v17
	v_and_b32_e32 v19, v19, v17
	v_lshlrev_b32_e32 v17, 25, v18
	v_cmp_gt_i64_e64 s[12:13], 0, v[16:17]
	v_not_b32_e32 v17, v17
	v_ashrrev_i32_e32 v17, 31, v17
	v_and_b32_e32 v30, v30, v31
	v_xor_b32_e32 v31, s13, v17
	v_xor_b32_e32 v17, s12, v17
	v_and_b32_e32 v30, v30, v31
	v_and_b32_e32 v31, v19, v17
	v_lshlrev_b32_e32 v17, 24, v18
	v_cmp_gt_i64_e64 s[12:13], 0, v[16:17]
	v_not_b32_e32 v17, v17
	v_ashrrev_i32_e32 v17, 31, v17
	v_xor_b32_e32 v18, s13, v17
	v_xor_b32_e32 v17, s12, v17
	; wave barrier
	ds_read_b32 v28, v29 offset:64
	v_and_b32_e32 v19, v30, v18
	v_and_b32_e32 v18, v31, v17
	v_mbcnt_lo_u32_b32 v17, v18, 0
	v_mbcnt_hi_u32_b32 v30, v19, v17
	v_cmp_eq_u32_e64 s[12:13], 0, v30
	v_cmp_ne_u64_e64 s[14:15], 0, v[18:19]
	s_and_b64 s[14:15], s[14:15], s[12:13]
	; wave barrier
	s_and_saveexec_b64 s[12:13], s[14:15]
	s_cbranch_execz .LBB110_19
; %bb.18:
	v_bcnt_u32_b32 v17, v18, 0
	v_bcnt_u32_b32 v17, v19, v17
	s_waitcnt lgkmcnt(0)
	v_add_u32_e32 v17, v28, v17
	ds_write_b32 v29, v17 offset:64
.LBB110_19:
	s_or_b64 exec, exec, s[12:13]
	v_xor_b32_e32 v15, 0x7fffffff, v15
	v_not_b32_e32 v14, v14
	v_lshrrev_b64 v[18:19], s48, v[14:15]
	v_and_b32_e32 v18, s33, v18
	v_lshl_add_u32 v17, v18, 4, v18
	v_add_lshl_u32 v33, v32, v17, 2
	v_and_b32_e32 v17, 1, v18
	v_add_co_u32_e64 v19, s[12:13], -1, v17
	v_addc_co_u32_e64 v34, s[12:13], 0, -1, s[12:13]
	v_cmp_ne_u32_e64 s[12:13], 0, v17
	v_xor_b32_e32 v17, s13, v34
	v_and_b32_e32 v34, exec_hi, v17
	v_lshlrev_b32_e32 v17, 30, v18
	v_xor_b32_e32 v19, s12, v19
	v_cmp_gt_i64_e64 s[12:13], 0, v[16:17]
	v_not_b32_e32 v17, v17
	v_ashrrev_i32_e32 v17, 31, v17
	v_and_b32_e32 v19, exec_lo, v19
	v_xor_b32_e32 v35, s13, v17
	v_xor_b32_e32 v17, s12, v17
	v_and_b32_e32 v19, v19, v17
	v_lshlrev_b32_e32 v17, 29, v18
	v_cmp_gt_i64_e64 s[12:13], 0, v[16:17]
	v_not_b32_e32 v17, v17
	v_ashrrev_i32_e32 v17, 31, v17
	v_and_b32_e32 v34, v34, v35
	v_xor_b32_e32 v35, s13, v17
	v_xor_b32_e32 v17, s12, v17
	v_and_b32_e32 v19, v19, v17
	v_lshlrev_b32_e32 v17, 28, v18
	v_cmp_gt_i64_e64 s[12:13], 0, v[16:17]
	v_not_b32_e32 v17, v17
	v_ashrrev_i32_e32 v17, 31, v17
	v_and_b32_e32 v34, v34, v35
	;; [unrolled: 8-line block ×5, first 2 shown]
	v_xor_b32_e32 v35, s13, v17
	v_xor_b32_e32 v17, s12, v17
	v_and_b32_e32 v19, v19, v17
	v_lshlrev_b32_e32 v17, 24, v18
	v_cmp_gt_i64_e64 s[12:13], 0, v[16:17]
	v_not_b32_e32 v16, v17
	v_ashrrev_i32_e32 v16, 31, v16
	v_xor_b32_e32 v17, s13, v16
	v_xor_b32_e32 v16, s12, v16
	; wave barrier
	ds_read_b32 v31, v33 offset:64
	v_and_b32_e32 v34, v34, v35
	v_and_b32_e32 v16, v19, v16
	;; [unrolled: 1-line block ×3, first 2 shown]
	v_mbcnt_lo_u32_b32 v18, v16, 0
	v_mbcnt_hi_u32_b32 v34, v17, v18
	v_cmp_eq_u32_e64 s[12:13], 0, v34
	v_cmp_ne_u64_e64 s[14:15], 0, v[16:17]
	s_and_b64 s[14:15], s[14:15], s[12:13]
	; wave barrier
	s_and_saveexec_b64 s[12:13], s[14:15]
	s_cbranch_execz .LBB110_21
; %bb.20:
	v_bcnt_u32_b32 v16, v16, 0
	v_bcnt_u32_b32 v16, v17, v16
	s_waitcnt lgkmcnt(0)
	v_add_u32_e32 v16, v31, v16
	ds_write_b32 v33, v16 offset:64
.LBB110_21:
	s_or_b64 exec, exec, s[12:13]
	v_xor_b32_e32 v13, 0x7fffffff, v13
	v_not_b32_e32 v12, v12
	v_lshrrev_b64 v[16:17], s48, v[12:13]
	v_and_b32_e32 v16, s33, v16
	v_lshl_add_u32 v17, v16, 4, v16
	v_add_lshl_u32 v36, v32, v17, 2
	v_and_b32_e32 v17, 1, v16
	v_add_co_u32_e64 v19, s[12:13], -1, v17
	v_addc_co_u32_e64 v37, s[12:13], 0, -1, s[12:13]
	v_cmp_ne_u32_e64 s[12:13], 0, v17
	v_xor_b32_e32 v19, s12, v19
	v_mov_b32_e32 v18, 0
	v_xor_b32_e32 v17, s13, v37
	v_and_b32_e32 v37, exec_lo, v19
	v_lshlrev_b32_e32 v19, 30, v16
	v_cmp_gt_i64_e64 s[12:13], 0, v[18:19]
	v_not_b32_e32 v19, v19
	v_ashrrev_i32_e32 v19, 31, v19
	v_xor_b32_e32 v38, s13, v19
	v_xor_b32_e32 v19, s12, v19
	v_and_b32_e32 v37, v37, v19
	v_lshlrev_b32_e32 v19, 29, v16
	v_cmp_gt_i64_e64 s[12:13], 0, v[18:19]
	v_not_b32_e32 v19, v19
	v_and_b32_e32 v17, exec_hi, v17
	v_ashrrev_i32_e32 v19, 31, v19
	v_and_b32_e32 v17, v17, v38
	v_xor_b32_e32 v38, s13, v19
	v_xor_b32_e32 v19, s12, v19
	v_and_b32_e32 v37, v37, v19
	v_lshlrev_b32_e32 v19, 28, v16
	v_cmp_gt_i64_e64 s[12:13], 0, v[18:19]
	v_not_b32_e32 v19, v19
	v_ashrrev_i32_e32 v19, 31, v19
	v_and_b32_e32 v17, v17, v38
	v_xor_b32_e32 v38, s13, v19
	v_xor_b32_e32 v19, s12, v19
	v_and_b32_e32 v37, v37, v19
	v_lshlrev_b32_e32 v19, 27, v16
	v_cmp_gt_i64_e64 s[12:13], 0, v[18:19]
	v_not_b32_e32 v19, v19
	;; [unrolled: 8-line block ×4, first 2 shown]
	v_ashrrev_i32_e32 v19, 31, v19
	v_and_b32_e32 v17, v17, v38
	v_xor_b32_e32 v38, s13, v19
	v_xor_b32_e32 v19, s12, v19
	v_and_b32_e32 v37, v37, v19
	v_lshlrev_b32_e32 v19, 24, v16
	v_not_b32_e32 v16, v19
	v_cmp_gt_i64_e64 s[12:13], 0, v[18:19]
	v_ashrrev_i32_e32 v16, 31, v16
	v_xor_b32_e32 v19, s13, v16
	v_xor_b32_e32 v16, s12, v16
	; wave barrier
	ds_read_b32 v35, v36 offset:64
	v_and_b32_e32 v17, v17, v38
	v_and_b32_e32 v16, v37, v16
	;; [unrolled: 1-line block ×3, first 2 shown]
	v_mbcnt_lo_u32_b32 v19, v16, 0
	v_mbcnt_hi_u32_b32 v37, v17, v19
	v_cmp_eq_u32_e64 s[12:13], 0, v37
	v_cmp_ne_u64_e64 s[14:15], 0, v[16:17]
	s_and_b64 s[14:15], s[14:15], s[12:13]
	; wave barrier
	s_and_saveexec_b64 s[12:13], s[14:15]
	s_cbranch_execz .LBB110_23
; %bb.22:
	v_bcnt_u32_b32 v16, v16, 0
	v_bcnt_u32_b32 v16, v17, v16
	s_waitcnt lgkmcnt(0)
	v_add_u32_e32 v16, v35, v16
	ds_write_b32 v36, v16 offset:64
.LBB110_23:
	s_or_b64 exec, exec, s[12:13]
	v_xor_b32_e32 v17, 0x7fffffff, v9
	v_not_b32_e32 v16, v8
	v_lshrrev_b64 v[8:9], s48, v[16:17]
	v_and_b32_e32 v8, s33, v8
	v_lshl_add_u32 v9, v8, 4, v8
	v_add_lshl_u32 v39, v32, v9, 2
	v_and_b32_e32 v9, 1, v8
	v_add_co_u32_e64 v19, s[12:13], -1, v9
	v_addc_co_u32_e64 v40, s[12:13], 0, -1, s[12:13]
	v_cmp_ne_u32_e64 s[12:13], 0, v9
	v_xor_b32_e32 v19, s12, v19
	v_xor_b32_e32 v9, s13, v40
	v_and_b32_e32 v40, exec_lo, v19
	v_lshlrev_b32_e32 v19, 30, v8
	v_cmp_gt_i64_e64 s[12:13], 0, v[18:19]
	v_not_b32_e32 v19, v19
	v_ashrrev_i32_e32 v19, 31, v19
	v_xor_b32_e32 v41, s13, v19
	v_xor_b32_e32 v19, s12, v19
	v_and_b32_e32 v40, v40, v19
	v_lshlrev_b32_e32 v19, 29, v8
	v_cmp_gt_i64_e64 s[12:13], 0, v[18:19]
	v_not_b32_e32 v19, v19
	v_and_b32_e32 v9, exec_hi, v9
	v_ashrrev_i32_e32 v19, 31, v19
	v_and_b32_e32 v9, v9, v41
	v_xor_b32_e32 v41, s13, v19
	v_xor_b32_e32 v19, s12, v19
	v_and_b32_e32 v40, v40, v19
	v_lshlrev_b32_e32 v19, 28, v8
	v_cmp_gt_i64_e64 s[12:13], 0, v[18:19]
	v_not_b32_e32 v19, v19
	v_ashrrev_i32_e32 v19, 31, v19
	v_and_b32_e32 v9, v9, v41
	v_xor_b32_e32 v41, s13, v19
	v_xor_b32_e32 v19, s12, v19
	v_and_b32_e32 v40, v40, v19
	v_lshlrev_b32_e32 v19, 27, v8
	v_cmp_gt_i64_e64 s[12:13], 0, v[18:19]
	v_not_b32_e32 v19, v19
	;; [unrolled: 8-line block ×4, first 2 shown]
	v_ashrrev_i32_e32 v19, 31, v19
	v_and_b32_e32 v9, v9, v41
	v_xor_b32_e32 v41, s13, v19
	v_xor_b32_e32 v19, s12, v19
	v_and_b32_e32 v40, v40, v19
	v_lshlrev_b32_e32 v19, 24, v8
	v_not_b32_e32 v8, v19
	v_cmp_gt_i64_e64 s[12:13], 0, v[18:19]
	v_ashrrev_i32_e32 v8, 31, v8
	v_xor_b32_e32 v18, s13, v8
	v_xor_b32_e32 v8, s12, v8
	; wave barrier
	ds_read_b32 v32, v39 offset:64
	v_and_b32_e32 v9, v9, v41
	v_and_b32_e32 v8, v40, v8
	;; [unrolled: 1-line block ×3, first 2 shown]
	v_mbcnt_lo_u32_b32 v18, v8, 0
	v_mbcnt_hi_u32_b32 v40, v9, v18
	v_cmp_eq_u32_e64 s[12:13], 0, v40
	v_cmp_ne_u64_e64 s[14:15], 0, v[8:9]
	v_add_u32_e32 v38, 64, v22
	s_and_b64 s[14:15], s[14:15], s[12:13]
	; wave barrier
	s_and_saveexec_b64 s[12:13], s[14:15]
	s_cbranch_execz .LBB110_25
; %bb.24:
	v_bcnt_u32_b32 v8, v8, 0
	v_bcnt_u32_b32 v8, v9, v8
	s_waitcnt lgkmcnt(0)
	v_add_u32_e32 v8, v32, v8
	ds_write_b32 v39, v8 offset:64
.LBB110_25:
	s_or_b64 exec, exec, s[12:13]
	; wave barrier
	s_waitcnt lgkmcnt(0)
	s_barrier
	ds_read2_b32 v[18:19], v22 offset0:16 offset1:17
	ds_read2_b32 v[8:9], v38 offset0:2 offset1:3
	ds_read_b32 v41, v38 offset:16
	v_cmp_lt_u32_e64 s[20:21], 31, v21
	s_waitcnt lgkmcnt(1)
	v_add3_u32 v42, v19, v18, v8
	s_waitcnt lgkmcnt(0)
	v_add3_u32 v41, v42, v9, v41
	v_and_b32_e32 v42, 15, v21
	v_cmp_eq_u32_e64 s[12:13], 0, v42
	v_mov_b32_dpp v43, v41 row_shr:1 row_mask:0xf bank_mask:0xf
	v_cndmask_b32_e64 v43, v43, 0, s[12:13]
	v_add_u32_e32 v41, v43, v41
	v_cmp_lt_u32_e64 s[14:15], 1, v42
	v_cmp_lt_u32_e64 s[16:17], 3, v42
	v_mov_b32_dpp v43, v41 row_shr:2 row_mask:0xf bank_mask:0xf
	v_cndmask_b32_e64 v43, 0, v43, s[14:15]
	v_add_u32_e32 v41, v41, v43
	v_cmp_lt_u32_e64 s[18:19], 7, v42
	s_nop 0
	v_mov_b32_dpp v43, v41 row_shr:4 row_mask:0xf bank_mask:0xf
	v_cndmask_b32_e64 v43, 0, v43, s[16:17]
	v_add_u32_e32 v41, v41, v43
	s_nop 1
	v_mov_b32_dpp v43, v41 row_shr:8 row_mask:0xf bank_mask:0xf
	v_cndmask_b32_e64 v42, 0, v43, s[18:19]
	v_add_u32_e32 v41, v41, v42
	v_bfe_i32 v43, v21, 4, 1
	s_nop 0
	v_mov_b32_dpp v42, v41 row_bcast:15 row_mask:0xf bank_mask:0xf
	v_and_b32_e32 v42, v43, v42
	v_add_u32_e32 v41, v41, v42
	v_and_b32_e32 v43, 63, v2
	s_nop 0
	v_mov_b32_dpp v42, v41 row_bcast:31 row_mask:0xf bank_mask:0xf
	v_cndmask_b32_e64 v42, 0, v42, s[20:21]
	v_add_u32_e32 v41, v41, v42
	v_lshrrev_b32_e32 v42, 6, v2
	v_cmp_eq_u32_e64 s[20:21], 63, v43
	s_and_saveexec_b64 s[22:23], s[20:21]
	s_cbranch_execz .LBB110_27
; %bb.26:
	v_lshlrev_b32_e32 v43, 2, v42
	ds_write_b32 v43, v41
.LBB110_27:
	s_or_b64 exec, exec, s[22:23]
	v_cmp_gt_u32_e64 s[20:21], 16, v2
	s_waitcnt lgkmcnt(0)
	s_barrier
	s_and_saveexec_b64 s[22:23], s[20:21]
	s_cbranch_execz .LBB110_29
; %bb.28:
	v_lshlrev_b32_e32 v43, 2, v2
	ds_read_b32 v44, v43
	s_waitcnt lgkmcnt(0)
	s_nop 0
	v_mov_b32_dpp v45, v44 row_shr:1 row_mask:0xf bank_mask:0xf
	v_cndmask_b32_e64 v45, v45, 0, s[12:13]
	v_add_u32_e32 v44, v45, v44
	s_nop 1
	v_mov_b32_dpp v45, v44 row_shr:2 row_mask:0xf bank_mask:0xf
	v_cndmask_b32_e64 v45, 0, v45, s[14:15]
	v_add_u32_e32 v44, v44, v45
	;; [unrolled: 4-line block ×4, first 2 shown]
	ds_write_b32 v43, v44
.LBB110_29:
	s_or_b64 exec, exec, s[22:23]
	v_cmp_lt_u32_e64 s[12:13], 63, v2
	v_mov_b32_e32 v43, 0
	s_waitcnt lgkmcnt(0)
	s_barrier
	s_and_saveexec_b64 s[14:15], s[12:13]
	s_cbranch_execz .LBB110_31
; %bb.30:
	v_lshl_add_u32 v42, v42, 2, -4
	ds_read_b32 v43, v42
.LBB110_31:
	s_or_b64 exec, exec, s[14:15]
	v_add_u32_e32 v42, -1, v21
	v_and_b32_e32 v44, 64, v21
	v_cmp_lt_i32_e64 s[12:13], v42, v44
	v_cndmask_b32_e64 v42, v42, v21, s[12:13]
	s_waitcnt lgkmcnt(0)
	v_add_u32_e32 v41, v43, v41
	v_lshlrev_b32_e32 v42, 2, v42
	ds_bpermute_b32 v41, v42, v41
	v_cmp_eq_u32_e64 s[12:13], 0, v21
	s_waitcnt lgkmcnt(0)
	v_cndmask_b32_e64 v21, v41, v43, s[12:13]
	v_cmp_ne_u32_e64 s[12:13], 0, v2
	v_cndmask_b32_e64 v21, 0, v21, s[12:13]
	v_add_u32_e32 v18, v21, v18
	v_add_u32_e32 v19, v18, v19
	;; [unrolled: 1-line block ×4, first 2 shown]
	ds_write2_b32 v22, v21, v18 offset0:16 offset1:17
	ds_write2_b32 v38, v19, v8 offset0:2 offset1:3
	ds_write_b32 v38, v9 offset:16
	s_waitcnt lgkmcnt(0)
	s_barrier
	ds_read_b32 v22, v25 offset:64
	ds_read_b32 v38, v26 offset:64
	;; [unrolled: 1-line block ×6, first 2 shown]
	s_movk_i32 s12, 0x100
	v_cmp_gt_u32_e64 s[12:13], s12, v2
	v_pk_mov_b32 v[8:9], 0, 0
                                        ; implicit-def: $vgpr21
	s_and_saveexec_b64 s[16:17], s[12:13]
	s_cbranch_execz .LBB110_35
; %bb.32:
	v_mul_u32_u24_e32 v8, 17, v2
	v_lshlrev_b32_e32 v21, 2, v8
	ds_read_b32 v8, v21 offset:64
	s_movk_i32 s14, 0xff
	v_cmp_ne_u32_e64 s[14:15], s14, v2
	v_mov_b32_e32 v9, 0x1800
	s_and_saveexec_b64 s[18:19], s[14:15]
	s_cbranch_execz .LBB110_34
; %bb.33:
	ds_read_b32 v9, v21 offset:132
.LBB110_34:
	s_or_b64 exec, exec, s[18:19]
	s_waitcnt lgkmcnt(0)
	v_sub_u32_e32 v21, v9, v8
	v_mov_b32_e32 v9, 0
.LBB110_35:
	s_or_b64 exec, exec, s[16:17]
	v_add_u32_e32 v29, v40, v32
	v_add_u32_e32 v32, v37, v35
	;; [unrolled: 1-line block ×5, first 2 shown]
	s_waitcnt lgkmcnt(5)
	v_add_lshl_u32 v22, v22, v23, 3
	s_waitcnt lgkmcnt(4)
	v_add_lshl_u32 v23, v24, v38, 3
	;; [unrolled: 2-line block ×6, first 2 shown]
	s_barrier
	ds_write_b64 v22, v[4:5] offset:2048
	ds_write_b64 v23, v[6:7] offset:2048
	;; [unrolled: 1-line block ×6, first 2 shown]
	s_waitcnt lgkmcnt(0)
	s_barrier
	s_and_saveexec_b64 s[16:17], s[12:13]
	s_cbranch_execz .LBB110_45
; %bb.36:
	v_lshl_or_b32 v4, s6, 8, v2
	v_mov_b32_e32 v5, 0
	v_lshlrev_b64 v[6:7], 2, v[4:5]
	v_mov_b32_e32 v12, s31
	v_add_co_u32_e64 v6, s[14:15], s30, v6
	v_addc_co_u32_e64 v7, s[14:15], v12, v7, s[14:15]
	v_or_b32_e32 v4, 2.0, v21
	s_mov_b64 s[18:19], 0
	s_brev_b32 s24, 1
	s_mov_b32 s25, s6
	v_mov_b32_e32 v13, 0
	global_store_dword v[6:7], v4, off
                                        ; implicit-def: $sgpr14_sgpr15
	s_branch .LBB110_38
.LBB110_37:                             ;   in Loop: Header=BB110_38 Depth=1
	s_or_b64 exec, exec, s[20:21]
	v_and_b32_e32 v10, 0x3fffffff, v14
	v_add_u32_e32 v13, v10, v13
	v_cmp_eq_u32_e64 s[14:15], s24, v4
	s_and_b64 s[20:21], exec, s[14:15]
	s_or_b64 s[18:19], s[20:21], s[18:19]
	s_andn2_b64 exec, exec, s[18:19]
	s_cbranch_execz .LBB110_44
.LBB110_38:                             ; =>This Loop Header: Depth=1
                                        ;     Child Loop BB110_41 Depth 2
	s_or_b64 s[14:15], s[14:15], exec
	s_cmp_eq_u32 s25, 0
	s_cbranch_scc1 .LBB110_43
; %bb.39:                               ;   in Loop: Header=BB110_38 Depth=1
	s_add_i32 s25, s25, -1
	v_lshl_or_b32 v4, s25, 8, v2
	v_lshlrev_b64 v[10:11], 2, v[4:5]
	v_add_co_u32_e64 v10, s[14:15], s30, v10
	v_addc_co_u32_e64 v11, s[14:15], v12, v11, s[14:15]
	global_load_dword v14, v[10:11], off glc
	s_waitcnt vmcnt(0)
	v_and_b32_e32 v4, -2.0, v14
	v_cmp_eq_u32_e64 s[14:15], 0, v4
	s_and_saveexec_b64 s[20:21], s[14:15]
	s_cbranch_execz .LBB110_37
; %bb.40:                               ;   in Loop: Header=BB110_38 Depth=1
	s_mov_b64 s[22:23], 0
.LBB110_41:                             ;   Parent Loop BB110_38 Depth=1
                                        ; =>  This Inner Loop Header: Depth=2
	global_load_dword v14, v[10:11], off glc
	s_waitcnt vmcnt(0)
	v_and_b32_e32 v4, -2.0, v14
	v_cmp_ne_u32_e64 s[14:15], 0, v4
	s_or_b64 s[22:23], s[14:15], s[22:23]
	s_andn2_b64 exec, exec, s[22:23]
	s_cbranch_execnz .LBB110_41
; %bb.42:                               ;   in Loop: Header=BB110_38 Depth=1
	s_or_b64 exec, exec, s[22:23]
	s_branch .LBB110_37
.LBB110_43:                             ;   in Loop: Header=BB110_38 Depth=1
                                        ; implicit-def: $sgpr25
	s_and_b64 s[20:21], exec, s[14:15]
	s_or_b64 s[18:19], s[20:21], s[18:19]
	s_andn2_b64 exec, exec, s[18:19]
	s_cbranch_execnz .LBB110_38
.LBB110_44:
	s_or_b64 exec, exec, s[18:19]
	v_add_u32_e32 v4, v13, v21
	v_or_b32_e32 v4, 0x80000000, v4
	global_store_dword v[6:7], v4, off
	v_lshlrev_b32_e32 v6, 3, v2
	global_load_dwordx2 v[4:5], v6, s[44:45]
	v_sub_co_u32_e64 v7, s[14:15], v13, v8
	v_subb_co_u32_e64 v10, s[14:15], 0, v9, s[14:15]
	s_waitcnt vmcnt(0)
	v_add_co_u32_e64 v4, s[14:15], v7, v4
	v_addc_co_u32_e64 v5, s[14:15], v10, v5, s[14:15]
	ds_write_b64 v6, v[4:5]
.LBB110_45:
	s_or_b64 exec, exec, s[16:17]
	v_cmp_gt_u32_e64 s[14:15], s52, v2
	v_lshlrev_b32_e32 v28, 3, v2
	s_waitcnt lgkmcnt(0)
	s_barrier
	s_and_saveexec_b64 s[18:19], s[14:15]
	s_cbranch_execz .LBB110_47
; %bb.46:
	ds_read_b64 v[4:5], v28 offset:2048
	v_mov_b32_e32 v10, s39
	s_waitcnt lgkmcnt(0)
	v_lshrrev_b64 v[6:7], s48, v[4:5]
	v_and_b32_e32 v6, s33, v6
	v_lshlrev_b32_e32 v6, 3, v6
	ds_read_b64 v[6:7], v6
	v_xor_b32_e32 v5, 0x7fffffff, v5
	v_not_b32_e32 v4, v4
	s_waitcnt lgkmcnt(0)
	v_lshlrev_b64 v[6:7], 3, v[6:7]
	v_add_co_u32_e64 v6, s[16:17], s38, v6
	v_addc_co_u32_e64 v7, s[16:17], v10, v7, s[16:17]
	v_add_co_u32_e64 v6, s[16:17], v6, v28
	v_addc_co_u32_e64 v7, s[16:17], 0, v7, s[16:17]
	global_store_dwordx2 v[6:7], v[4:5], off
.LBB110_47:
	s_or_b64 exec, exec, s[18:19]
	v_or_b32_e32 v4, 0x400, v2
	v_cmp_gt_u32_e64 s[16:17], s52, v4
	v_lshlrev_b32_e32 v29, 3, v4
	s_and_saveexec_b64 s[20:21], s[16:17]
	s_cbranch_execz .LBB110_49
; %bb.48:
	ds_read_b64 v[4:5], v28 offset:10240
	v_mov_b32_e32 v10, s39
	s_waitcnt lgkmcnt(0)
	v_lshrrev_b64 v[6:7], s48, v[4:5]
	v_and_b32_e32 v6, s33, v6
	v_lshlrev_b32_e32 v6, 3, v6
	ds_read_b64 v[6:7], v6
	v_xor_b32_e32 v5, 0x7fffffff, v5
	v_not_b32_e32 v4, v4
	s_waitcnt lgkmcnt(0)
	v_lshlrev_b64 v[6:7], 3, v[6:7]
	v_add_co_u32_e64 v6, s[18:19], s38, v6
	v_addc_co_u32_e64 v7, s[18:19], v10, v7, s[18:19]
	v_add_co_u32_e64 v6, s[18:19], v6, v29
	v_addc_co_u32_e64 v7, s[18:19], 0, v7, s[18:19]
	global_store_dwordx2 v[6:7], v[4:5], off
.LBB110_49:
	s_or_b64 exec, exec, s[20:21]
	v_or_b32_e32 v4, 0x800, v2
	v_cmp_gt_u32_e64 s[18:19], s52, v4
	v_lshlrev_b32_e32 v30, 3, v4
	;; [unrolled: 24-line block ×5, first 2 shown]
	s_and_saveexec_b64 s[52:53], s[24:25]
	s_cbranch_execz .LBB110_57
; %bb.56:
	ds_read_b64 v[4:5], v28 offset:43008
	v_mov_b32_e32 v10, s39
	s_waitcnt lgkmcnt(0)
	v_lshrrev_b64 v[6:7], s48, v[4:5]
	v_and_b32_e32 v6, s33, v6
	v_lshlrev_b32_e32 v6, 3, v6
	ds_read_b64 v[6:7], v6
	v_xor_b32_e32 v5, 0x7fffffff, v5
	v_not_b32_e32 v4, v4
	s_waitcnt lgkmcnt(0)
	v_lshlrev_b64 v[6:7], 3, v[6:7]
	v_add_co_u32_e64 v6, s[28:29], s38, v6
	v_addc_co_u32_e64 v7, s[28:29], v10, v7, s[28:29]
	v_add_co_u32_e64 v6, s[28:29], v6, v33
	v_addc_co_u32_e64 v7, s[28:29], 0, v7, s[28:29]
	global_store_dwordx2 v[6:7], v[4:5], off
.LBB110_57:
	s_or_b64 exec, exec, s[52:53]
	s_add_u32 s28, s40, s50
	s_addc_u32 s29, s41, s51
	v_mov_b32_e32 v4, s29
	v_add_co_u32_e64 v3, s[28:29], s28, v3
	v_addc_co_u32_e64 v4, s[28:29], 0, v4, s[28:29]
	v_add_co_u32_e64 v18, s[28:29], v3, v20
	v_addc_co_u32_e64 v19, s[28:29], 0, v4, s[28:29]
                                        ; implicit-def: $vgpr4_vgpr5
	s_and_saveexec_b64 s[28:29], vcc
	s_xor_b64 s[28:29], exec, s[28:29]
	s_cbranch_execnz .LBB110_127
; %bb.58:
	s_or_b64 exec, exec, s[28:29]
                                        ; implicit-def: $vgpr6_vgpr7
	s_and_saveexec_b64 s[28:29], s[0:1]
	s_cbranch_execnz .LBB110_128
.LBB110_59:
	s_or_b64 exec, exec, s[28:29]
                                        ; implicit-def: $vgpr10_vgpr11
	s_and_saveexec_b64 s[0:1], s[2:3]
	s_cbranch_execnz .LBB110_129
.LBB110_60:
	s_or_b64 exec, exec, s[0:1]
                                        ; implicit-def: $vgpr12_vgpr13
	s_and_saveexec_b64 s[0:1], s[26:27]
	s_cbranch_execnz .LBB110_130
.LBB110_61:
	s_or_b64 exec, exec, s[0:1]
                                        ; implicit-def: $vgpr14_vgpr15
	s_and_saveexec_b64 s[0:1], s[8:9]
	s_cbranch_execnz .LBB110_131
.LBB110_62:
	s_or_b64 exec, exec, s[0:1]
                                        ; implicit-def: $vgpr16_vgpr17
	s_and_saveexec_b64 s[0:1], s[10:11]
	s_cbranch_execz .LBB110_64
.LBB110_63:
	global_load_dwordx2 v[16:17], v[18:19], off offset:2560
.LBB110_64:
	s_or_b64 exec, exec, s[0:1]
	v_mov_b32_e32 v20, 0
	v_mov_b32_e32 v35, 0
	s_and_saveexec_b64 s[0:1], s[14:15]
	s_cbranch_execz .LBB110_66
; %bb.65:
	ds_read_b64 v[18:19], v28 offset:2048
	s_waitcnt lgkmcnt(0)
	v_lshrrev_b64 v[18:19], s48, v[18:19]
	v_and_b32_e32 v35, s33, v18
.LBB110_66:
	s_or_b64 exec, exec, s[0:1]
	s_and_saveexec_b64 s[0:1], s[16:17]
	s_cbranch_execz .LBB110_68
; %bb.67:
	ds_read_b64 v[18:19], v28 offset:10240
	s_waitcnt lgkmcnt(0)
	v_lshrrev_b64 v[18:19], s48, v[18:19]
	v_and_b32_e32 v20, s33, v18
.LBB110_68:
	s_or_b64 exec, exec, s[0:1]
	v_mov_b32_e32 v18, 0
	v_mov_b32_e32 v34, 0
	s_and_saveexec_b64 s[0:1], s[18:19]
	s_cbranch_execz .LBB110_70
; %bb.69:
	ds_read_b64 v[36:37], v28 offset:18432
	s_waitcnt lgkmcnt(0)
	v_lshrrev_b64 v[36:37], s48, v[36:37]
	v_and_b32_e32 v34, s33, v36
.LBB110_70:
	s_or_b64 exec, exec, s[0:1]
	s_and_saveexec_b64 s[0:1], s[20:21]
	s_cbranch_execz .LBB110_72
; %bb.71:
	ds_read_b64 v[18:19], v28 offset:26624
	s_waitcnt lgkmcnt(0)
	v_lshrrev_b64 v[18:19], s48, v[18:19]
	v_and_b32_e32 v18, s33, v18
.LBB110_72:
	;; [unrolled: 20-line block ×3, first 2 shown]
	s_or_b64 exec, exec, s[0:1]
	s_barrier
	s_waitcnt vmcnt(0)
	ds_write_b64 v22, v[4:5] offset:2048
	ds_write_b64 v23, v[6:7] offset:2048
	;; [unrolled: 1-line block ×6, first 2 shown]
	s_waitcnt lgkmcnt(0)
	s_barrier
	s_and_saveexec_b64 s[0:1], s[14:15]
	s_cbranch_execnz .LBB110_132
; %bb.77:
	s_or_b64 exec, exec, s[0:1]
	s_and_saveexec_b64 s[0:1], s[16:17]
	s_cbranch_execnz .LBB110_133
.LBB110_78:
	s_or_b64 exec, exec, s[0:1]
	s_and_saveexec_b64 s[0:1], s[18:19]
	s_cbranch_execnz .LBB110_134
.LBB110_79:
	s_or_b64 exec, exec, s[0:1]
	s_and_saveexec_b64 s[0:1], s[20:21]
	s_cbranch_execnz .LBB110_135
.LBB110_80:
	s_or_b64 exec, exec, s[0:1]
	s_and_saveexec_b64 s[0:1], s[22:23]
	s_cbranch_execnz .LBB110_136
.LBB110_81:
	s_or_b64 exec, exec, s[0:1]
	s_and_saveexec_b64 s[0:1], s[24:25]
	s_cbranch_execz .LBB110_83
.LBB110_82:
	v_lshlrev_b32_e32 v3, 3, v3
	ds_read_b64 v[4:5], v3
	ds_read_b64 v[6:7], v28 offset:43008
	v_mov_b32_e32 v3, s43
	s_waitcnt lgkmcnt(1)
	v_lshlrev_b64 v[4:5], 3, v[4:5]
	v_add_co_u32_e32 v4, vcc, s42, v4
	v_addc_co_u32_e32 v3, vcc, v3, v5, vcc
	v_add_co_u32_e32 v4, vcc, v4, v33
	v_addc_co_u32_e32 v5, vcc, 0, v3, vcc
	s_waitcnt lgkmcnt(0)
	global_store_dwordx2 v[4:5], v[6:7], off
.LBB110_83:
	s_or_b64 exec, exec, s[0:1]
	s_add_i32 s7, s7, -1
	s_cmp_eq_u32 s6, s7
	s_cselect_b64 s[0:1], -1, 0
	s_and_b64 s[2:3], s[12:13], s[0:1]
	s_mov_b64 s[0:1], 0
	s_mov_b64 s[10:11], 0
                                        ; implicit-def: $vgpr4_vgpr5
	s_and_saveexec_b64 s[8:9], s[2:3]
	s_xor_b64 s[2:3], exec, s[8:9]
; %bb.84:
	v_add_co_u32_e32 v4, vcc, v8, v21
	s_mov_b64 s[10:11], exec
	v_mov_b32_e32 v3, 0
	v_addc_co_u32_e32 v5, vcc, 0, v9, vcc
; %bb.85:
	s_or_b64 exec, exec, s[2:3]
	s_and_b64 vcc, exec, s[0:1]
	s_cbranch_vccnz .LBB110_87
	s_branch .LBB110_124
.LBB110_86:
	s_mov_b64 s[10:11], 0
                                        ; implicit-def: $vgpr4_vgpr5
                                        ; implicit-def: $vgpr2_vgpr3
	s_cbranch_execz .LBB110_124
.LBB110_87:
	s_mov_b32 s35, 0
	s_lshl_b64 s[12:13], s[34:35], 3
	v_mbcnt_hi_u32_b32 v3, -1, v1
	s_add_u32 s0, s36, s12
	v_lshlrev_b32_e32 v18, 3, v3
	v_add_co_u32_e32 v5, vcc, s0, v18
	s_load_dword s7, s[4:5], 0x50
	s_load_dword s0, s[4:5], 0x5c
	v_and_b32_e32 v2, 0x3ff, v0
	s_addc_u32 s1, s37, s13
	v_and_b32_e32 v1, 0x3c0, v2
	v_mul_u32_u24_e32 v1, 6, v1
	v_mov_b32_e32 v4, s1
	v_addc_co_u32_e32 v4, vcc, 0, v4, vcc
	v_lshlrev_b32_e32 v19, 3, v1
	s_add_u32 s1, s4, 0x50
	v_add_co_u32_e32 v16, vcc, v5, v19
	s_addc_u32 s2, s5, 0
	s_waitcnt lgkmcnt(0)
	s_lshr_b32 s3, s0, 16
	v_addc_co_u32_e32 v17, vcc, 0, v4, vcc
	s_cmp_lt_u32 s6, s7
	global_load_dwordx2 v[22:23], v[16:17], off
	s_cselect_b32 s0, 12, 18
	s_add_u32 s0, s1, s0
	v_mov_b32_e32 v6, 0
	s_addc_u32 s1, s2, 0
	global_load_ushort v7, v6, s[0:1]
	v_mul_u32_u24_e32 v4, 5, v2
	v_lshlrev_b32_e32 v20, 2, v4
	ds_write2_b32 v20, v6, v6 offset0:16 offset1:17
	ds_write2_b32 v20, v6, v6 offset0:18 offset1:19
	ds_write_b32 v20, v6 offset:80
	global_load_dwordx2 v[4:5], v[16:17], off offset:512
	global_load_dwordx2 v[14:15], v[16:17], off offset:1024
	;; [unrolled: 1-line block ×5, first 2 shown]
	v_bfe_u32 v1, v0, 10, 10
	v_bfe_u32 v0, v0, 20, 10
	v_mad_u32_u24 v21, v0, s3, v1
	s_lshl_b32 s0, -1, s49
	s_not_b32 s16, s0
	s_waitcnt lgkmcnt(0)
	s_barrier
	s_waitcnt lgkmcnt(0)
	; wave barrier
	s_waitcnt vmcnt(6)
	v_xor_b32_e32 v1, 0x7fffffff, v23
	v_not_b32_e32 v0, v22
	v_lshrrev_b64 v[16:17], s48, v[0:1]
	v_and_b32_e32 v22, s16, v16
	s_waitcnt vmcnt(5)
	v_mad_u64_u32 v[16:17], s[0:1], v21, v7, v[2:3]
	v_and_b32_e32 v21, 1, v22
	v_lshrrev_b32_e32 v27, 6, v16
	v_add_co_u32_e32 v16, vcc, -1, v21
	v_lshlrev_b32_e32 v7, 30, v22
	v_addc_co_u32_e64 v23, s[0:1], 0, -1, vcc
	v_lshl_add_u32 v17, v22, 4, v22
	v_cmp_ne_u32_e32 vcc, 0, v21
	v_cmp_gt_i64_e64 s[0:1], 0, v[6:7]
	v_not_b32_e32 v24, v7
	v_lshlrev_b32_e32 v7, 29, v22
	v_add_lshl_u32 v21, v27, v17, 2
	v_xor_b32_e32 v17, vcc_hi, v23
	v_xor_b32_e32 v16, vcc_lo, v16
	v_ashrrev_i32_e32 v23, 31, v24
	v_cmp_gt_i64_e32 vcc, 0, v[6:7]
	v_not_b32_e32 v24, v7
	v_lshlrev_b32_e32 v7, 28, v22
	v_and_b32_e32 v17, exec_hi, v17
	v_and_b32_e32 v16, exec_lo, v16
	v_xor_b32_e32 v25, s1, v23
	v_xor_b32_e32 v23, s0, v23
	v_ashrrev_i32_e32 v24, 31, v24
	v_cmp_gt_i64_e64 s[0:1], 0, v[6:7]
	v_not_b32_e32 v26, v7
	v_lshlrev_b32_e32 v7, 27, v22
	v_and_b32_e32 v17, v17, v25
	v_and_b32_e32 v16, v16, v23
	v_xor_b32_e32 v23, vcc_hi, v24
	v_xor_b32_e32 v24, vcc_lo, v24
	v_ashrrev_i32_e32 v25, 31, v26
	v_cmp_gt_i64_e32 vcc, 0, v[6:7]
	v_not_b32_e32 v7, v7
	v_and_b32_e32 v17, v17, v23
	v_and_b32_e32 v16, v16, v24
	v_xor_b32_e32 v23, s1, v25
	v_xor_b32_e32 v24, s0, v25
	v_ashrrev_i32_e32 v7, 31, v7
	v_and_b32_e32 v17, v17, v23
	v_and_b32_e32 v16, v16, v24
	v_xor_b32_e32 v23, vcc_hi, v7
	v_xor_b32_e32 v7, vcc_lo, v7
	v_and_b32_e32 v16, v16, v7
	v_lshlrev_b32_e32 v7, 26, v22
	v_cmp_gt_i64_e32 vcc, 0, v[6:7]
	v_not_b32_e32 v7, v7
	v_ashrrev_i32_e32 v7, 31, v7
	v_and_b32_e32 v17, v17, v23
	v_xor_b32_e32 v23, vcc_hi, v7
	v_xor_b32_e32 v7, vcc_lo, v7
	v_and_b32_e32 v16, v16, v7
	v_lshlrev_b32_e32 v7, 25, v22
	v_cmp_gt_i64_e32 vcc, 0, v[6:7]
	v_not_b32_e32 v7, v7
	v_ashrrev_i32_e32 v7, 31, v7
	;; [unrolled: 8-line block ×3, first 2 shown]
	v_xor_b32_e32 v22, vcc_hi, v7
	v_xor_b32_e32 v7, vcc_lo, v7
	v_and_b32_e32 v17, v17, v23
	v_and_b32_e32 v16, v16, v7
	v_and_b32_e32 v17, v17, v22
	v_mbcnt_lo_u32_b32 v7, v16, 0
	v_mbcnt_hi_u32_b32 v22, v17, v7
	v_cmp_eq_u32_e32 vcc, 0, v22
	v_cmp_ne_u64_e64 s[0:1], 0, v[16:17]
	s_and_b64 s[2:3], s[0:1], vcc
	s_and_saveexec_b64 s[0:1], s[2:3]
	s_cbranch_execz .LBB110_89
; %bb.88:
	v_bcnt_u32_b32 v7, v16, 0
	v_bcnt_u32_b32 v7, v17, v7
	ds_write_b32 v21, v7 offset:64
.LBB110_89:
	s_or_b64 exec, exec, s[0:1]
	s_waitcnt vmcnt(4)
	v_xor_b32_e32 v5, 0x7fffffff, v5
	v_not_b32_e32 v4, v4
	v_lshrrev_b64 v[16:17], s48, v[4:5]
	v_and_b32_e32 v16, s16, v16
	v_lshl_add_u32 v7, v16, 4, v16
	v_add_lshl_u32 v24, v27, v7, 2
	v_and_b32_e32 v7, 1, v16
	v_add_co_u32_e32 v17, vcc, -1, v7
	v_addc_co_u32_e64 v25, s[0:1], 0, -1, vcc
	v_cmp_ne_u32_e32 vcc, 0, v7
	v_xor_b32_e32 v7, vcc_hi, v25
	v_and_b32_e32 v25, exec_hi, v7
	v_lshlrev_b32_e32 v7, 30, v16
	v_xor_b32_e32 v17, vcc_lo, v17
	v_cmp_gt_i64_e32 vcc, 0, v[6:7]
	v_not_b32_e32 v7, v7
	v_ashrrev_i32_e32 v7, 31, v7
	v_and_b32_e32 v17, exec_lo, v17
	v_xor_b32_e32 v26, vcc_hi, v7
	v_xor_b32_e32 v7, vcc_lo, v7
	v_and_b32_e32 v17, v17, v7
	v_lshlrev_b32_e32 v7, 29, v16
	v_cmp_gt_i64_e32 vcc, 0, v[6:7]
	v_not_b32_e32 v7, v7
	v_ashrrev_i32_e32 v7, 31, v7
	v_and_b32_e32 v25, v25, v26
	v_xor_b32_e32 v26, vcc_hi, v7
	v_xor_b32_e32 v7, vcc_lo, v7
	v_and_b32_e32 v17, v17, v7
	v_lshlrev_b32_e32 v7, 28, v16
	v_cmp_gt_i64_e32 vcc, 0, v[6:7]
	v_not_b32_e32 v7, v7
	v_ashrrev_i32_e32 v7, 31, v7
	v_and_b32_e32 v25, v25, v26
	;; [unrolled: 8-line block ×5, first 2 shown]
	v_xor_b32_e32 v26, vcc_hi, v7
	v_xor_b32_e32 v7, vcc_lo, v7
	v_and_b32_e32 v17, v17, v7
	v_lshlrev_b32_e32 v7, 24, v16
	v_cmp_gt_i64_e32 vcc, 0, v[6:7]
	v_not_b32_e32 v6, v7
	v_ashrrev_i32_e32 v6, 31, v6
	v_xor_b32_e32 v7, vcc_hi, v6
	v_xor_b32_e32 v6, vcc_lo, v6
	; wave barrier
	ds_read_b32 v23, v24 offset:64
	v_and_b32_e32 v25, v25, v26
	v_and_b32_e32 v6, v17, v6
	;; [unrolled: 1-line block ×3, first 2 shown]
	v_mbcnt_lo_u32_b32 v16, v6, 0
	v_mbcnt_hi_u32_b32 v25, v7, v16
	v_cmp_eq_u32_e32 vcc, 0, v25
	v_cmp_ne_u64_e64 s[0:1], 0, v[6:7]
	s_and_b64 s[2:3], s[0:1], vcc
	; wave barrier
	s_and_saveexec_b64 s[0:1], s[2:3]
	s_cbranch_execz .LBB110_91
; %bb.90:
	v_bcnt_u32_b32 v6, v6, 0
	v_bcnt_u32_b32 v6, v7, v6
	s_waitcnt lgkmcnt(0)
	v_add_u32_e32 v6, v23, v6
	ds_write_b32 v24, v6 offset:64
.LBB110_91:
	s_or_b64 exec, exec, s[0:1]
	s_waitcnt vmcnt(3)
	v_xor_b32_e32 v7, 0x7fffffff, v15
	v_not_b32_e32 v6, v14
	v_lshrrev_b64 v[14:15], s48, v[6:7]
	v_and_b32_e32 v16, s16, v14
	v_and_b32_e32 v15, 1, v16
	v_add_co_u32_e32 v17, vcc, -1, v15
	v_addc_co_u32_e64 v29, s[0:1], 0, -1, vcc
	v_cmp_ne_u32_e32 vcc, 0, v15
	v_lshl_add_u32 v14, v16, 4, v16
	v_xor_b32_e32 v15, vcc_hi, v29
	v_add_lshl_u32 v28, v27, v14, 2
	v_mov_b32_e32 v14, 0
	v_and_b32_e32 v29, exec_hi, v15
	v_lshlrev_b32_e32 v15, 30, v16
	v_xor_b32_e32 v17, vcc_lo, v17
	v_cmp_gt_i64_e32 vcc, 0, v[14:15]
	v_not_b32_e32 v15, v15
	v_ashrrev_i32_e32 v15, 31, v15
	v_and_b32_e32 v17, exec_lo, v17
	v_xor_b32_e32 v30, vcc_hi, v15
	v_xor_b32_e32 v15, vcc_lo, v15
	v_and_b32_e32 v17, v17, v15
	v_lshlrev_b32_e32 v15, 29, v16
	v_cmp_gt_i64_e32 vcc, 0, v[14:15]
	v_not_b32_e32 v15, v15
	v_ashrrev_i32_e32 v15, 31, v15
	v_and_b32_e32 v29, v29, v30
	v_xor_b32_e32 v30, vcc_hi, v15
	v_xor_b32_e32 v15, vcc_lo, v15
	v_and_b32_e32 v17, v17, v15
	v_lshlrev_b32_e32 v15, 28, v16
	v_cmp_gt_i64_e32 vcc, 0, v[14:15]
	v_not_b32_e32 v15, v15
	v_ashrrev_i32_e32 v15, 31, v15
	v_and_b32_e32 v29, v29, v30
	;; [unrolled: 8-line block ×5, first 2 shown]
	v_xor_b32_e32 v30, vcc_hi, v15
	v_xor_b32_e32 v15, vcc_lo, v15
	v_and_b32_e32 v29, v29, v30
	v_and_b32_e32 v30, v17, v15
	v_lshlrev_b32_e32 v15, 24, v16
	v_cmp_gt_i64_e32 vcc, 0, v[14:15]
	v_not_b32_e32 v15, v15
	v_ashrrev_i32_e32 v15, 31, v15
	v_xor_b32_e32 v16, vcc_hi, v15
	v_xor_b32_e32 v15, vcc_lo, v15
	; wave barrier
	ds_read_b32 v26, v28 offset:64
	v_and_b32_e32 v17, v29, v16
	v_and_b32_e32 v16, v30, v15
	v_mbcnt_lo_u32_b32 v15, v16, 0
	v_mbcnt_hi_u32_b32 v29, v17, v15
	v_cmp_eq_u32_e32 vcc, 0, v29
	v_cmp_ne_u64_e64 s[0:1], 0, v[16:17]
	s_and_b64 s[2:3], s[0:1], vcc
	; wave barrier
	s_and_saveexec_b64 s[0:1], s[2:3]
	s_cbranch_execz .LBB110_93
; %bb.92:
	v_bcnt_u32_b32 v15, v16, 0
	v_bcnt_u32_b32 v15, v17, v15
	s_waitcnt lgkmcnt(0)
	v_add_u32_e32 v15, v26, v15
	ds_write_b32 v28, v15 offset:64
.LBB110_93:
	s_or_b64 exec, exec, s[0:1]
	s_waitcnt vmcnt(2)
	v_xor_b32_e32 v11, 0x7fffffff, v11
	v_not_b32_e32 v10, v10
	v_lshrrev_b64 v[16:17], s48, v[10:11]
	v_and_b32_e32 v16, s16, v16
	v_lshl_add_u32 v15, v16, 4, v16
	v_add_lshl_u32 v31, v27, v15, 2
	v_and_b32_e32 v15, 1, v16
	v_add_co_u32_e32 v17, vcc, -1, v15
	v_addc_co_u32_e64 v32, s[0:1], 0, -1, vcc
	v_cmp_ne_u32_e32 vcc, 0, v15
	v_xor_b32_e32 v15, vcc_hi, v32
	v_and_b32_e32 v32, exec_hi, v15
	v_lshlrev_b32_e32 v15, 30, v16
	v_xor_b32_e32 v17, vcc_lo, v17
	v_cmp_gt_i64_e32 vcc, 0, v[14:15]
	v_not_b32_e32 v15, v15
	v_ashrrev_i32_e32 v15, 31, v15
	v_and_b32_e32 v17, exec_lo, v17
	v_xor_b32_e32 v33, vcc_hi, v15
	v_xor_b32_e32 v15, vcc_lo, v15
	v_and_b32_e32 v17, v17, v15
	v_lshlrev_b32_e32 v15, 29, v16
	v_cmp_gt_i64_e32 vcc, 0, v[14:15]
	v_not_b32_e32 v15, v15
	v_ashrrev_i32_e32 v15, 31, v15
	v_and_b32_e32 v32, v32, v33
	v_xor_b32_e32 v33, vcc_hi, v15
	v_xor_b32_e32 v15, vcc_lo, v15
	v_and_b32_e32 v17, v17, v15
	v_lshlrev_b32_e32 v15, 28, v16
	v_cmp_gt_i64_e32 vcc, 0, v[14:15]
	v_not_b32_e32 v15, v15
	v_ashrrev_i32_e32 v15, 31, v15
	v_and_b32_e32 v32, v32, v33
	;; [unrolled: 8-line block ×5, first 2 shown]
	v_xor_b32_e32 v33, vcc_hi, v15
	v_xor_b32_e32 v15, vcc_lo, v15
	v_and_b32_e32 v17, v17, v15
	v_lshlrev_b32_e32 v15, 24, v16
	v_cmp_gt_i64_e32 vcc, 0, v[14:15]
	v_not_b32_e32 v14, v15
	v_ashrrev_i32_e32 v14, 31, v14
	v_xor_b32_e32 v15, vcc_hi, v14
	v_xor_b32_e32 v14, vcc_lo, v14
	; wave barrier
	ds_read_b32 v30, v31 offset:64
	v_and_b32_e32 v32, v32, v33
	v_and_b32_e32 v14, v17, v14
	;; [unrolled: 1-line block ×3, first 2 shown]
	v_mbcnt_lo_u32_b32 v16, v14, 0
	v_mbcnt_hi_u32_b32 v32, v15, v16
	v_cmp_eq_u32_e32 vcc, 0, v32
	v_cmp_ne_u64_e64 s[0:1], 0, v[14:15]
	s_and_b64 s[2:3], s[0:1], vcc
	; wave barrier
	s_and_saveexec_b64 s[0:1], s[2:3]
	s_cbranch_execz .LBB110_95
; %bb.94:
	v_bcnt_u32_b32 v14, v14, 0
	v_bcnt_u32_b32 v14, v15, v14
	s_waitcnt lgkmcnt(0)
	v_add_u32_e32 v14, v30, v14
	ds_write_b32 v31, v14 offset:64
.LBB110_95:
	s_or_b64 exec, exec, s[0:1]
	s_waitcnt vmcnt(1)
	v_xor_b32_e32 v13, 0x7fffffff, v13
	v_not_b32_e32 v12, v12
	v_lshrrev_b64 v[14:15], s48, v[12:13]
	v_and_b32_e32 v14, s16, v14
	v_lshl_add_u32 v15, v14, 4, v14
	v_add_lshl_u32 v34, v27, v15, 2
	v_and_b32_e32 v15, 1, v14
	v_add_co_u32_e32 v17, vcc, -1, v15
	v_addc_co_u32_e64 v35, s[0:1], 0, -1, vcc
	v_cmp_ne_u32_e32 vcc, 0, v15
	v_xor_b32_e32 v17, vcc_lo, v17
	v_mov_b32_e32 v16, 0
	v_xor_b32_e32 v15, vcc_hi, v35
	v_and_b32_e32 v35, exec_lo, v17
	v_lshlrev_b32_e32 v17, 30, v14
	v_cmp_gt_i64_e32 vcc, 0, v[16:17]
	v_not_b32_e32 v17, v17
	v_ashrrev_i32_e32 v17, 31, v17
	v_xor_b32_e32 v36, vcc_hi, v17
	v_xor_b32_e32 v17, vcc_lo, v17
	v_and_b32_e32 v35, v35, v17
	v_lshlrev_b32_e32 v17, 29, v14
	v_cmp_gt_i64_e32 vcc, 0, v[16:17]
	v_not_b32_e32 v17, v17
	v_and_b32_e32 v15, exec_hi, v15
	v_ashrrev_i32_e32 v17, 31, v17
	v_and_b32_e32 v15, v15, v36
	v_xor_b32_e32 v36, vcc_hi, v17
	v_xor_b32_e32 v17, vcc_lo, v17
	v_and_b32_e32 v35, v35, v17
	v_lshlrev_b32_e32 v17, 28, v14
	v_cmp_gt_i64_e32 vcc, 0, v[16:17]
	v_not_b32_e32 v17, v17
	v_ashrrev_i32_e32 v17, 31, v17
	v_and_b32_e32 v15, v15, v36
	v_xor_b32_e32 v36, vcc_hi, v17
	v_xor_b32_e32 v17, vcc_lo, v17
	v_and_b32_e32 v35, v35, v17
	v_lshlrev_b32_e32 v17, 27, v14
	v_cmp_gt_i64_e32 vcc, 0, v[16:17]
	v_not_b32_e32 v17, v17
	v_ashrrev_i32_e32 v17, 31, v17
	v_and_b32_e32 v15, v15, v36
	v_xor_b32_e32 v36, vcc_hi, v17
	v_xor_b32_e32 v17, vcc_lo, v17
	v_and_b32_e32 v35, v35, v17
	v_lshlrev_b32_e32 v17, 26, v14
	v_cmp_gt_i64_e32 vcc, 0, v[16:17]
	v_not_b32_e32 v17, v17
	v_ashrrev_i32_e32 v17, 31, v17
	v_and_b32_e32 v15, v15, v36
	v_xor_b32_e32 v36, vcc_hi, v17
	v_xor_b32_e32 v17, vcc_lo, v17
	v_and_b32_e32 v35, v35, v17
	v_lshlrev_b32_e32 v17, 25, v14
	v_cmp_gt_i64_e32 vcc, 0, v[16:17]
	v_not_b32_e32 v17, v17
	v_ashrrev_i32_e32 v17, 31, v17
	v_and_b32_e32 v15, v15, v36
	v_xor_b32_e32 v36, vcc_hi, v17
	v_xor_b32_e32 v17, vcc_lo, v17
	v_and_b32_e32 v35, v35, v17
	v_lshlrev_b32_e32 v17, 24, v14
	v_not_b32_e32 v14, v17
	v_cmp_gt_i64_e32 vcc, 0, v[16:17]
	v_ashrrev_i32_e32 v14, 31, v14
	v_xor_b32_e32 v17, vcc_hi, v14
	v_xor_b32_e32 v14, vcc_lo, v14
	; wave barrier
	ds_read_b32 v33, v34 offset:64
	v_and_b32_e32 v15, v15, v36
	v_and_b32_e32 v14, v35, v14
	;; [unrolled: 1-line block ×3, first 2 shown]
	v_mbcnt_lo_u32_b32 v17, v14, 0
	v_mbcnt_hi_u32_b32 v35, v15, v17
	v_cmp_eq_u32_e32 vcc, 0, v35
	v_cmp_ne_u64_e64 s[0:1], 0, v[14:15]
	s_and_b64 s[2:3], s[0:1], vcc
	; wave barrier
	s_and_saveexec_b64 s[0:1], s[2:3]
	s_cbranch_execz .LBB110_97
; %bb.96:
	v_bcnt_u32_b32 v14, v14, 0
	v_bcnt_u32_b32 v14, v15, v14
	s_waitcnt lgkmcnt(0)
	v_add_u32_e32 v14, v33, v14
	ds_write_b32 v34, v14 offset:64
.LBB110_97:
	s_or_b64 exec, exec, s[0:1]
	s_waitcnt vmcnt(0)
	v_xor_b32_e32 v15, 0x7fffffff, v9
	v_not_b32_e32 v14, v8
	v_lshrrev_b64 v[8:9], s48, v[14:15]
	v_and_b32_e32 v8, s16, v8
	v_lshl_add_u32 v9, v8, 4, v8
	v_add_lshl_u32 v37, v27, v9, 2
	v_and_b32_e32 v9, 1, v8
	v_add_co_u32_e32 v17, vcc, -1, v9
	v_addc_co_u32_e64 v38, s[0:1], 0, -1, vcc
	v_cmp_ne_u32_e32 vcc, 0, v9
	v_xor_b32_e32 v17, vcc_lo, v17
	v_xor_b32_e32 v9, vcc_hi, v38
	v_and_b32_e32 v38, exec_lo, v17
	v_lshlrev_b32_e32 v17, 30, v8
	v_cmp_gt_i64_e32 vcc, 0, v[16:17]
	v_not_b32_e32 v17, v17
	v_ashrrev_i32_e32 v17, 31, v17
	v_xor_b32_e32 v39, vcc_hi, v17
	v_xor_b32_e32 v17, vcc_lo, v17
	v_and_b32_e32 v38, v38, v17
	v_lshlrev_b32_e32 v17, 29, v8
	v_cmp_gt_i64_e32 vcc, 0, v[16:17]
	v_not_b32_e32 v17, v17
	v_and_b32_e32 v9, exec_hi, v9
	v_ashrrev_i32_e32 v17, 31, v17
	v_and_b32_e32 v9, v9, v39
	v_xor_b32_e32 v39, vcc_hi, v17
	v_xor_b32_e32 v17, vcc_lo, v17
	v_and_b32_e32 v38, v38, v17
	v_lshlrev_b32_e32 v17, 28, v8
	v_cmp_gt_i64_e32 vcc, 0, v[16:17]
	v_not_b32_e32 v17, v17
	v_ashrrev_i32_e32 v17, 31, v17
	v_and_b32_e32 v9, v9, v39
	v_xor_b32_e32 v39, vcc_hi, v17
	v_xor_b32_e32 v17, vcc_lo, v17
	v_and_b32_e32 v38, v38, v17
	v_lshlrev_b32_e32 v17, 27, v8
	v_cmp_gt_i64_e32 vcc, 0, v[16:17]
	v_not_b32_e32 v17, v17
	;; [unrolled: 8-line block ×4, first 2 shown]
	v_ashrrev_i32_e32 v17, 31, v17
	v_and_b32_e32 v9, v9, v39
	v_xor_b32_e32 v39, vcc_hi, v17
	v_xor_b32_e32 v17, vcc_lo, v17
	v_and_b32_e32 v38, v38, v17
	v_lshlrev_b32_e32 v17, 24, v8
	v_not_b32_e32 v8, v17
	v_cmp_gt_i64_e32 vcc, 0, v[16:17]
	v_ashrrev_i32_e32 v8, 31, v8
	v_xor_b32_e32 v16, vcc_hi, v8
	v_xor_b32_e32 v8, vcc_lo, v8
	; wave barrier
	ds_read_b32 v27, v37 offset:64
	v_and_b32_e32 v9, v9, v39
	v_and_b32_e32 v8, v38, v8
	;; [unrolled: 1-line block ×3, first 2 shown]
	v_mbcnt_lo_u32_b32 v16, v8, 0
	v_mbcnt_hi_u32_b32 v38, v9, v16
	v_cmp_eq_u32_e32 vcc, 0, v38
	v_cmp_ne_u64_e64 s[0:1], 0, v[8:9]
	v_add_u32_e32 v36, 64, v20
	s_and_b64 s[2:3], s[0:1], vcc
	; wave barrier
	s_and_saveexec_b64 s[0:1], s[2:3]
	s_cbranch_execz .LBB110_99
; %bb.98:
	v_bcnt_u32_b32 v8, v8, 0
	v_bcnt_u32_b32 v8, v9, v8
	s_waitcnt lgkmcnt(0)
	v_add_u32_e32 v8, v27, v8
	ds_write_b32 v37, v8 offset:64
.LBB110_99:
	s_or_b64 exec, exec, s[0:1]
	; wave barrier
	s_waitcnt lgkmcnt(0)
	s_barrier
	ds_read2_b32 v[16:17], v20 offset0:16 offset1:17
	ds_read2_b32 v[8:9], v36 offset0:2 offset1:3
	ds_read_b32 v39, v36 offset:16
	v_cmp_lt_u32_e64 s[8:9], 31, v3
	s_waitcnt lgkmcnt(1)
	v_add3_u32 v40, v17, v16, v8
	s_waitcnt lgkmcnt(0)
	v_add3_u32 v39, v40, v9, v39
	v_and_b32_e32 v40, 15, v3
	v_cmp_eq_u32_e32 vcc, 0, v40
	v_mov_b32_dpp v41, v39 row_shr:1 row_mask:0xf bank_mask:0xf
	v_cndmask_b32_e64 v41, v41, 0, vcc
	v_add_u32_e32 v39, v41, v39
	v_cmp_lt_u32_e64 s[0:1], 1, v40
	v_cmp_lt_u32_e64 s[2:3], 3, v40
	v_mov_b32_dpp v41, v39 row_shr:2 row_mask:0xf bank_mask:0xf
	v_cndmask_b32_e64 v41, 0, v41, s[0:1]
	v_add_u32_e32 v39, v39, v41
	v_cmp_lt_u32_e64 s[4:5], 7, v40
	s_nop 0
	v_mov_b32_dpp v41, v39 row_shr:4 row_mask:0xf bank_mask:0xf
	v_cndmask_b32_e64 v41, 0, v41, s[2:3]
	v_add_u32_e32 v39, v39, v41
	s_nop 1
	v_mov_b32_dpp v41, v39 row_shr:8 row_mask:0xf bank_mask:0xf
	v_cndmask_b32_e64 v40, 0, v41, s[4:5]
	v_add_u32_e32 v39, v39, v40
	v_bfe_i32 v41, v3, 4, 1
	s_nop 0
	v_mov_b32_dpp v40, v39 row_bcast:15 row_mask:0xf bank_mask:0xf
	v_and_b32_e32 v40, v41, v40
	v_add_u32_e32 v39, v39, v40
	v_and_b32_e32 v41, 63, v2
	s_nop 0
	v_mov_b32_dpp v40, v39 row_bcast:31 row_mask:0xf bank_mask:0xf
	v_cndmask_b32_e64 v40, 0, v40, s[8:9]
	v_add_u32_e32 v39, v39, v40
	v_lshrrev_b32_e32 v40, 6, v2
	v_cmp_eq_u32_e64 s[8:9], 63, v41
	s_and_saveexec_b64 s[14:15], s[8:9]
	s_cbranch_execz .LBB110_101
; %bb.100:
	v_lshlrev_b32_e32 v41, 2, v40
	ds_write_b32 v41, v39
.LBB110_101:
	s_or_b64 exec, exec, s[14:15]
	v_cmp_gt_u32_e64 s[8:9], 16, v2
	s_waitcnt lgkmcnt(0)
	s_barrier
	s_and_saveexec_b64 s[14:15], s[8:9]
	s_cbranch_execz .LBB110_103
; %bb.102:
	v_lshlrev_b32_e32 v41, 2, v2
	ds_read_b32 v42, v41
	s_waitcnt lgkmcnt(0)
	s_nop 0
	v_mov_b32_dpp v43, v42 row_shr:1 row_mask:0xf bank_mask:0xf
	v_cndmask_b32_e64 v43, v43, 0, vcc
	v_add_u32_e32 v42, v43, v42
	s_nop 1
	v_mov_b32_dpp v43, v42 row_shr:2 row_mask:0xf bank_mask:0xf
	v_cndmask_b32_e64 v43, 0, v43, s[0:1]
	v_add_u32_e32 v42, v42, v43
	s_nop 1
	v_mov_b32_dpp v43, v42 row_shr:4 row_mask:0xf bank_mask:0xf
	v_cndmask_b32_e64 v43, 0, v43, s[2:3]
	;; [unrolled: 4-line block ×3, first 2 shown]
	v_add_u32_e32 v42, v42, v43
	ds_write_b32 v41, v42
.LBB110_103:
	s_or_b64 exec, exec, s[14:15]
	v_cmp_lt_u32_e32 vcc, 63, v2
	v_mov_b32_e32 v41, 0
	s_waitcnt lgkmcnt(0)
	s_barrier
	s_and_saveexec_b64 s[0:1], vcc
	s_cbranch_execz .LBB110_105
; %bb.104:
	v_lshl_add_u32 v40, v40, 2, -4
	ds_read_b32 v41, v40
.LBB110_105:
	s_or_b64 exec, exec, s[0:1]
	v_add_u32_e32 v40, -1, v3
	v_and_b32_e32 v42, 64, v3
	v_cmp_lt_i32_e32 vcc, v40, v42
	v_cndmask_b32_e32 v40, v40, v3, vcc
	s_waitcnt lgkmcnt(0)
	v_add_u32_e32 v39, v41, v39
	v_lshlrev_b32_e32 v40, 2, v40
	ds_bpermute_b32 v39, v40, v39
	v_cmp_eq_u32_e32 vcc, 0, v3
	s_movk_i32 s2, 0xff
	s_movk_i32 s3, 0x100
	v_cmp_lt_u32_e64 s[0:1], s2, v2
	s_waitcnt lgkmcnt(0)
	v_cndmask_b32_e32 v3, v39, v41, vcc
	v_cmp_ne_u32_e32 vcc, 0, v2
	v_cndmask_b32_e32 v3, 0, v3, vcc
	v_add_u32_e32 v16, v3, v16
	v_add_u32_e32 v17, v16, v17
	;; [unrolled: 1-line block ×4, first 2 shown]
	ds_write2_b32 v20, v3, v16 offset0:16 offset1:17
	ds_write2_b32 v36, v17, v8 offset0:2 offset1:3
	ds_write_b32 v36, v9 offset:16
	s_waitcnt lgkmcnt(0)
	s_barrier
	ds_read_b32 v17, v21 offset:64
	ds_read_b32 v20, v24 offset:64
	;; [unrolled: 1-line block ×6, first 2 shown]
	v_cmp_gt_u32_e32 vcc, s3, v2
	v_pk_mov_b32 v[8:9], 0, 0
                                        ; implicit-def: $vgpr16
	s_and_saveexec_b64 s[4:5], vcc
	s_cbranch_execz .LBB110_109
; %bb.106:
	v_mul_u32_u24_e32 v8, 17, v2
	v_lshlrev_b32_e32 v16, 2, v8
	ds_read_b32 v8, v16 offset:64
	v_cmp_ne_u32_e64 s[2:3], s2, v2
	v_mov_b32_e32 v9, 0x1800
	s_and_saveexec_b64 s[8:9], s[2:3]
	s_cbranch_execz .LBB110_108
; %bb.107:
	ds_read_b32 v9, v16 offset:132
.LBB110_108:
	s_or_b64 exec, exec, s[8:9]
	s_waitcnt lgkmcnt(0)
	v_sub_u32_e32 v16, v9, v8
	v_mov_b32_e32 v9, 0
.LBB110_109:
	s_or_b64 exec, exec, s[4:5]
	v_add_u32_e32 v30, v32, v30
	v_add_u32_e32 v26, v29, v26
	;; [unrolled: 1-line block ×5, first 2 shown]
	s_waitcnt lgkmcnt(5)
	v_add_lshl_u32 v17, v17, v22, 3
	s_waitcnt lgkmcnt(4)
	v_add_lshl_u32 v20, v23, v20, 3
	;; [unrolled: 2-line block ×4, first 2 shown]
	s_waitcnt lgkmcnt(0)
	s_barrier
	ds_write_b64 v17, v[0:1] offset:2048
	ds_write_b64 v20, v[4:5] offset:2048
	;; [unrolled: 1-line block ×4, first 2 shown]
	v_add_lshl_u32 v10, v31, v24, 3
	v_add_lshl_u32 v11, v27, v3, 3
	ds_write_b64 v10, v[12:13] offset:2048
	ds_write_b64 v11, v[14:15] offset:2048
	s_waitcnt lgkmcnt(0)
	s_barrier
	s_and_saveexec_b64 s[2:3], s[0:1]
	s_xor_b64 s[0:1], exec, s[2:3]
; %bb.110:
	v_mov_b32_e32 v3, 0
; %bb.111:
	s_andn2_saveexec_b64 s[2:3], s[0:1]
	s_cbranch_execz .LBB110_121
; %bb.112:
	v_lshl_or_b32 v0, s6, 8, v2
	v_mov_b32_e32 v1, 0
	v_lshlrev_b64 v[4:5], 2, v[0:1]
	v_mov_b32_e32 v3, s31
	v_add_co_u32_e64 v4, s[0:1], s30, v4
	v_addc_co_u32_e64 v5, s[0:1], v3, v5, s[0:1]
	v_or_b32_e32 v0, 2.0, v16
	s_mov_b64 s[4:5], 0
	s_brev_b32 s17, 1
	s_mov_b32 s18, s6
	v_mov_b32_e32 v12, 0
	global_store_dword v[4:5], v0, off
                                        ; implicit-def: $sgpr0_sgpr1
	s_branch .LBB110_115
.LBB110_113:                            ;   in Loop: Header=BB110_115 Depth=1
	s_or_b64 exec, exec, s[14:15]
.LBB110_114:                            ;   in Loop: Header=BB110_115 Depth=1
	s_or_b64 exec, exec, s[8:9]
	v_and_b32_e32 v6, 0x3fffffff, v13
	v_add_u32_e32 v12, v6, v12
	v_cmp_eq_u32_e64 s[0:1], s17, v0
	s_and_b64 s[8:9], exec, s[0:1]
	s_or_b64 s[4:5], s[8:9], s[4:5]
	s_andn2_b64 exec, exec, s[4:5]
	s_cbranch_execz .LBB110_120
.LBB110_115:                            ; =>This Loop Header: Depth=1
                                        ;     Child Loop BB110_118 Depth 2
	s_or_b64 s[0:1], s[0:1], exec
	s_cmp_eq_u32 s18, 0
	s_cbranch_scc1 .LBB110_119
; %bb.116:                              ;   in Loop: Header=BB110_115 Depth=1
	s_add_i32 s18, s18, -1
	v_lshl_or_b32 v0, s18, 8, v2
	v_lshlrev_b64 v[6:7], 2, v[0:1]
	v_add_co_u32_e64 v6, s[0:1], s30, v6
	v_addc_co_u32_e64 v7, s[0:1], v3, v7, s[0:1]
	global_load_dword v13, v[6:7], off glc
	s_waitcnt vmcnt(0)
	v_and_b32_e32 v0, -2.0, v13
	v_cmp_eq_u32_e64 s[0:1], 0, v0
	s_and_saveexec_b64 s[8:9], s[0:1]
	s_cbranch_execz .LBB110_114
; %bb.117:                              ;   in Loop: Header=BB110_115 Depth=1
	s_mov_b64 s[14:15], 0
.LBB110_118:                            ;   Parent Loop BB110_115 Depth=1
                                        ; =>  This Inner Loop Header: Depth=2
	global_load_dword v13, v[6:7], off glc
	s_waitcnt vmcnt(0)
	v_and_b32_e32 v0, -2.0, v13
	v_cmp_ne_u32_e64 s[0:1], 0, v0
	s_or_b64 s[14:15], s[0:1], s[14:15]
	s_andn2_b64 exec, exec, s[14:15]
	s_cbranch_execnz .LBB110_118
	s_branch .LBB110_113
.LBB110_119:                            ;   in Loop: Header=BB110_115 Depth=1
                                        ; implicit-def: $sgpr18
	s_and_b64 s[8:9], exec, s[0:1]
	s_or_b64 s[4:5], s[8:9], s[4:5]
	s_andn2_b64 exec, exec, s[4:5]
	s_cbranch_execnz .LBB110_115
.LBB110_120:
	s_or_b64 exec, exec, s[4:5]
	v_add_u32_e32 v0, v12, v16
	v_or_b32_e32 v0, 0x80000000, v0
	global_store_dword v[4:5], v0, off
	v_lshlrev_b32_e32 v4, 3, v2
	global_load_dwordx2 v[0:1], v4, s[44:45]
	v_sub_co_u32_e64 v5, s[0:1], v12, v8
	v_subb_co_u32_e64 v6, s[0:1], 0, v9, s[0:1]
	v_mov_b32_e32 v3, 0
	s_waitcnt vmcnt(0)
	v_add_co_u32_e64 v0, s[0:1], v5, v0
	v_addc_co_u32_e64 v1, s[0:1], v6, v1, s[0:1]
	ds_write_b64 v4, v[0:1]
.LBB110_121:
	s_or_b64 exec, exec, s[2:3]
	v_lshlrev_b32_e32 v4, 3, v2
	s_waitcnt lgkmcnt(0)
	s_barrier
	ds_read2st64_b64 v[12:15], v4 offset0:20 offset1:36
	v_lshlrev_b32_e32 v5, 3, v2
	ds_read2st64_b64 v[24:27], v4 offset0:52 offset1:68
	ds_read_b64 v[0:1], v5 offset:2048
	v_mov_b32_e32 v40, s39
	s_waitcnt lgkmcnt(2)
	v_lshrrev_b64 v[6:7], s48, v[14:15]
	v_and_b32_e32 v6, s16, v6
	v_lshlrev_b32_e32 v23, 3, v6
	s_waitcnt lgkmcnt(1)
	v_lshrrev_b64 v[6:7], s48, v[26:27]
	v_and_b32_e32 v6, s16, v6
	v_lshlrev_b32_e32 v42, 3, v6
	ds_read_b64 v[6:7], v42
	ds_read_b64 v[28:29], v23
	ds_read_b64 v[30:31], v4 offset:43008
	s_waitcnt lgkmcnt(3)
	v_lshrrev_b64 v[32:33], s48, v[0:1]
	v_and_b32_e32 v34, s16, v32
	v_xor_b32_e32 v33, 0x7fffffff, v1
	v_xor_b32_e32 v32, -1, v0
	v_lshrrev_b64 v[0:1], s48, v[12:13]
	v_and_b32_e32 v0, s16, v0
	v_lshlrev_b32_e32 v44, 3, v0
	v_lshrrev_b64 v[0:1], s48, v[24:25]
	v_and_b32_e32 v0, s16, v0
	v_lshlrev_b32_e32 v43, 3, v34
	v_lshlrev_b32_e32 v45, 3, v0
	s_waitcnt lgkmcnt(0)
	v_lshrrev_b64 v[0:1], s48, v[30:31]
	v_and_b32_e32 v34, s16, v0
	ds_read_b64 v[0:1], v43
	v_lshlrev_b32_e32 v46, 3, v34
	ds_read_b64 v[34:35], v44
	ds_read_b64 v[36:37], v45
	;; [unrolled: 1-line block ×3, first 2 shown]
	v_xor_b32_e32 v13, 0x7fffffff, v13
	v_xor_b32_e32 v12, -1, v12
	s_waitcnt lgkmcnt(3)
	v_lshlrev_b64 v[0:1], 3, v[0:1]
	v_add_co_u32_e64 v41, s[0:1], s38, v0
	v_addc_co_u32_e64 v47, s[0:1], v40, v1, s[0:1]
	v_lshlrev_b64 v[0:1], 3, v[2:3]
	v_add_co_u32_e64 v40, s[0:1], v41, v0
	v_addc_co_u32_e64 v41, s[0:1], v47, v1, s[0:1]
	global_store_dwordx2 v[40:41], v[32:33], off
	s_waitcnt lgkmcnt(2)
	v_lshlrev_b64 v[32:33], 3, v[34:35]
	v_mov_b32_e32 v34, s39
	v_add_co_u32_e64 v32, s[0:1], s38, v32
	v_addc_co_u32_e64 v33, s[0:1], v34, v33, s[0:1]
	v_or_b32_e32 v34, 0x2000, v4
	v_add_co_u32_e64 v32, s[0:1], v32, v34
	v_addc_co_u32_e64 v33, s[0:1], 0, v33, s[0:1]
	global_store_dwordx2 v[32:33], v[12:13], off
	v_xor_b32_e32 v13, 0x7fffffff, v15
	v_xor_b32_e32 v12, -1, v14
	v_lshlrev_b64 v[14:15], 3, v[28:29]
	v_mov_b32_e32 v28, s39
	v_add_co_u32_e64 v14, s[0:1], s38, v14
	v_addc_co_u32_e64 v15, s[0:1], v28, v15, s[0:1]
	v_or_b32_e32 v32, 0x4000, v4
	v_add_co_u32_e64 v14, s[0:1], v14, v32
	v_addc_co_u32_e64 v15, s[0:1], 0, v15, s[0:1]
	global_store_dwordx2 v[14:15], v[12:13], off
	s_waitcnt lgkmcnt(1)
	v_lshlrev_b64 v[14:15], 3, v[36:37]
	v_xor_b32_e32 v12, -1, v24
	v_mov_b32_e32 v24, s39
	v_add_co_u32_e64 v14, s[0:1], s38, v14
	v_addc_co_u32_e64 v15, s[0:1], v24, v15, s[0:1]
	v_or_b32_e32 v33, 0x6000, v4
	v_add_co_u32_e64 v14, s[0:1], v14, v33
	v_xor_b32_e32 v13, 0x7fffffff, v25
	v_addc_co_u32_e64 v15, s[0:1], 0, v15, s[0:1]
	v_lshlrev_b64 v[6:7], 3, v[6:7]
	global_store_dwordx2 v[14:15], v[12:13], off
	v_mov_b32_e32 v14, s39
	v_add_co_u32_e64 v6, s[0:1], s38, v6
	v_addc_co_u32_e64 v7, s[0:1], v14, v7, s[0:1]
	v_or_b32_e32 v35, 0x8000, v4
	v_add_co_u32_e64 v6, s[0:1], v6, v35
	v_xor_b32_e32 v13, 0x7fffffff, v27
	v_xor_b32_e32 v12, -1, v26
	v_addc_co_u32_e64 v7, s[0:1], 0, v7, s[0:1]
	global_store_dwordx2 v[6:7], v[12:13], off
	s_waitcnt lgkmcnt(0)
	v_lshlrev_b64 v[12:13], 3, v[38:39]
	v_add_co_u32_e64 v12, s[0:1], s38, v12
	v_xor_b32_e32 v6, -1, v30
	v_addc_co_u32_e64 v13, s[0:1], v14, v13, s[0:1]
	v_or_b32_e32 v30, 0xa000, v4
	v_add_co_u32_e64 v12, s[0:1], v12, v30
	v_addc_co_u32_e64 v13, s[0:1], 0, v13, s[0:1]
	s_add_u32 s0, s40, s12
	v_xor_b32_e32 v7, 0x7fffffff, v31
	s_addc_u32 s1, s41, s13
	global_store_dwordx2 v[12:13], v[6:7], off
	v_mov_b32_e32 v6, s1
	v_add_co_u32_e64 v7, s[0:1], s0, v18
	v_addc_co_u32_e64 v12, s[0:1], 0, v6, s[0:1]
	v_add_co_u32_e64 v6, s[0:1], v7, v19
	v_addc_co_u32_e64 v7, s[0:1], 0, v12, s[0:1]
	global_load_dwordx2 v[12:13], v[6:7], off
	global_load_dwordx2 v[14:15], v[6:7], off offset:512
	global_load_dwordx2 v[18:19], v[6:7], off offset:1024
	;; [unrolled: 1-line block ×5, first 2 shown]
	s_barrier
	s_add_i32 s7, s7, -1
	s_cmp_eq_u32 s6, s7
	s_waitcnt vmcnt(5)
	ds_write_b64 v17, v[12:13] offset:2048
	s_waitcnt vmcnt(4)
	ds_write_b64 v20, v[14:15] offset:2048
	;; [unrolled: 2-line block ×6, first 2 shown]
	s_waitcnt lgkmcnt(0)
	s_barrier
	ds_read_b64 v[6:7], v43
	ds_read_b64 v[10:11], v5 offset:2048
	ds_read_b64 v[14:15], v44
	ds_read_b64 v[18:19], v4 offset:43008
	v_mov_b32_e32 v5, s43
	s_waitcnt lgkmcnt(3)
	v_lshlrev_b64 v[6:7], 3, v[6:7]
	v_add_co_u32_e64 v6, s[0:1], s42, v6
	v_addc_co_u32_e64 v5, s[0:1], v5, v7, s[0:1]
	v_add_co_u32_e64 v0, s[0:1], v6, v0
	v_addc_co_u32_e64 v1, s[0:1], v5, v1, s[0:1]
	ds_read_b64 v[6:7], v23
	s_waitcnt lgkmcnt(3)
	global_store_dwordx2 v[0:1], v[10:11], off
	ds_read2st64_b64 v[10:13], v4 offset0:20 offset1:36
	s_waitcnt lgkmcnt(3)
	v_lshlrev_b64 v[0:1], 3, v[14:15]
	v_mov_b32_e32 v5, s43
	v_add_co_u32_e64 v0, s[0:1], s42, v0
	v_addc_co_u32_e64 v1, s[0:1], v5, v1, s[0:1]
	v_add_co_u32_e64 v0, s[0:1], v0, v34
	v_addc_co_u32_e64 v1, s[0:1], 0, v1, s[0:1]
	s_waitcnt lgkmcnt(1)
	v_lshlrev_b64 v[6:7], 3, v[6:7]
	s_waitcnt lgkmcnt(0)
	global_store_dwordx2 v[0:1], v[10:11], off
	v_add_co_u32_e64 v6, s[0:1], s42, v6
	ds_read_b64 v[0:1], v45
	ds_read_b64 v[10:11], v42
	;; [unrolled: 1-line block ×3, first 2 shown]
	v_addc_co_u32_e64 v5, s[0:1], v5, v7, s[0:1]
	v_add_co_u32_e64 v6, s[0:1], v6, v32
	v_addc_co_u32_e64 v7, s[0:1], 0, v5, s[0:1]
	global_store_dwordx2 v[6:7], v[12:13], off
	ds_read2st64_b64 v[4:7], v4 offset0:52 offset1:68
	s_waitcnt lgkmcnt(3)
	v_lshlrev_b64 v[0:1], 3, v[0:1]
	v_mov_b32_e32 v12, s43
	v_add_co_u32_e64 v0, s[0:1], s42, v0
	v_addc_co_u32_e64 v1, s[0:1], v12, v1, s[0:1]
	v_add_co_u32_e64 v0, s[0:1], v0, v33
	v_addc_co_u32_e64 v1, s[0:1], 0, v1, s[0:1]
	s_waitcnt lgkmcnt(0)
	global_store_dwordx2 v[0:1], v[4:5], off
	v_lshlrev_b64 v[0:1], 3, v[10:11]
	v_mov_b32_e32 v4, s43
	v_add_co_u32_e64 v0, s[0:1], s42, v0
	v_addc_co_u32_e64 v1, s[0:1], v4, v1, s[0:1]
	v_add_co_u32_e64 v0, s[0:1], v0, v35
	v_addc_co_u32_e64 v1, s[0:1], 0, v1, s[0:1]
	global_store_dwordx2 v[0:1], v[6:7], off
	v_lshlrev_b64 v[0:1], 3, v[14:15]
	v_add_co_u32_e64 v0, s[0:1], s42, v0
	v_addc_co_u32_e64 v1, s[0:1], v4, v1, s[0:1]
	v_add_co_u32_e64 v0, s[0:1], v0, v30
	v_addc_co_u32_e64 v1, s[0:1], 0, v1, s[0:1]
	s_cselect_b64 s[0:1], -1, 0
	s_and_b64 s[2:3], vcc, s[0:1]
	global_store_dwordx2 v[0:1], v[18:19], off
                                        ; implicit-def: $vgpr4_vgpr5
	s_and_saveexec_b64 s[0:1], s[2:3]
; %bb.122:
	v_add_co_u32_e32 v4, vcc, v8, v16
	v_addc_co_u32_e32 v5, vcc, 0, v9, vcc
	s_or_b64 s[10:11], s[10:11], exec
; %bb.123:
	s_or_b64 exec, exec, s[0:1]
.LBB110_124:
	s_and_saveexec_b64 s[0:1], s[10:11]
	s_cbranch_execnz .LBB110_126
; %bb.125:
	s_endpgm
.LBB110_126:
	v_lshlrev_b32_e32 v6, 3, v2
	v_lshlrev_b64 v[0:1], 3, v[2:3]
	ds_read_b64 v[2:3], v6
	v_mov_b32_e32 v7, s47
	v_add_co_u32_e32 v0, vcc, s46, v0
	v_addc_co_u32_e32 v1, vcc, v7, v1, vcc
	s_waitcnt lgkmcnt(0)
	v_add_co_u32_e32 v2, vcc, v2, v4
	v_addc_co_u32_e32 v3, vcc, v3, v5, vcc
	global_store_dwordx2 v[0:1], v[2:3], off
	s_endpgm
.LBB110_127:
	global_load_dwordx2 v[4:5], v[18:19], off
	s_or_b64 exec, exec, s[28:29]
                                        ; implicit-def: $vgpr6_vgpr7
	s_and_saveexec_b64 s[28:29], s[0:1]
	s_cbranch_execz .LBB110_59
.LBB110_128:
	global_load_dwordx2 v[6:7], v[18:19], off offset:512
	s_or_b64 exec, exec, s[28:29]
                                        ; implicit-def: $vgpr10_vgpr11
	s_and_saveexec_b64 s[0:1], s[2:3]
	s_cbranch_execz .LBB110_60
.LBB110_129:
	global_load_dwordx2 v[10:11], v[18:19], off offset:1024
	s_or_b64 exec, exec, s[0:1]
                                        ; implicit-def: $vgpr12_vgpr13
	s_and_saveexec_b64 s[0:1], s[26:27]
	s_cbranch_execz .LBB110_61
.LBB110_130:
	global_load_dwordx2 v[12:13], v[18:19], off offset:1536
	s_or_b64 exec, exec, s[0:1]
                                        ; implicit-def: $vgpr14_vgpr15
	s_and_saveexec_b64 s[0:1], s[8:9]
	s_cbranch_execz .LBB110_62
.LBB110_131:
	global_load_dwordx2 v[14:15], v[18:19], off offset:2048
	s_or_b64 exec, exec, s[0:1]
                                        ; implicit-def: $vgpr16_vgpr17
	s_and_saveexec_b64 s[0:1], s[10:11]
	s_cbranch_execnz .LBB110_63
	s_branch .LBB110_64
.LBB110_132:
	v_lshlrev_b32_e32 v4, 3, v35
	ds_read_b64 v[4:5], v4
	ds_read_b64 v[6:7], v28 offset:2048
	v_mov_b32_e32 v10, s43
	s_waitcnt lgkmcnt(1)
	v_lshlrev_b64 v[4:5], 3, v[4:5]
	v_add_co_u32_e32 v4, vcc, s42, v4
	v_addc_co_u32_e32 v5, vcc, v10, v5, vcc
	v_add_co_u32_e32 v4, vcc, v4, v28
	v_addc_co_u32_e32 v5, vcc, 0, v5, vcc
	s_waitcnt lgkmcnt(0)
	global_store_dwordx2 v[4:5], v[6:7], off
	s_or_b64 exec, exec, s[0:1]
	s_and_saveexec_b64 s[0:1], s[16:17]
	s_cbranch_execz .LBB110_78
.LBB110_133:
	v_lshlrev_b32_e32 v4, 3, v20
	ds_read_b64 v[4:5], v4
	ds_read_b64 v[6:7], v28 offset:10240
	v_mov_b32_e32 v10, s43
	s_waitcnt lgkmcnt(1)
	v_lshlrev_b64 v[4:5], 3, v[4:5]
	v_add_co_u32_e32 v4, vcc, s42, v4
	v_addc_co_u32_e32 v5, vcc, v10, v5, vcc
	v_add_co_u32_e32 v4, vcc, v4, v29
	v_addc_co_u32_e32 v5, vcc, 0, v5, vcc
	s_waitcnt lgkmcnt(0)
	global_store_dwordx2 v[4:5], v[6:7], off
	s_or_b64 exec, exec, s[0:1]
	s_and_saveexec_b64 s[0:1], s[18:19]
	s_cbranch_execz .LBB110_79
.LBB110_134:
	v_lshlrev_b32_e32 v4, 3, v34
	ds_read_b64 v[4:5], v4
	ds_read_b64 v[6:7], v28 offset:18432
	v_mov_b32_e32 v10, s43
	s_waitcnt lgkmcnt(1)
	v_lshlrev_b64 v[4:5], 3, v[4:5]
	v_add_co_u32_e32 v4, vcc, s42, v4
	v_addc_co_u32_e32 v5, vcc, v10, v5, vcc
	v_add_co_u32_e32 v4, vcc, v4, v30
	v_addc_co_u32_e32 v5, vcc, 0, v5, vcc
	s_waitcnt lgkmcnt(0)
	global_store_dwordx2 v[4:5], v[6:7], off
	s_or_b64 exec, exec, s[0:1]
	s_and_saveexec_b64 s[0:1], s[20:21]
	s_cbranch_execz .LBB110_80
.LBB110_135:
	v_lshlrev_b32_e32 v4, 3, v18
	ds_read_b64 v[4:5], v4
	ds_read_b64 v[6:7], v28 offset:26624
	v_mov_b32_e32 v10, s43
	s_waitcnt lgkmcnt(1)
	v_lshlrev_b64 v[4:5], 3, v[4:5]
	v_add_co_u32_e32 v4, vcc, s42, v4
	v_addc_co_u32_e32 v5, vcc, v10, v5, vcc
	v_add_co_u32_e32 v4, vcc, v4, v31
	v_addc_co_u32_e32 v5, vcc, 0, v5, vcc
	s_waitcnt lgkmcnt(0)
	global_store_dwordx2 v[4:5], v[6:7], off
	s_or_b64 exec, exec, s[0:1]
	s_and_saveexec_b64 s[0:1], s[22:23]
	s_cbranch_execz .LBB110_81
.LBB110_136:
	v_lshlrev_b32_e32 v4, 3, v19
	ds_read_b64 v[4:5], v4
	ds_read_b64 v[6:7], v28 offset:34816
	v_mov_b32_e32 v10, s43
	s_waitcnt lgkmcnt(1)
	v_lshlrev_b64 v[4:5], 3, v[4:5]
	v_add_co_u32_e32 v4, vcc, s42, v4
	v_addc_co_u32_e32 v5, vcc, v10, v5, vcc
	v_add_co_u32_e32 v4, vcc, v4, v32
	v_addc_co_u32_e32 v5, vcc, 0, v5, vcc
	s_waitcnt lgkmcnt(0)
	global_store_dwordx2 v[4:5], v[6:7], off
	s_or_b64 exec, exec, s[0:1]
	s_and_saveexec_b64 s[0:1], s[24:25]
	s_cbranch_execnz .LBB110_82
	s_branch .LBB110_83
	.section	.rodata,"a",@progbits
	.p2align	6, 0x0
	.amdhsa_kernel _ZN7rocprim17ROCPRIM_304000_NS6detail25onesweep_iteration_kernelINS1_34wrapped_radix_sort_onesweep_configINS0_14default_configElN2at4cuda3cub6detail10OpaqueTypeILi8EEEEELb1EPKlPlPKSA_PSA_mNS0_19identity_decomposerEEEvT1_T2_T3_T4_jPT5_SO_PNS1_23onesweep_lookback_stateET6_jjj
		.amdhsa_group_segment_fixed_size 51200
		.amdhsa_private_segment_fixed_size 0
		.amdhsa_kernarg_size 336
		.amdhsa_user_sgpr_count 6
		.amdhsa_user_sgpr_private_segment_buffer 1
		.amdhsa_user_sgpr_dispatch_ptr 0
		.amdhsa_user_sgpr_queue_ptr 0
		.amdhsa_user_sgpr_kernarg_segment_ptr 1
		.amdhsa_user_sgpr_dispatch_id 0
		.amdhsa_user_sgpr_flat_scratch_init 0
		.amdhsa_user_sgpr_kernarg_preload_length 0
		.amdhsa_user_sgpr_kernarg_preload_offset 0
		.amdhsa_user_sgpr_private_segment_size 0
		.amdhsa_uses_dynamic_stack 0
		.amdhsa_system_sgpr_private_segment_wavefront_offset 0
		.amdhsa_system_sgpr_workgroup_id_x 1
		.amdhsa_system_sgpr_workgroup_id_y 0
		.amdhsa_system_sgpr_workgroup_id_z 0
		.amdhsa_system_sgpr_workgroup_info 0
		.amdhsa_system_vgpr_workitem_id 2
		.amdhsa_next_free_vgpr 48
		.amdhsa_next_free_sgpr 54
		.amdhsa_accum_offset 48
		.amdhsa_reserve_vcc 1
		.amdhsa_reserve_flat_scratch 0
		.amdhsa_float_round_mode_32 0
		.amdhsa_float_round_mode_16_64 0
		.amdhsa_float_denorm_mode_32 3
		.amdhsa_float_denorm_mode_16_64 3
		.amdhsa_dx10_clamp 1
		.amdhsa_ieee_mode 1
		.amdhsa_fp16_overflow 0
		.amdhsa_tg_split 0
		.amdhsa_exception_fp_ieee_invalid_op 0
		.amdhsa_exception_fp_denorm_src 0
		.amdhsa_exception_fp_ieee_div_zero 0
		.amdhsa_exception_fp_ieee_overflow 0
		.amdhsa_exception_fp_ieee_underflow 0
		.amdhsa_exception_fp_ieee_inexact 0
		.amdhsa_exception_int_div_zero 0
	.end_amdhsa_kernel
	.section	.text._ZN7rocprim17ROCPRIM_304000_NS6detail25onesweep_iteration_kernelINS1_34wrapped_radix_sort_onesweep_configINS0_14default_configElN2at4cuda3cub6detail10OpaqueTypeILi8EEEEELb1EPKlPlPKSA_PSA_mNS0_19identity_decomposerEEEvT1_T2_T3_T4_jPT5_SO_PNS1_23onesweep_lookback_stateET6_jjj,"axG",@progbits,_ZN7rocprim17ROCPRIM_304000_NS6detail25onesweep_iteration_kernelINS1_34wrapped_radix_sort_onesweep_configINS0_14default_configElN2at4cuda3cub6detail10OpaqueTypeILi8EEEEELb1EPKlPlPKSA_PSA_mNS0_19identity_decomposerEEEvT1_T2_T3_T4_jPT5_SO_PNS1_23onesweep_lookback_stateET6_jjj,comdat
.Lfunc_end110:
	.size	_ZN7rocprim17ROCPRIM_304000_NS6detail25onesweep_iteration_kernelINS1_34wrapped_radix_sort_onesweep_configINS0_14default_configElN2at4cuda3cub6detail10OpaqueTypeILi8EEEEELb1EPKlPlPKSA_PSA_mNS0_19identity_decomposerEEEvT1_T2_T3_T4_jPT5_SO_PNS1_23onesweep_lookback_stateET6_jjj, .Lfunc_end110-_ZN7rocprim17ROCPRIM_304000_NS6detail25onesweep_iteration_kernelINS1_34wrapped_radix_sort_onesweep_configINS0_14default_configElN2at4cuda3cub6detail10OpaqueTypeILi8EEEEELb1EPKlPlPKSA_PSA_mNS0_19identity_decomposerEEEvT1_T2_T3_T4_jPT5_SO_PNS1_23onesweep_lookback_stateET6_jjj
                                        ; -- End function
	.section	.AMDGPU.csdata,"",@progbits
; Kernel info:
; codeLenInByte = 11512
; NumSgprs: 58
; NumVgprs: 48
; NumAgprs: 0
; TotalNumVgprs: 48
; ScratchSize: 0
; MemoryBound: 0
; FloatMode: 240
; IeeeMode: 1
; LDSByteSize: 51200 bytes/workgroup (compile time only)
; SGPRBlocks: 7
; VGPRBlocks: 5
; NumSGPRsForWavesPerEU: 58
; NumVGPRsForWavesPerEU: 48
; AccumOffset: 48
; Occupancy: 4
; WaveLimiterHint : 1
; COMPUTE_PGM_RSRC2:SCRATCH_EN: 0
; COMPUTE_PGM_RSRC2:USER_SGPR: 6
; COMPUTE_PGM_RSRC2:TRAP_HANDLER: 0
; COMPUTE_PGM_RSRC2:TGID_X_EN: 1
; COMPUTE_PGM_RSRC2:TGID_Y_EN: 0
; COMPUTE_PGM_RSRC2:TGID_Z_EN: 0
; COMPUTE_PGM_RSRC2:TIDIG_COMP_CNT: 2
; COMPUTE_PGM_RSRC3_GFX90A:ACCUM_OFFSET: 11
; COMPUTE_PGM_RSRC3_GFX90A:TG_SPLIT: 0
	.section	.text._ZN7rocprim17ROCPRIM_304000_NS6detail25onesweep_iteration_kernelINS1_34wrapped_radix_sort_onesweep_configINS0_14default_configElN2at4cuda3cub6detail10OpaqueTypeILi8EEEEELb1EPlSC_PSA_SD_mNS0_19identity_decomposerEEEvT1_T2_T3_T4_jPT5_SK_PNS1_23onesweep_lookback_stateET6_jjj,"axG",@progbits,_ZN7rocprim17ROCPRIM_304000_NS6detail25onesweep_iteration_kernelINS1_34wrapped_radix_sort_onesweep_configINS0_14default_configElN2at4cuda3cub6detail10OpaqueTypeILi8EEEEELb1EPlSC_PSA_SD_mNS0_19identity_decomposerEEEvT1_T2_T3_T4_jPT5_SK_PNS1_23onesweep_lookback_stateET6_jjj,comdat
	.protected	_ZN7rocprim17ROCPRIM_304000_NS6detail25onesweep_iteration_kernelINS1_34wrapped_radix_sort_onesweep_configINS0_14default_configElN2at4cuda3cub6detail10OpaqueTypeILi8EEEEELb1EPlSC_PSA_SD_mNS0_19identity_decomposerEEEvT1_T2_T3_T4_jPT5_SK_PNS1_23onesweep_lookback_stateET6_jjj ; -- Begin function _ZN7rocprim17ROCPRIM_304000_NS6detail25onesweep_iteration_kernelINS1_34wrapped_radix_sort_onesweep_configINS0_14default_configElN2at4cuda3cub6detail10OpaqueTypeILi8EEEEELb1EPlSC_PSA_SD_mNS0_19identity_decomposerEEEvT1_T2_T3_T4_jPT5_SK_PNS1_23onesweep_lookback_stateET6_jjj
	.globl	_ZN7rocprim17ROCPRIM_304000_NS6detail25onesweep_iteration_kernelINS1_34wrapped_radix_sort_onesweep_configINS0_14default_configElN2at4cuda3cub6detail10OpaqueTypeILi8EEEEELb1EPlSC_PSA_SD_mNS0_19identity_decomposerEEEvT1_T2_T3_T4_jPT5_SK_PNS1_23onesweep_lookback_stateET6_jjj
	.p2align	8
	.type	_ZN7rocprim17ROCPRIM_304000_NS6detail25onesweep_iteration_kernelINS1_34wrapped_radix_sort_onesweep_configINS0_14default_configElN2at4cuda3cub6detail10OpaqueTypeILi8EEEEELb1EPlSC_PSA_SD_mNS0_19identity_decomposerEEEvT1_T2_T3_T4_jPT5_SK_PNS1_23onesweep_lookback_stateET6_jjj,@function
_ZN7rocprim17ROCPRIM_304000_NS6detail25onesweep_iteration_kernelINS1_34wrapped_radix_sort_onesweep_configINS0_14default_configElN2at4cuda3cub6detail10OpaqueTypeILi8EEEEELb1EPlSC_PSA_SD_mNS0_19identity_decomposerEEEvT1_T2_T3_T4_jPT5_SK_PNS1_23onesweep_lookback_stateET6_jjj: ; @_ZN7rocprim17ROCPRIM_304000_NS6detail25onesweep_iteration_kernelINS1_34wrapped_radix_sort_onesweep_configINS0_14default_configElN2at4cuda3cub6detail10OpaqueTypeILi8EEEEELb1EPlSC_PSA_SD_mNS0_19identity_decomposerEEEvT1_T2_T3_T4_jPT5_SK_PNS1_23onesweep_lookback_stateET6_jjj
; %bb.0:
	s_load_dwordx4 s[48:51], s[4:5], 0x44
	s_load_dwordx8 s[36:43], s[4:5], 0x0
	s_load_dwordx4 s[44:47], s[4:5], 0x28
	s_load_dwordx2 s[30:31], s[4:5], 0x38
	s_mul_i32 s34, s6, 0x1800
	s_waitcnt lgkmcnt(0)
	s_cmp_ge_u32 s6, s50
	v_mbcnt_lo_u32_b32 v1, -1, 0
	s_cbranch_scc0 .LBB111_86
; %bb.1:
	s_load_dword s0, s[4:5], 0x20
	s_mul_i32 s52, s50, 0xffffe800
	s_mov_b32 s35, 0
	v_and_b32_e32 v2, 0x3ff, v0
	s_lshl_b64 s[50:51], s[34:35], 3
	s_waitcnt lgkmcnt(0)
	s_add_i32 s52, s52, s0
	s_add_u32 s0, s36, s50
	v_mbcnt_hi_u32_b32 v21, -1, v1
	v_and_b32_e32 v3, 0x3c0, v2
	s_addc_u32 s1, s37, s51
	v_mul_u32_u24_e32 v4, 6, v3
	v_lshlrev_b32_e32 v3, 3, v21
	v_mov_b32_e32 v5, s1
	v_add_co_u32_e32 v6, vcc, s0, v3
	v_addc_co_u32_e32 v5, vcc, 0, v5, vcc
	v_lshlrev_b32_e32 v20, 3, v4
	v_add_co_u32_e32 v16, vcc, v6, v20
	v_addc_co_u32_e32 v17, vcc, 0, v5, vcc
	v_or_b32_e32 v8, v21, v4
	s_brev_b32 s3, 1
	s_mov_b32 s2, s35
	v_cmp_gt_u32_e32 vcc, s52, v8
	v_pk_mov_b32 v[4:5], s[2:3], s[2:3] op_sel:[0,1]
	s_and_saveexec_b64 s[0:1], vcc
	s_cbranch_execz .LBB111_3
; %bb.2:
	global_load_dwordx2 v[4:5], v[16:17], off
.LBB111_3:
	s_or_b64 exec, exec, s[0:1]
	v_add_u32_e32 v6, 64, v8
	v_cmp_gt_u32_e64 s[0:1], s52, v6
	v_pk_mov_b32 v[6:7], s[2:3], s[2:3] op_sel:[0,1]
	s_and_saveexec_b64 s[2:3], s[0:1]
	s_cbranch_execz .LBB111_5
; %bb.4:
	global_load_dwordx2 v[6:7], v[16:17], off offset:512
.LBB111_5:
	s_or_b64 exec, exec, s[2:3]
	s_mov_b32 s8, 0
	v_add_u32_e32 v9, 0x80, v8
	s_brev_b32 s9, 1
	v_cmp_gt_u32_e64 s[2:3], s52, v9
	v_pk_mov_b32 v[10:11], s[8:9], s[8:9] op_sel:[0,1]
	s_and_saveexec_b64 s[10:11], s[2:3]
	s_cbranch_execz .LBB111_7
; %bb.6:
	global_load_dwordx2 v[10:11], v[16:17], off offset:1024
.LBB111_7:
	s_or_b64 exec, exec, s[10:11]
	v_add_u32_e32 v9, 0xc0, v8
	v_cmp_gt_u32_e64 s[26:27], s52, v9
	v_pk_mov_b32 v[14:15], s[8:9], s[8:9] op_sel:[0,1]
	s_and_saveexec_b64 s[8:9], s[26:27]
	s_cbranch_execz .LBB111_9
; %bb.8:
	global_load_dwordx2 v[14:15], v[16:17], off offset:1536
.LBB111_9:
	s_or_b64 exec, exec, s[8:9]
	s_mov_b32 s12, 0
	v_add_u32_e32 v9, 0x100, v8
	s_brev_b32 s13, 1
	v_cmp_gt_u32_e64 s[8:9], s52, v9
	v_pk_mov_b32 v[12:13], s[12:13], s[12:13] op_sel:[0,1]
	s_and_saveexec_b64 s[10:11], s[8:9]
	s_cbranch_execz .LBB111_11
; %bb.10:
	global_load_dwordx2 v[12:13], v[16:17], off offset:2048
.LBB111_11:
	s_or_b64 exec, exec, s[10:11]
	v_add_u32_e32 v8, 0x140, v8
	v_cmp_gt_u32_e64 s[10:11], s52, v8
	v_pk_mov_b32 v[8:9], s[12:13], s[12:13] op_sel:[0,1]
	s_and_saveexec_b64 s[12:13], s[10:11]
	s_cbranch_execz .LBB111_13
; %bb.12:
	global_load_dwordx2 v[8:9], v[16:17], off offset:2560
.LBB111_13:
	s_or_b64 exec, exec, s[12:13]
	s_load_dword s12, s[4:5], 0x5c
	s_load_dword s7, s[4:5], 0x50
	s_add_u32 s13, s4, 0x50
	s_addc_u32 s14, s5, 0
	v_mov_b32_e32 v16, 0
	s_waitcnt lgkmcnt(0)
	s_lshr_b32 s15, s12, 16
	s_cmp_lt_u32 s6, s7
	s_cselect_b32 s12, 12, 18
	s_add_u32 s12, s13, s12
	s_addc_u32 s13, s14, 0
	global_load_ushort v23, v16, s[12:13]
	s_waitcnt vmcnt(1)
	v_xor_b32_e32 v5, 0x7fffffff, v5
	v_not_b32_e32 v4, v4
	v_mul_u32_u24_e32 v18, 5, v2
	s_lshl_b32 s12, -1, s49
	v_lshlrev_b32_e32 v22, 2, v18
	v_lshrrev_b64 v[18:19], s48, v[4:5]
	s_not_b32 s33, s12
	v_and_b32_e32 v18, s33, v18
	v_and_b32_e32 v25, 1, v18
	v_bfe_u32 v17, v0, 10, 10
	v_bfe_u32 v24, v0, 20, 10
	v_add_co_u32_e64 v26, s[12:13], -1, v25
	v_mad_u32_u24 v19, v24, s15, v17
	v_lshlrev_b32_e32 v17, 30, v18
	v_addc_co_u32_e64 v27, s[12:13], 0, -1, s[12:13]
	v_cmp_ne_u32_e64 s[12:13], 0, v25
	v_cmp_gt_i64_e64 s[14:15], 0, v[16:17]
	v_not_b32_e32 v25, v17
	v_lshlrev_b32_e32 v17, 29, v18
	v_xor_b32_e32 v27, s13, v27
	v_xor_b32_e32 v26, s12, v26
	v_ashrrev_i32_e32 v25, 31, v25
	v_cmp_gt_i64_e64 s[12:13], 0, v[16:17]
	v_not_b32_e32 v28, v17
	v_lshlrev_b32_e32 v17, 28, v18
	v_and_b32_e32 v27, exec_hi, v27
	v_and_b32_e32 v26, exec_lo, v26
	v_xor_b32_e32 v29, s15, v25
	v_xor_b32_e32 v25, s14, v25
	v_ashrrev_i32_e32 v28, 31, v28
	v_cmp_gt_i64_e64 s[14:15], 0, v[16:17]
	v_not_b32_e32 v30, v17
	v_lshlrev_b32_e32 v17, 27, v18
	v_and_b32_e32 v27, v27, v29
	v_and_b32_e32 v25, v26, v25
	v_xor_b32_e32 v26, s13, v28
	v_xor_b32_e32 v28, s12, v28
	v_ashrrev_i32_e32 v29, 31, v30
	v_cmp_gt_i64_e64 s[12:13], 0, v[16:17]
	v_not_b32_e32 v30, v17
	v_lshlrev_b32_e32 v17, 26, v18
	v_and_b32_e32 v26, v27, v26
	v_and_b32_e32 v25, v25, v28
	v_xor_b32_e32 v27, s15, v29
	v_xor_b32_e32 v28, s14, v29
	v_ashrrev_i32_e32 v29, 31, v30
	v_cmp_gt_i64_e64 s[14:15], 0, v[16:17]
	v_not_b32_e32 v30, v17
	v_lshlrev_b32_e32 v17, 25, v18
	v_and_b32_e32 v26, v26, v27
	v_and_b32_e32 v25, v25, v28
	v_xor_b32_e32 v27, s13, v29
	v_xor_b32_e32 v28, s12, v29
	v_ashrrev_i32_e32 v29, 31, v30
	v_not_b32_e32 v30, v17
	v_lshl_add_u32 v24, v18, 4, v18
	v_cmp_gt_i64_e64 s[12:13], 0, v[16:17]
	v_lshlrev_b32_e32 v17, 24, v18
	v_and_b32_e32 v18, v26, v27
	v_and_b32_e32 v25, v25, v28
	v_xor_b32_e32 v26, s15, v29
	v_ashrrev_i32_e32 v28, 31, v30
	v_xor_b32_e32 v27, s14, v29
	v_cmp_gt_i64_e64 s[14:15], 0, v[16:17]
	v_and_b32_e32 v18, v18, v26
	v_xor_b32_e32 v26, s13, v28
	v_not_b32_e32 v17, v17
	v_and_b32_e32 v25, v25, v27
	v_xor_b32_e32 v27, s12, v28
	v_and_b32_e32 v26, v18, v26
	v_ashrrev_i32_e32 v17, 31, v17
	v_and_b32_e32 v27, v25, v27
	ds_write2_b32 v22, v16, v16 offset0:16 offset1:17
	ds_write2_b32 v22, v16, v16 offset0:18 offset1:19
	ds_write_b32 v22, v16 offset:80
	s_waitcnt lgkmcnt(0)
	s_barrier
	s_waitcnt vmcnt(0)
	v_mad_u64_u32 v[18:19], s[12:13], v19, v23, v[2:3]
	v_lshrrev_b32_e32 v32, 6, v18
	v_xor_b32_e32 v18, s15, v17
	v_xor_b32_e32 v17, s14, v17
	v_and_b32_e32 v19, v26, v18
	v_and_b32_e32 v18, v27, v17
	v_mbcnt_lo_u32_b32 v17, v18, 0
	v_mbcnt_hi_u32_b32 v23, v19, v17
	v_cmp_eq_u32_e64 s[12:13], 0, v23
	v_cmp_ne_u64_e64 s[14:15], 0, v[18:19]
	v_add_lshl_u32 v25, v32, v24, 2
	s_and_b64 s[14:15], s[14:15], s[12:13]
	; wave barrier
	s_and_saveexec_b64 s[12:13], s[14:15]
	s_cbranch_execz .LBB111_15
; %bb.14:
	v_bcnt_u32_b32 v17, v18, 0
	v_bcnt_u32_b32 v17, v19, v17
	ds_write_b32 v25, v17 offset:64
.LBB111_15:
	s_or_b64 exec, exec, s[12:13]
	v_xor_b32_e32 v7, 0x7fffffff, v7
	v_not_b32_e32 v6, v6
	v_lshrrev_b64 v[18:19], s48, v[6:7]
	v_and_b32_e32 v18, s33, v18
	v_lshl_add_u32 v17, v18, 4, v18
	v_add_lshl_u32 v26, v32, v17, 2
	v_and_b32_e32 v17, 1, v18
	v_add_co_u32_e64 v19, s[12:13], -1, v17
	v_addc_co_u32_e64 v27, s[12:13], 0, -1, s[12:13]
	v_cmp_ne_u32_e64 s[12:13], 0, v17
	v_xor_b32_e32 v17, s13, v27
	v_and_b32_e32 v27, exec_hi, v17
	v_lshlrev_b32_e32 v17, 30, v18
	v_xor_b32_e32 v19, s12, v19
	v_cmp_gt_i64_e64 s[12:13], 0, v[16:17]
	v_not_b32_e32 v17, v17
	v_ashrrev_i32_e32 v17, 31, v17
	v_and_b32_e32 v19, exec_lo, v19
	v_xor_b32_e32 v28, s13, v17
	v_xor_b32_e32 v17, s12, v17
	v_and_b32_e32 v19, v19, v17
	v_lshlrev_b32_e32 v17, 29, v18
	v_cmp_gt_i64_e64 s[12:13], 0, v[16:17]
	v_not_b32_e32 v17, v17
	v_ashrrev_i32_e32 v17, 31, v17
	v_and_b32_e32 v27, v27, v28
	v_xor_b32_e32 v28, s13, v17
	v_xor_b32_e32 v17, s12, v17
	v_and_b32_e32 v19, v19, v17
	v_lshlrev_b32_e32 v17, 28, v18
	v_cmp_gt_i64_e64 s[12:13], 0, v[16:17]
	v_not_b32_e32 v17, v17
	v_ashrrev_i32_e32 v17, 31, v17
	v_and_b32_e32 v27, v27, v28
	;; [unrolled: 8-line block ×5, first 2 shown]
	v_xor_b32_e32 v28, s13, v17
	v_xor_b32_e32 v17, s12, v17
	v_and_b32_e32 v19, v19, v17
	v_lshlrev_b32_e32 v17, 24, v18
	v_cmp_gt_i64_e64 s[12:13], 0, v[16:17]
	v_not_b32_e32 v16, v17
	v_ashrrev_i32_e32 v16, 31, v16
	v_xor_b32_e32 v17, s13, v16
	v_xor_b32_e32 v16, s12, v16
	; wave barrier
	ds_read_b32 v24, v26 offset:64
	v_and_b32_e32 v27, v27, v28
	v_and_b32_e32 v16, v19, v16
	;; [unrolled: 1-line block ×3, first 2 shown]
	v_mbcnt_lo_u32_b32 v18, v16, 0
	v_mbcnt_hi_u32_b32 v27, v17, v18
	v_cmp_eq_u32_e64 s[12:13], 0, v27
	v_cmp_ne_u64_e64 s[14:15], 0, v[16:17]
	s_and_b64 s[14:15], s[14:15], s[12:13]
	; wave barrier
	s_and_saveexec_b64 s[12:13], s[14:15]
	s_cbranch_execz .LBB111_17
; %bb.16:
	v_bcnt_u32_b32 v16, v16, 0
	v_bcnt_u32_b32 v16, v17, v16
	s_waitcnt lgkmcnt(0)
	v_add_u32_e32 v16, v24, v16
	ds_write_b32 v26, v16 offset:64
.LBB111_17:
	s_or_b64 exec, exec, s[12:13]
	v_xor_b32_e32 v11, 0x7fffffff, v11
	v_not_b32_e32 v10, v10
	v_lshrrev_b64 v[16:17], s48, v[10:11]
	v_and_b32_e32 v18, s33, v16
	v_and_b32_e32 v17, 1, v18
	v_add_co_u32_e64 v19, s[12:13], -1, v17
	v_addc_co_u32_e64 v30, s[12:13], 0, -1, s[12:13]
	v_cmp_ne_u32_e64 s[12:13], 0, v17
	v_lshl_add_u32 v16, v18, 4, v18
	v_xor_b32_e32 v17, s13, v30
	v_add_lshl_u32 v29, v32, v16, 2
	v_mov_b32_e32 v16, 0
	v_and_b32_e32 v30, exec_hi, v17
	v_lshlrev_b32_e32 v17, 30, v18
	v_xor_b32_e32 v19, s12, v19
	v_cmp_gt_i64_e64 s[12:13], 0, v[16:17]
	v_not_b32_e32 v17, v17
	v_ashrrev_i32_e32 v17, 31, v17
	v_and_b32_e32 v19, exec_lo, v19
	v_xor_b32_e32 v31, s13, v17
	v_xor_b32_e32 v17, s12, v17
	v_and_b32_e32 v19, v19, v17
	v_lshlrev_b32_e32 v17, 29, v18
	v_cmp_gt_i64_e64 s[12:13], 0, v[16:17]
	v_not_b32_e32 v17, v17
	v_ashrrev_i32_e32 v17, 31, v17
	v_and_b32_e32 v30, v30, v31
	v_xor_b32_e32 v31, s13, v17
	v_xor_b32_e32 v17, s12, v17
	v_and_b32_e32 v19, v19, v17
	v_lshlrev_b32_e32 v17, 28, v18
	v_cmp_gt_i64_e64 s[12:13], 0, v[16:17]
	v_not_b32_e32 v17, v17
	v_ashrrev_i32_e32 v17, 31, v17
	v_and_b32_e32 v30, v30, v31
	;; [unrolled: 8-line block ×5, first 2 shown]
	v_xor_b32_e32 v31, s13, v17
	v_xor_b32_e32 v17, s12, v17
	v_and_b32_e32 v30, v30, v31
	v_and_b32_e32 v31, v19, v17
	v_lshlrev_b32_e32 v17, 24, v18
	v_cmp_gt_i64_e64 s[12:13], 0, v[16:17]
	v_not_b32_e32 v17, v17
	v_ashrrev_i32_e32 v17, 31, v17
	v_xor_b32_e32 v18, s13, v17
	v_xor_b32_e32 v17, s12, v17
	; wave barrier
	ds_read_b32 v28, v29 offset:64
	v_and_b32_e32 v19, v30, v18
	v_and_b32_e32 v18, v31, v17
	v_mbcnt_lo_u32_b32 v17, v18, 0
	v_mbcnt_hi_u32_b32 v30, v19, v17
	v_cmp_eq_u32_e64 s[12:13], 0, v30
	v_cmp_ne_u64_e64 s[14:15], 0, v[18:19]
	s_and_b64 s[14:15], s[14:15], s[12:13]
	; wave barrier
	s_and_saveexec_b64 s[12:13], s[14:15]
	s_cbranch_execz .LBB111_19
; %bb.18:
	v_bcnt_u32_b32 v17, v18, 0
	v_bcnt_u32_b32 v17, v19, v17
	s_waitcnt lgkmcnt(0)
	v_add_u32_e32 v17, v28, v17
	ds_write_b32 v29, v17 offset:64
.LBB111_19:
	s_or_b64 exec, exec, s[12:13]
	v_xor_b32_e32 v15, 0x7fffffff, v15
	v_not_b32_e32 v14, v14
	v_lshrrev_b64 v[18:19], s48, v[14:15]
	v_and_b32_e32 v18, s33, v18
	v_lshl_add_u32 v17, v18, 4, v18
	v_add_lshl_u32 v33, v32, v17, 2
	v_and_b32_e32 v17, 1, v18
	v_add_co_u32_e64 v19, s[12:13], -1, v17
	v_addc_co_u32_e64 v34, s[12:13], 0, -1, s[12:13]
	v_cmp_ne_u32_e64 s[12:13], 0, v17
	v_xor_b32_e32 v17, s13, v34
	v_and_b32_e32 v34, exec_hi, v17
	v_lshlrev_b32_e32 v17, 30, v18
	v_xor_b32_e32 v19, s12, v19
	v_cmp_gt_i64_e64 s[12:13], 0, v[16:17]
	v_not_b32_e32 v17, v17
	v_ashrrev_i32_e32 v17, 31, v17
	v_and_b32_e32 v19, exec_lo, v19
	v_xor_b32_e32 v35, s13, v17
	v_xor_b32_e32 v17, s12, v17
	v_and_b32_e32 v19, v19, v17
	v_lshlrev_b32_e32 v17, 29, v18
	v_cmp_gt_i64_e64 s[12:13], 0, v[16:17]
	v_not_b32_e32 v17, v17
	v_ashrrev_i32_e32 v17, 31, v17
	v_and_b32_e32 v34, v34, v35
	v_xor_b32_e32 v35, s13, v17
	v_xor_b32_e32 v17, s12, v17
	v_and_b32_e32 v19, v19, v17
	v_lshlrev_b32_e32 v17, 28, v18
	v_cmp_gt_i64_e64 s[12:13], 0, v[16:17]
	v_not_b32_e32 v17, v17
	v_ashrrev_i32_e32 v17, 31, v17
	v_and_b32_e32 v34, v34, v35
	v_xor_b32_e32 v35, s13, v17
	v_xor_b32_e32 v17, s12, v17
	v_and_b32_e32 v19, v19, v17
	v_lshlrev_b32_e32 v17, 27, v18
	v_cmp_gt_i64_e64 s[12:13], 0, v[16:17]
	v_not_b32_e32 v17, v17
	v_ashrrev_i32_e32 v17, 31, v17
	v_and_b32_e32 v34, v34, v35
	v_xor_b32_e32 v35, s13, v17
	v_xor_b32_e32 v17, s12, v17
	v_and_b32_e32 v19, v19, v17
	v_lshlrev_b32_e32 v17, 26, v18
	v_cmp_gt_i64_e64 s[12:13], 0, v[16:17]
	v_not_b32_e32 v17, v17
	v_ashrrev_i32_e32 v17, 31, v17
	v_and_b32_e32 v34, v34, v35
	v_xor_b32_e32 v35, s13, v17
	v_xor_b32_e32 v17, s12, v17
	v_and_b32_e32 v19, v19, v17
	v_lshlrev_b32_e32 v17, 25, v18
	v_cmp_gt_i64_e64 s[12:13], 0, v[16:17]
	v_not_b32_e32 v17, v17
	v_ashrrev_i32_e32 v17, 31, v17
	v_and_b32_e32 v34, v34, v35
	v_xor_b32_e32 v35, s13, v17
	v_xor_b32_e32 v17, s12, v17
	v_and_b32_e32 v19, v19, v17
	v_lshlrev_b32_e32 v17, 24, v18
	v_cmp_gt_i64_e64 s[12:13], 0, v[16:17]
	v_not_b32_e32 v16, v17
	v_ashrrev_i32_e32 v16, 31, v16
	v_xor_b32_e32 v17, s13, v16
	v_xor_b32_e32 v16, s12, v16
	; wave barrier
	ds_read_b32 v31, v33 offset:64
	v_and_b32_e32 v34, v34, v35
	v_and_b32_e32 v16, v19, v16
	;; [unrolled: 1-line block ×3, first 2 shown]
	v_mbcnt_lo_u32_b32 v18, v16, 0
	v_mbcnt_hi_u32_b32 v34, v17, v18
	v_cmp_eq_u32_e64 s[12:13], 0, v34
	v_cmp_ne_u64_e64 s[14:15], 0, v[16:17]
	s_and_b64 s[14:15], s[14:15], s[12:13]
	; wave barrier
	s_and_saveexec_b64 s[12:13], s[14:15]
	s_cbranch_execz .LBB111_21
; %bb.20:
	v_bcnt_u32_b32 v16, v16, 0
	v_bcnt_u32_b32 v16, v17, v16
	s_waitcnt lgkmcnt(0)
	v_add_u32_e32 v16, v31, v16
	ds_write_b32 v33, v16 offset:64
.LBB111_21:
	s_or_b64 exec, exec, s[12:13]
	v_xor_b32_e32 v13, 0x7fffffff, v13
	v_not_b32_e32 v12, v12
	v_lshrrev_b64 v[16:17], s48, v[12:13]
	v_and_b32_e32 v16, s33, v16
	v_lshl_add_u32 v17, v16, 4, v16
	v_add_lshl_u32 v36, v32, v17, 2
	v_and_b32_e32 v17, 1, v16
	v_add_co_u32_e64 v19, s[12:13], -1, v17
	v_addc_co_u32_e64 v37, s[12:13], 0, -1, s[12:13]
	v_cmp_ne_u32_e64 s[12:13], 0, v17
	v_xor_b32_e32 v19, s12, v19
	v_mov_b32_e32 v18, 0
	v_xor_b32_e32 v17, s13, v37
	v_and_b32_e32 v37, exec_lo, v19
	v_lshlrev_b32_e32 v19, 30, v16
	v_cmp_gt_i64_e64 s[12:13], 0, v[18:19]
	v_not_b32_e32 v19, v19
	v_ashrrev_i32_e32 v19, 31, v19
	v_xor_b32_e32 v38, s13, v19
	v_xor_b32_e32 v19, s12, v19
	v_and_b32_e32 v37, v37, v19
	v_lshlrev_b32_e32 v19, 29, v16
	v_cmp_gt_i64_e64 s[12:13], 0, v[18:19]
	v_not_b32_e32 v19, v19
	v_and_b32_e32 v17, exec_hi, v17
	v_ashrrev_i32_e32 v19, 31, v19
	v_and_b32_e32 v17, v17, v38
	v_xor_b32_e32 v38, s13, v19
	v_xor_b32_e32 v19, s12, v19
	v_and_b32_e32 v37, v37, v19
	v_lshlrev_b32_e32 v19, 28, v16
	v_cmp_gt_i64_e64 s[12:13], 0, v[18:19]
	v_not_b32_e32 v19, v19
	v_ashrrev_i32_e32 v19, 31, v19
	v_and_b32_e32 v17, v17, v38
	v_xor_b32_e32 v38, s13, v19
	v_xor_b32_e32 v19, s12, v19
	v_and_b32_e32 v37, v37, v19
	v_lshlrev_b32_e32 v19, 27, v16
	v_cmp_gt_i64_e64 s[12:13], 0, v[18:19]
	v_not_b32_e32 v19, v19
	;; [unrolled: 8-line block ×4, first 2 shown]
	v_ashrrev_i32_e32 v19, 31, v19
	v_and_b32_e32 v17, v17, v38
	v_xor_b32_e32 v38, s13, v19
	v_xor_b32_e32 v19, s12, v19
	v_and_b32_e32 v37, v37, v19
	v_lshlrev_b32_e32 v19, 24, v16
	v_not_b32_e32 v16, v19
	v_cmp_gt_i64_e64 s[12:13], 0, v[18:19]
	v_ashrrev_i32_e32 v16, 31, v16
	v_xor_b32_e32 v19, s13, v16
	v_xor_b32_e32 v16, s12, v16
	; wave barrier
	ds_read_b32 v35, v36 offset:64
	v_and_b32_e32 v17, v17, v38
	v_and_b32_e32 v16, v37, v16
	;; [unrolled: 1-line block ×3, first 2 shown]
	v_mbcnt_lo_u32_b32 v19, v16, 0
	v_mbcnt_hi_u32_b32 v37, v17, v19
	v_cmp_eq_u32_e64 s[12:13], 0, v37
	v_cmp_ne_u64_e64 s[14:15], 0, v[16:17]
	s_and_b64 s[14:15], s[14:15], s[12:13]
	; wave barrier
	s_and_saveexec_b64 s[12:13], s[14:15]
	s_cbranch_execz .LBB111_23
; %bb.22:
	v_bcnt_u32_b32 v16, v16, 0
	v_bcnt_u32_b32 v16, v17, v16
	s_waitcnt lgkmcnt(0)
	v_add_u32_e32 v16, v35, v16
	ds_write_b32 v36, v16 offset:64
.LBB111_23:
	s_or_b64 exec, exec, s[12:13]
	v_xor_b32_e32 v17, 0x7fffffff, v9
	v_not_b32_e32 v16, v8
	v_lshrrev_b64 v[8:9], s48, v[16:17]
	v_and_b32_e32 v8, s33, v8
	v_lshl_add_u32 v9, v8, 4, v8
	v_add_lshl_u32 v39, v32, v9, 2
	v_and_b32_e32 v9, 1, v8
	v_add_co_u32_e64 v19, s[12:13], -1, v9
	v_addc_co_u32_e64 v40, s[12:13], 0, -1, s[12:13]
	v_cmp_ne_u32_e64 s[12:13], 0, v9
	v_xor_b32_e32 v19, s12, v19
	v_xor_b32_e32 v9, s13, v40
	v_and_b32_e32 v40, exec_lo, v19
	v_lshlrev_b32_e32 v19, 30, v8
	v_cmp_gt_i64_e64 s[12:13], 0, v[18:19]
	v_not_b32_e32 v19, v19
	v_ashrrev_i32_e32 v19, 31, v19
	v_xor_b32_e32 v41, s13, v19
	v_xor_b32_e32 v19, s12, v19
	v_and_b32_e32 v40, v40, v19
	v_lshlrev_b32_e32 v19, 29, v8
	v_cmp_gt_i64_e64 s[12:13], 0, v[18:19]
	v_not_b32_e32 v19, v19
	v_and_b32_e32 v9, exec_hi, v9
	v_ashrrev_i32_e32 v19, 31, v19
	v_and_b32_e32 v9, v9, v41
	v_xor_b32_e32 v41, s13, v19
	v_xor_b32_e32 v19, s12, v19
	v_and_b32_e32 v40, v40, v19
	v_lshlrev_b32_e32 v19, 28, v8
	v_cmp_gt_i64_e64 s[12:13], 0, v[18:19]
	v_not_b32_e32 v19, v19
	v_ashrrev_i32_e32 v19, 31, v19
	v_and_b32_e32 v9, v9, v41
	v_xor_b32_e32 v41, s13, v19
	v_xor_b32_e32 v19, s12, v19
	v_and_b32_e32 v40, v40, v19
	v_lshlrev_b32_e32 v19, 27, v8
	v_cmp_gt_i64_e64 s[12:13], 0, v[18:19]
	v_not_b32_e32 v19, v19
	;; [unrolled: 8-line block ×4, first 2 shown]
	v_ashrrev_i32_e32 v19, 31, v19
	v_and_b32_e32 v9, v9, v41
	v_xor_b32_e32 v41, s13, v19
	v_xor_b32_e32 v19, s12, v19
	v_and_b32_e32 v40, v40, v19
	v_lshlrev_b32_e32 v19, 24, v8
	v_not_b32_e32 v8, v19
	v_cmp_gt_i64_e64 s[12:13], 0, v[18:19]
	v_ashrrev_i32_e32 v8, 31, v8
	v_xor_b32_e32 v18, s13, v8
	v_xor_b32_e32 v8, s12, v8
	; wave barrier
	ds_read_b32 v32, v39 offset:64
	v_and_b32_e32 v9, v9, v41
	v_and_b32_e32 v8, v40, v8
	;; [unrolled: 1-line block ×3, first 2 shown]
	v_mbcnt_lo_u32_b32 v18, v8, 0
	v_mbcnt_hi_u32_b32 v40, v9, v18
	v_cmp_eq_u32_e64 s[12:13], 0, v40
	v_cmp_ne_u64_e64 s[14:15], 0, v[8:9]
	v_add_u32_e32 v38, 64, v22
	s_and_b64 s[14:15], s[14:15], s[12:13]
	; wave barrier
	s_and_saveexec_b64 s[12:13], s[14:15]
	s_cbranch_execz .LBB111_25
; %bb.24:
	v_bcnt_u32_b32 v8, v8, 0
	v_bcnt_u32_b32 v8, v9, v8
	s_waitcnt lgkmcnt(0)
	v_add_u32_e32 v8, v32, v8
	ds_write_b32 v39, v8 offset:64
.LBB111_25:
	s_or_b64 exec, exec, s[12:13]
	; wave barrier
	s_waitcnt lgkmcnt(0)
	s_barrier
	ds_read2_b32 v[18:19], v22 offset0:16 offset1:17
	ds_read2_b32 v[8:9], v38 offset0:2 offset1:3
	ds_read_b32 v41, v38 offset:16
	v_cmp_lt_u32_e64 s[20:21], 31, v21
	s_waitcnt lgkmcnt(1)
	v_add3_u32 v42, v19, v18, v8
	s_waitcnt lgkmcnt(0)
	v_add3_u32 v41, v42, v9, v41
	v_and_b32_e32 v42, 15, v21
	v_cmp_eq_u32_e64 s[12:13], 0, v42
	v_mov_b32_dpp v43, v41 row_shr:1 row_mask:0xf bank_mask:0xf
	v_cndmask_b32_e64 v43, v43, 0, s[12:13]
	v_add_u32_e32 v41, v43, v41
	v_cmp_lt_u32_e64 s[14:15], 1, v42
	v_cmp_lt_u32_e64 s[16:17], 3, v42
	v_mov_b32_dpp v43, v41 row_shr:2 row_mask:0xf bank_mask:0xf
	v_cndmask_b32_e64 v43, 0, v43, s[14:15]
	v_add_u32_e32 v41, v41, v43
	v_cmp_lt_u32_e64 s[18:19], 7, v42
	s_nop 0
	v_mov_b32_dpp v43, v41 row_shr:4 row_mask:0xf bank_mask:0xf
	v_cndmask_b32_e64 v43, 0, v43, s[16:17]
	v_add_u32_e32 v41, v41, v43
	s_nop 1
	v_mov_b32_dpp v43, v41 row_shr:8 row_mask:0xf bank_mask:0xf
	v_cndmask_b32_e64 v42, 0, v43, s[18:19]
	v_add_u32_e32 v41, v41, v42
	v_bfe_i32 v43, v21, 4, 1
	s_nop 0
	v_mov_b32_dpp v42, v41 row_bcast:15 row_mask:0xf bank_mask:0xf
	v_and_b32_e32 v42, v43, v42
	v_add_u32_e32 v41, v41, v42
	v_and_b32_e32 v43, 63, v2
	s_nop 0
	v_mov_b32_dpp v42, v41 row_bcast:31 row_mask:0xf bank_mask:0xf
	v_cndmask_b32_e64 v42, 0, v42, s[20:21]
	v_add_u32_e32 v41, v41, v42
	v_lshrrev_b32_e32 v42, 6, v2
	v_cmp_eq_u32_e64 s[20:21], 63, v43
	s_and_saveexec_b64 s[22:23], s[20:21]
	s_cbranch_execz .LBB111_27
; %bb.26:
	v_lshlrev_b32_e32 v43, 2, v42
	ds_write_b32 v43, v41
.LBB111_27:
	s_or_b64 exec, exec, s[22:23]
	v_cmp_gt_u32_e64 s[20:21], 16, v2
	s_waitcnt lgkmcnt(0)
	s_barrier
	s_and_saveexec_b64 s[22:23], s[20:21]
	s_cbranch_execz .LBB111_29
; %bb.28:
	v_lshlrev_b32_e32 v43, 2, v2
	ds_read_b32 v44, v43
	s_waitcnt lgkmcnt(0)
	s_nop 0
	v_mov_b32_dpp v45, v44 row_shr:1 row_mask:0xf bank_mask:0xf
	v_cndmask_b32_e64 v45, v45, 0, s[12:13]
	v_add_u32_e32 v44, v45, v44
	s_nop 1
	v_mov_b32_dpp v45, v44 row_shr:2 row_mask:0xf bank_mask:0xf
	v_cndmask_b32_e64 v45, 0, v45, s[14:15]
	v_add_u32_e32 v44, v44, v45
	;; [unrolled: 4-line block ×4, first 2 shown]
	ds_write_b32 v43, v44
.LBB111_29:
	s_or_b64 exec, exec, s[22:23]
	v_cmp_lt_u32_e64 s[12:13], 63, v2
	v_mov_b32_e32 v43, 0
	s_waitcnt lgkmcnt(0)
	s_barrier
	s_and_saveexec_b64 s[14:15], s[12:13]
	s_cbranch_execz .LBB111_31
; %bb.30:
	v_lshl_add_u32 v42, v42, 2, -4
	ds_read_b32 v43, v42
.LBB111_31:
	s_or_b64 exec, exec, s[14:15]
	v_add_u32_e32 v42, -1, v21
	v_and_b32_e32 v44, 64, v21
	v_cmp_lt_i32_e64 s[12:13], v42, v44
	v_cndmask_b32_e64 v42, v42, v21, s[12:13]
	s_waitcnt lgkmcnt(0)
	v_add_u32_e32 v41, v43, v41
	v_lshlrev_b32_e32 v42, 2, v42
	ds_bpermute_b32 v41, v42, v41
	v_cmp_eq_u32_e64 s[12:13], 0, v21
	s_waitcnt lgkmcnt(0)
	v_cndmask_b32_e64 v21, v41, v43, s[12:13]
	v_cmp_ne_u32_e64 s[12:13], 0, v2
	v_cndmask_b32_e64 v21, 0, v21, s[12:13]
	v_add_u32_e32 v18, v21, v18
	v_add_u32_e32 v19, v18, v19
	;; [unrolled: 1-line block ×4, first 2 shown]
	ds_write2_b32 v22, v21, v18 offset0:16 offset1:17
	ds_write2_b32 v38, v19, v8 offset0:2 offset1:3
	ds_write_b32 v38, v9 offset:16
	s_waitcnt lgkmcnt(0)
	s_barrier
	ds_read_b32 v22, v25 offset:64
	ds_read_b32 v38, v26 offset:64
	ds_read_b32 v26, v29 offset:64
	ds_read_b32 v25, v33 offset:64
	ds_read_b32 v19, v36 offset:64
	ds_read_b32 v18, v39 offset:64
	s_movk_i32 s12, 0x100
	v_cmp_gt_u32_e64 s[12:13], s12, v2
	v_pk_mov_b32 v[8:9], 0, 0
                                        ; implicit-def: $vgpr21
	s_and_saveexec_b64 s[16:17], s[12:13]
	s_cbranch_execz .LBB111_35
; %bb.32:
	v_mul_u32_u24_e32 v8, 17, v2
	v_lshlrev_b32_e32 v21, 2, v8
	ds_read_b32 v8, v21 offset:64
	s_movk_i32 s14, 0xff
	v_cmp_ne_u32_e64 s[14:15], s14, v2
	v_mov_b32_e32 v9, 0x1800
	s_and_saveexec_b64 s[18:19], s[14:15]
	s_cbranch_execz .LBB111_34
; %bb.33:
	ds_read_b32 v9, v21 offset:132
.LBB111_34:
	s_or_b64 exec, exec, s[18:19]
	s_waitcnt lgkmcnt(0)
	v_sub_u32_e32 v21, v9, v8
	v_mov_b32_e32 v9, 0
.LBB111_35:
	s_or_b64 exec, exec, s[16:17]
	v_add_u32_e32 v29, v40, v32
	v_add_u32_e32 v32, v37, v35
	;; [unrolled: 1-line block ×5, first 2 shown]
	s_waitcnt lgkmcnt(5)
	v_add_lshl_u32 v22, v22, v23, 3
	s_waitcnt lgkmcnt(4)
	v_add_lshl_u32 v23, v24, v38, 3
	;; [unrolled: 2-line block ×6, first 2 shown]
	s_barrier
	ds_write_b64 v22, v[4:5] offset:2048
	ds_write_b64 v23, v[6:7] offset:2048
	;; [unrolled: 1-line block ×6, first 2 shown]
	s_waitcnt lgkmcnt(0)
	s_barrier
	s_and_saveexec_b64 s[16:17], s[12:13]
	s_cbranch_execz .LBB111_45
; %bb.36:
	v_lshl_or_b32 v4, s6, 8, v2
	v_mov_b32_e32 v5, 0
	v_lshlrev_b64 v[6:7], 2, v[4:5]
	v_mov_b32_e32 v12, s31
	v_add_co_u32_e64 v6, s[14:15], s30, v6
	v_addc_co_u32_e64 v7, s[14:15], v12, v7, s[14:15]
	v_or_b32_e32 v4, 2.0, v21
	s_mov_b64 s[18:19], 0
	s_brev_b32 s24, 1
	s_mov_b32 s25, s6
	v_mov_b32_e32 v13, 0
	global_store_dword v[6:7], v4, off
                                        ; implicit-def: $sgpr14_sgpr15
	s_branch .LBB111_38
.LBB111_37:                             ;   in Loop: Header=BB111_38 Depth=1
	s_or_b64 exec, exec, s[20:21]
	v_and_b32_e32 v10, 0x3fffffff, v14
	v_add_u32_e32 v13, v10, v13
	v_cmp_eq_u32_e64 s[14:15], s24, v4
	s_and_b64 s[20:21], exec, s[14:15]
	s_or_b64 s[18:19], s[20:21], s[18:19]
	s_andn2_b64 exec, exec, s[18:19]
	s_cbranch_execz .LBB111_44
.LBB111_38:                             ; =>This Loop Header: Depth=1
                                        ;     Child Loop BB111_41 Depth 2
	s_or_b64 s[14:15], s[14:15], exec
	s_cmp_eq_u32 s25, 0
	s_cbranch_scc1 .LBB111_43
; %bb.39:                               ;   in Loop: Header=BB111_38 Depth=1
	s_add_i32 s25, s25, -1
	v_lshl_or_b32 v4, s25, 8, v2
	v_lshlrev_b64 v[10:11], 2, v[4:5]
	v_add_co_u32_e64 v10, s[14:15], s30, v10
	v_addc_co_u32_e64 v11, s[14:15], v12, v11, s[14:15]
	global_load_dword v14, v[10:11], off glc
	s_waitcnt vmcnt(0)
	v_and_b32_e32 v4, -2.0, v14
	v_cmp_eq_u32_e64 s[14:15], 0, v4
	s_and_saveexec_b64 s[20:21], s[14:15]
	s_cbranch_execz .LBB111_37
; %bb.40:                               ;   in Loop: Header=BB111_38 Depth=1
	s_mov_b64 s[22:23], 0
.LBB111_41:                             ;   Parent Loop BB111_38 Depth=1
                                        ; =>  This Inner Loop Header: Depth=2
	global_load_dword v14, v[10:11], off glc
	s_waitcnt vmcnt(0)
	v_and_b32_e32 v4, -2.0, v14
	v_cmp_ne_u32_e64 s[14:15], 0, v4
	s_or_b64 s[22:23], s[14:15], s[22:23]
	s_andn2_b64 exec, exec, s[22:23]
	s_cbranch_execnz .LBB111_41
; %bb.42:                               ;   in Loop: Header=BB111_38 Depth=1
	s_or_b64 exec, exec, s[22:23]
	s_branch .LBB111_37
.LBB111_43:                             ;   in Loop: Header=BB111_38 Depth=1
                                        ; implicit-def: $sgpr25
	s_and_b64 s[20:21], exec, s[14:15]
	s_or_b64 s[18:19], s[20:21], s[18:19]
	s_andn2_b64 exec, exec, s[18:19]
	s_cbranch_execnz .LBB111_38
.LBB111_44:
	s_or_b64 exec, exec, s[18:19]
	v_add_u32_e32 v4, v13, v21
	v_or_b32_e32 v4, 0x80000000, v4
	global_store_dword v[6:7], v4, off
	v_lshlrev_b32_e32 v6, 3, v2
	global_load_dwordx2 v[4:5], v6, s[44:45]
	v_sub_co_u32_e64 v7, s[14:15], v13, v8
	v_subb_co_u32_e64 v10, s[14:15], 0, v9, s[14:15]
	s_waitcnt vmcnt(0)
	v_add_co_u32_e64 v4, s[14:15], v7, v4
	v_addc_co_u32_e64 v5, s[14:15], v10, v5, s[14:15]
	ds_write_b64 v6, v[4:5]
.LBB111_45:
	s_or_b64 exec, exec, s[16:17]
	v_cmp_gt_u32_e64 s[14:15], s52, v2
	v_lshlrev_b32_e32 v28, 3, v2
	s_waitcnt lgkmcnt(0)
	s_barrier
	s_and_saveexec_b64 s[18:19], s[14:15]
	s_cbranch_execz .LBB111_47
; %bb.46:
	ds_read_b64 v[4:5], v28 offset:2048
	v_mov_b32_e32 v10, s39
	s_waitcnt lgkmcnt(0)
	v_lshrrev_b64 v[6:7], s48, v[4:5]
	v_and_b32_e32 v6, s33, v6
	v_lshlrev_b32_e32 v6, 3, v6
	ds_read_b64 v[6:7], v6
	v_xor_b32_e32 v5, 0x7fffffff, v5
	v_not_b32_e32 v4, v4
	s_waitcnt lgkmcnt(0)
	v_lshlrev_b64 v[6:7], 3, v[6:7]
	v_add_co_u32_e64 v6, s[16:17], s38, v6
	v_addc_co_u32_e64 v7, s[16:17], v10, v7, s[16:17]
	v_add_co_u32_e64 v6, s[16:17], v6, v28
	v_addc_co_u32_e64 v7, s[16:17], 0, v7, s[16:17]
	global_store_dwordx2 v[6:7], v[4:5], off
.LBB111_47:
	s_or_b64 exec, exec, s[18:19]
	v_or_b32_e32 v4, 0x400, v2
	v_cmp_gt_u32_e64 s[16:17], s52, v4
	v_lshlrev_b32_e32 v29, 3, v4
	s_and_saveexec_b64 s[20:21], s[16:17]
	s_cbranch_execz .LBB111_49
; %bb.48:
	ds_read_b64 v[4:5], v28 offset:10240
	v_mov_b32_e32 v10, s39
	s_waitcnt lgkmcnt(0)
	v_lshrrev_b64 v[6:7], s48, v[4:5]
	v_and_b32_e32 v6, s33, v6
	v_lshlrev_b32_e32 v6, 3, v6
	ds_read_b64 v[6:7], v6
	v_xor_b32_e32 v5, 0x7fffffff, v5
	v_not_b32_e32 v4, v4
	s_waitcnt lgkmcnt(0)
	v_lshlrev_b64 v[6:7], 3, v[6:7]
	v_add_co_u32_e64 v6, s[18:19], s38, v6
	v_addc_co_u32_e64 v7, s[18:19], v10, v7, s[18:19]
	v_add_co_u32_e64 v6, s[18:19], v6, v29
	v_addc_co_u32_e64 v7, s[18:19], 0, v7, s[18:19]
	global_store_dwordx2 v[6:7], v[4:5], off
.LBB111_49:
	s_or_b64 exec, exec, s[20:21]
	v_or_b32_e32 v4, 0x800, v2
	v_cmp_gt_u32_e64 s[18:19], s52, v4
	v_lshlrev_b32_e32 v30, 3, v4
	;; [unrolled: 24-line block ×5, first 2 shown]
	s_and_saveexec_b64 s[52:53], s[24:25]
	s_cbranch_execz .LBB111_57
; %bb.56:
	ds_read_b64 v[4:5], v28 offset:43008
	v_mov_b32_e32 v10, s39
	s_waitcnt lgkmcnt(0)
	v_lshrrev_b64 v[6:7], s48, v[4:5]
	v_and_b32_e32 v6, s33, v6
	v_lshlrev_b32_e32 v6, 3, v6
	ds_read_b64 v[6:7], v6
	v_xor_b32_e32 v5, 0x7fffffff, v5
	v_not_b32_e32 v4, v4
	s_waitcnt lgkmcnt(0)
	v_lshlrev_b64 v[6:7], 3, v[6:7]
	v_add_co_u32_e64 v6, s[28:29], s38, v6
	v_addc_co_u32_e64 v7, s[28:29], v10, v7, s[28:29]
	v_add_co_u32_e64 v6, s[28:29], v6, v33
	v_addc_co_u32_e64 v7, s[28:29], 0, v7, s[28:29]
	global_store_dwordx2 v[6:7], v[4:5], off
.LBB111_57:
	s_or_b64 exec, exec, s[52:53]
	s_add_u32 s28, s40, s50
	s_addc_u32 s29, s41, s51
	v_mov_b32_e32 v4, s29
	v_add_co_u32_e64 v3, s[28:29], s28, v3
	v_addc_co_u32_e64 v4, s[28:29], 0, v4, s[28:29]
	v_add_co_u32_e64 v18, s[28:29], v3, v20
	v_addc_co_u32_e64 v19, s[28:29], 0, v4, s[28:29]
                                        ; implicit-def: $vgpr4_vgpr5
	s_and_saveexec_b64 s[28:29], vcc
	s_xor_b64 s[28:29], exec, s[28:29]
	s_cbranch_execnz .LBB111_127
; %bb.58:
	s_or_b64 exec, exec, s[28:29]
                                        ; implicit-def: $vgpr6_vgpr7
	s_and_saveexec_b64 s[28:29], s[0:1]
	s_cbranch_execnz .LBB111_128
.LBB111_59:
	s_or_b64 exec, exec, s[28:29]
                                        ; implicit-def: $vgpr10_vgpr11
	s_and_saveexec_b64 s[0:1], s[2:3]
	s_cbranch_execnz .LBB111_129
.LBB111_60:
	s_or_b64 exec, exec, s[0:1]
                                        ; implicit-def: $vgpr12_vgpr13
	s_and_saveexec_b64 s[0:1], s[26:27]
	s_cbranch_execnz .LBB111_130
.LBB111_61:
	s_or_b64 exec, exec, s[0:1]
                                        ; implicit-def: $vgpr14_vgpr15
	s_and_saveexec_b64 s[0:1], s[8:9]
	s_cbranch_execnz .LBB111_131
.LBB111_62:
	s_or_b64 exec, exec, s[0:1]
                                        ; implicit-def: $vgpr16_vgpr17
	s_and_saveexec_b64 s[0:1], s[10:11]
	s_cbranch_execz .LBB111_64
.LBB111_63:
	global_load_dwordx2 v[16:17], v[18:19], off offset:2560
.LBB111_64:
	s_or_b64 exec, exec, s[0:1]
	v_mov_b32_e32 v20, 0
	v_mov_b32_e32 v35, 0
	s_and_saveexec_b64 s[0:1], s[14:15]
	s_cbranch_execz .LBB111_66
; %bb.65:
	ds_read_b64 v[18:19], v28 offset:2048
	s_waitcnt lgkmcnt(0)
	v_lshrrev_b64 v[18:19], s48, v[18:19]
	v_and_b32_e32 v35, s33, v18
.LBB111_66:
	s_or_b64 exec, exec, s[0:1]
	s_and_saveexec_b64 s[0:1], s[16:17]
	s_cbranch_execz .LBB111_68
; %bb.67:
	ds_read_b64 v[18:19], v28 offset:10240
	s_waitcnt lgkmcnt(0)
	v_lshrrev_b64 v[18:19], s48, v[18:19]
	v_and_b32_e32 v20, s33, v18
.LBB111_68:
	s_or_b64 exec, exec, s[0:1]
	v_mov_b32_e32 v18, 0
	v_mov_b32_e32 v34, 0
	s_and_saveexec_b64 s[0:1], s[18:19]
	s_cbranch_execz .LBB111_70
; %bb.69:
	ds_read_b64 v[36:37], v28 offset:18432
	s_waitcnt lgkmcnt(0)
	v_lshrrev_b64 v[36:37], s48, v[36:37]
	v_and_b32_e32 v34, s33, v36
.LBB111_70:
	s_or_b64 exec, exec, s[0:1]
	s_and_saveexec_b64 s[0:1], s[20:21]
	s_cbranch_execz .LBB111_72
; %bb.71:
	ds_read_b64 v[18:19], v28 offset:26624
	s_waitcnt lgkmcnt(0)
	v_lshrrev_b64 v[18:19], s48, v[18:19]
	v_and_b32_e32 v18, s33, v18
.LBB111_72:
	;; [unrolled: 20-line block ×3, first 2 shown]
	s_or_b64 exec, exec, s[0:1]
	s_barrier
	s_waitcnt vmcnt(0)
	ds_write_b64 v22, v[4:5] offset:2048
	ds_write_b64 v23, v[6:7] offset:2048
	;; [unrolled: 1-line block ×6, first 2 shown]
	s_waitcnt lgkmcnt(0)
	s_barrier
	s_and_saveexec_b64 s[0:1], s[14:15]
	s_cbranch_execnz .LBB111_132
; %bb.77:
	s_or_b64 exec, exec, s[0:1]
	s_and_saveexec_b64 s[0:1], s[16:17]
	s_cbranch_execnz .LBB111_133
.LBB111_78:
	s_or_b64 exec, exec, s[0:1]
	s_and_saveexec_b64 s[0:1], s[18:19]
	s_cbranch_execnz .LBB111_134
.LBB111_79:
	s_or_b64 exec, exec, s[0:1]
	s_and_saveexec_b64 s[0:1], s[20:21]
	s_cbranch_execnz .LBB111_135
.LBB111_80:
	s_or_b64 exec, exec, s[0:1]
	s_and_saveexec_b64 s[0:1], s[22:23]
	s_cbranch_execnz .LBB111_136
.LBB111_81:
	s_or_b64 exec, exec, s[0:1]
	s_and_saveexec_b64 s[0:1], s[24:25]
	s_cbranch_execz .LBB111_83
.LBB111_82:
	v_lshlrev_b32_e32 v3, 3, v3
	ds_read_b64 v[4:5], v3
	ds_read_b64 v[6:7], v28 offset:43008
	v_mov_b32_e32 v3, s43
	s_waitcnt lgkmcnt(1)
	v_lshlrev_b64 v[4:5], 3, v[4:5]
	v_add_co_u32_e32 v4, vcc, s42, v4
	v_addc_co_u32_e32 v3, vcc, v3, v5, vcc
	v_add_co_u32_e32 v4, vcc, v4, v33
	v_addc_co_u32_e32 v5, vcc, 0, v3, vcc
	s_waitcnt lgkmcnt(0)
	global_store_dwordx2 v[4:5], v[6:7], off
.LBB111_83:
	s_or_b64 exec, exec, s[0:1]
	s_add_i32 s7, s7, -1
	s_cmp_eq_u32 s6, s7
	s_cselect_b64 s[0:1], -1, 0
	s_and_b64 s[2:3], s[12:13], s[0:1]
	s_mov_b64 s[0:1], 0
	s_mov_b64 s[10:11], 0
                                        ; implicit-def: $vgpr4_vgpr5
	s_and_saveexec_b64 s[8:9], s[2:3]
	s_xor_b64 s[2:3], exec, s[8:9]
; %bb.84:
	v_add_co_u32_e32 v4, vcc, v8, v21
	s_mov_b64 s[10:11], exec
	v_mov_b32_e32 v3, 0
	v_addc_co_u32_e32 v5, vcc, 0, v9, vcc
; %bb.85:
	s_or_b64 exec, exec, s[2:3]
	s_and_b64 vcc, exec, s[0:1]
	s_cbranch_vccnz .LBB111_87
	s_branch .LBB111_124
.LBB111_86:
	s_mov_b64 s[10:11], 0
                                        ; implicit-def: $vgpr4_vgpr5
                                        ; implicit-def: $vgpr2_vgpr3
	s_cbranch_execz .LBB111_124
.LBB111_87:
	s_mov_b32 s35, 0
	s_lshl_b64 s[12:13], s[34:35], 3
	v_mbcnt_hi_u32_b32 v3, -1, v1
	s_add_u32 s0, s36, s12
	v_lshlrev_b32_e32 v18, 3, v3
	v_add_co_u32_e32 v5, vcc, s0, v18
	s_load_dword s7, s[4:5], 0x50
	s_load_dword s0, s[4:5], 0x5c
	v_and_b32_e32 v2, 0x3ff, v0
	s_addc_u32 s1, s37, s13
	v_and_b32_e32 v1, 0x3c0, v2
	v_mul_u32_u24_e32 v1, 6, v1
	v_mov_b32_e32 v4, s1
	v_addc_co_u32_e32 v4, vcc, 0, v4, vcc
	v_lshlrev_b32_e32 v19, 3, v1
	s_add_u32 s1, s4, 0x50
	v_add_co_u32_e32 v16, vcc, v5, v19
	s_addc_u32 s2, s5, 0
	s_waitcnt lgkmcnt(0)
	s_lshr_b32 s3, s0, 16
	v_addc_co_u32_e32 v17, vcc, 0, v4, vcc
	s_cmp_lt_u32 s6, s7
	global_load_dwordx2 v[22:23], v[16:17], off
	s_cselect_b32 s0, 12, 18
	s_add_u32 s0, s1, s0
	v_mov_b32_e32 v6, 0
	s_addc_u32 s1, s2, 0
	global_load_ushort v7, v6, s[0:1]
	v_mul_u32_u24_e32 v4, 5, v2
	v_lshlrev_b32_e32 v20, 2, v4
	ds_write2_b32 v20, v6, v6 offset0:16 offset1:17
	ds_write2_b32 v20, v6, v6 offset0:18 offset1:19
	ds_write_b32 v20, v6 offset:80
	global_load_dwordx2 v[4:5], v[16:17], off offset:512
	global_load_dwordx2 v[14:15], v[16:17], off offset:1024
	;; [unrolled: 1-line block ×5, first 2 shown]
	v_bfe_u32 v1, v0, 10, 10
	v_bfe_u32 v0, v0, 20, 10
	v_mad_u32_u24 v21, v0, s3, v1
	s_lshl_b32 s0, -1, s49
	s_not_b32 s16, s0
	s_waitcnt lgkmcnt(0)
	s_barrier
	s_waitcnt lgkmcnt(0)
	; wave barrier
	s_waitcnt vmcnt(6)
	v_xor_b32_e32 v1, 0x7fffffff, v23
	v_not_b32_e32 v0, v22
	v_lshrrev_b64 v[16:17], s48, v[0:1]
	v_and_b32_e32 v22, s16, v16
	s_waitcnt vmcnt(5)
	v_mad_u64_u32 v[16:17], s[0:1], v21, v7, v[2:3]
	v_and_b32_e32 v21, 1, v22
	v_lshrrev_b32_e32 v27, 6, v16
	v_add_co_u32_e32 v16, vcc, -1, v21
	v_lshlrev_b32_e32 v7, 30, v22
	v_addc_co_u32_e64 v23, s[0:1], 0, -1, vcc
	v_lshl_add_u32 v17, v22, 4, v22
	v_cmp_ne_u32_e32 vcc, 0, v21
	v_cmp_gt_i64_e64 s[0:1], 0, v[6:7]
	v_not_b32_e32 v24, v7
	v_lshlrev_b32_e32 v7, 29, v22
	v_add_lshl_u32 v21, v27, v17, 2
	v_xor_b32_e32 v17, vcc_hi, v23
	v_xor_b32_e32 v16, vcc_lo, v16
	v_ashrrev_i32_e32 v23, 31, v24
	v_cmp_gt_i64_e32 vcc, 0, v[6:7]
	v_not_b32_e32 v24, v7
	v_lshlrev_b32_e32 v7, 28, v22
	v_and_b32_e32 v17, exec_hi, v17
	v_and_b32_e32 v16, exec_lo, v16
	v_xor_b32_e32 v25, s1, v23
	v_xor_b32_e32 v23, s0, v23
	v_ashrrev_i32_e32 v24, 31, v24
	v_cmp_gt_i64_e64 s[0:1], 0, v[6:7]
	v_not_b32_e32 v26, v7
	v_lshlrev_b32_e32 v7, 27, v22
	v_and_b32_e32 v17, v17, v25
	v_and_b32_e32 v16, v16, v23
	v_xor_b32_e32 v23, vcc_hi, v24
	v_xor_b32_e32 v24, vcc_lo, v24
	v_ashrrev_i32_e32 v25, 31, v26
	v_cmp_gt_i64_e32 vcc, 0, v[6:7]
	v_not_b32_e32 v7, v7
	v_and_b32_e32 v17, v17, v23
	v_and_b32_e32 v16, v16, v24
	v_xor_b32_e32 v23, s1, v25
	v_xor_b32_e32 v24, s0, v25
	v_ashrrev_i32_e32 v7, 31, v7
	v_and_b32_e32 v17, v17, v23
	v_and_b32_e32 v16, v16, v24
	v_xor_b32_e32 v23, vcc_hi, v7
	v_xor_b32_e32 v7, vcc_lo, v7
	v_and_b32_e32 v16, v16, v7
	v_lshlrev_b32_e32 v7, 26, v22
	v_cmp_gt_i64_e32 vcc, 0, v[6:7]
	v_not_b32_e32 v7, v7
	v_ashrrev_i32_e32 v7, 31, v7
	v_and_b32_e32 v17, v17, v23
	v_xor_b32_e32 v23, vcc_hi, v7
	v_xor_b32_e32 v7, vcc_lo, v7
	v_and_b32_e32 v16, v16, v7
	v_lshlrev_b32_e32 v7, 25, v22
	v_cmp_gt_i64_e32 vcc, 0, v[6:7]
	v_not_b32_e32 v7, v7
	v_ashrrev_i32_e32 v7, 31, v7
	;; [unrolled: 8-line block ×3, first 2 shown]
	v_xor_b32_e32 v22, vcc_hi, v7
	v_xor_b32_e32 v7, vcc_lo, v7
	v_and_b32_e32 v17, v17, v23
	v_and_b32_e32 v16, v16, v7
	;; [unrolled: 1-line block ×3, first 2 shown]
	v_mbcnt_lo_u32_b32 v7, v16, 0
	v_mbcnt_hi_u32_b32 v22, v17, v7
	v_cmp_eq_u32_e32 vcc, 0, v22
	v_cmp_ne_u64_e64 s[0:1], 0, v[16:17]
	s_and_b64 s[2:3], s[0:1], vcc
	s_and_saveexec_b64 s[0:1], s[2:3]
	s_cbranch_execz .LBB111_89
; %bb.88:
	v_bcnt_u32_b32 v7, v16, 0
	v_bcnt_u32_b32 v7, v17, v7
	ds_write_b32 v21, v7 offset:64
.LBB111_89:
	s_or_b64 exec, exec, s[0:1]
	s_waitcnt vmcnt(4)
	v_xor_b32_e32 v5, 0x7fffffff, v5
	v_not_b32_e32 v4, v4
	v_lshrrev_b64 v[16:17], s48, v[4:5]
	v_and_b32_e32 v16, s16, v16
	v_lshl_add_u32 v7, v16, 4, v16
	v_add_lshl_u32 v24, v27, v7, 2
	v_and_b32_e32 v7, 1, v16
	v_add_co_u32_e32 v17, vcc, -1, v7
	v_addc_co_u32_e64 v25, s[0:1], 0, -1, vcc
	v_cmp_ne_u32_e32 vcc, 0, v7
	v_xor_b32_e32 v7, vcc_hi, v25
	v_and_b32_e32 v25, exec_hi, v7
	v_lshlrev_b32_e32 v7, 30, v16
	v_xor_b32_e32 v17, vcc_lo, v17
	v_cmp_gt_i64_e32 vcc, 0, v[6:7]
	v_not_b32_e32 v7, v7
	v_ashrrev_i32_e32 v7, 31, v7
	v_and_b32_e32 v17, exec_lo, v17
	v_xor_b32_e32 v26, vcc_hi, v7
	v_xor_b32_e32 v7, vcc_lo, v7
	v_and_b32_e32 v17, v17, v7
	v_lshlrev_b32_e32 v7, 29, v16
	v_cmp_gt_i64_e32 vcc, 0, v[6:7]
	v_not_b32_e32 v7, v7
	v_ashrrev_i32_e32 v7, 31, v7
	v_and_b32_e32 v25, v25, v26
	v_xor_b32_e32 v26, vcc_hi, v7
	v_xor_b32_e32 v7, vcc_lo, v7
	v_and_b32_e32 v17, v17, v7
	v_lshlrev_b32_e32 v7, 28, v16
	v_cmp_gt_i64_e32 vcc, 0, v[6:7]
	v_not_b32_e32 v7, v7
	v_ashrrev_i32_e32 v7, 31, v7
	v_and_b32_e32 v25, v25, v26
	;; [unrolled: 8-line block ×5, first 2 shown]
	v_xor_b32_e32 v26, vcc_hi, v7
	v_xor_b32_e32 v7, vcc_lo, v7
	v_and_b32_e32 v17, v17, v7
	v_lshlrev_b32_e32 v7, 24, v16
	v_cmp_gt_i64_e32 vcc, 0, v[6:7]
	v_not_b32_e32 v6, v7
	v_ashrrev_i32_e32 v6, 31, v6
	v_xor_b32_e32 v7, vcc_hi, v6
	v_xor_b32_e32 v6, vcc_lo, v6
	; wave barrier
	ds_read_b32 v23, v24 offset:64
	v_and_b32_e32 v25, v25, v26
	v_and_b32_e32 v6, v17, v6
	;; [unrolled: 1-line block ×3, first 2 shown]
	v_mbcnt_lo_u32_b32 v16, v6, 0
	v_mbcnt_hi_u32_b32 v25, v7, v16
	v_cmp_eq_u32_e32 vcc, 0, v25
	v_cmp_ne_u64_e64 s[0:1], 0, v[6:7]
	s_and_b64 s[2:3], s[0:1], vcc
	; wave barrier
	s_and_saveexec_b64 s[0:1], s[2:3]
	s_cbranch_execz .LBB111_91
; %bb.90:
	v_bcnt_u32_b32 v6, v6, 0
	v_bcnt_u32_b32 v6, v7, v6
	s_waitcnt lgkmcnt(0)
	v_add_u32_e32 v6, v23, v6
	ds_write_b32 v24, v6 offset:64
.LBB111_91:
	s_or_b64 exec, exec, s[0:1]
	s_waitcnt vmcnt(3)
	v_xor_b32_e32 v7, 0x7fffffff, v15
	v_not_b32_e32 v6, v14
	v_lshrrev_b64 v[14:15], s48, v[6:7]
	v_and_b32_e32 v16, s16, v14
	v_and_b32_e32 v15, 1, v16
	v_add_co_u32_e32 v17, vcc, -1, v15
	v_addc_co_u32_e64 v29, s[0:1], 0, -1, vcc
	v_cmp_ne_u32_e32 vcc, 0, v15
	v_lshl_add_u32 v14, v16, 4, v16
	v_xor_b32_e32 v15, vcc_hi, v29
	v_add_lshl_u32 v28, v27, v14, 2
	v_mov_b32_e32 v14, 0
	v_and_b32_e32 v29, exec_hi, v15
	v_lshlrev_b32_e32 v15, 30, v16
	v_xor_b32_e32 v17, vcc_lo, v17
	v_cmp_gt_i64_e32 vcc, 0, v[14:15]
	v_not_b32_e32 v15, v15
	v_ashrrev_i32_e32 v15, 31, v15
	v_and_b32_e32 v17, exec_lo, v17
	v_xor_b32_e32 v30, vcc_hi, v15
	v_xor_b32_e32 v15, vcc_lo, v15
	v_and_b32_e32 v17, v17, v15
	v_lshlrev_b32_e32 v15, 29, v16
	v_cmp_gt_i64_e32 vcc, 0, v[14:15]
	v_not_b32_e32 v15, v15
	v_ashrrev_i32_e32 v15, 31, v15
	v_and_b32_e32 v29, v29, v30
	v_xor_b32_e32 v30, vcc_hi, v15
	v_xor_b32_e32 v15, vcc_lo, v15
	v_and_b32_e32 v17, v17, v15
	v_lshlrev_b32_e32 v15, 28, v16
	v_cmp_gt_i64_e32 vcc, 0, v[14:15]
	v_not_b32_e32 v15, v15
	v_ashrrev_i32_e32 v15, 31, v15
	v_and_b32_e32 v29, v29, v30
	;; [unrolled: 8-line block ×5, first 2 shown]
	v_xor_b32_e32 v30, vcc_hi, v15
	v_xor_b32_e32 v15, vcc_lo, v15
	v_and_b32_e32 v29, v29, v30
	v_and_b32_e32 v30, v17, v15
	v_lshlrev_b32_e32 v15, 24, v16
	v_cmp_gt_i64_e32 vcc, 0, v[14:15]
	v_not_b32_e32 v15, v15
	v_ashrrev_i32_e32 v15, 31, v15
	v_xor_b32_e32 v16, vcc_hi, v15
	v_xor_b32_e32 v15, vcc_lo, v15
	; wave barrier
	ds_read_b32 v26, v28 offset:64
	v_and_b32_e32 v17, v29, v16
	v_and_b32_e32 v16, v30, v15
	v_mbcnt_lo_u32_b32 v15, v16, 0
	v_mbcnt_hi_u32_b32 v29, v17, v15
	v_cmp_eq_u32_e32 vcc, 0, v29
	v_cmp_ne_u64_e64 s[0:1], 0, v[16:17]
	s_and_b64 s[2:3], s[0:1], vcc
	; wave barrier
	s_and_saveexec_b64 s[0:1], s[2:3]
	s_cbranch_execz .LBB111_93
; %bb.92:
	v_bcnt_u32_b32 v15, v16, 0
	v_bcnt_u32_b32 v15, v17, v15
	s_waitcnt lgkmcnt(0)
	v_add_u32_e32 v15, v26, v15
	ds_write_b32 v28, v15 offset:64
.LBB111_93:
	s_or_b64 exec, exec, s[0:1]
	s_waitcnt vmcnt(2)
	v_xor_b32_e32 v11, 0x7fffffff, v11
	v_not_b32_e32 v10, v10
	v_lshrrev_b64 v[16:17], s48, v[10:11]
	v_and_b32_e32 v16, s16, v16
	v_lshl_add_u32 v15, v16, 4, v16
	v_add_lshl_u32 v31, v27, v15, 2
	v_and_b32_e32 v15, 1, v16
	v_add_co_u32_e32 v17, vcc, -1, v15
	v_addc_co_u32_e64 v32, s[0:1], 0, -1, vcc
	v_cmp_ne_u32_e32 vcc, 0, v15
	v_xor_b32_e32 v15, vcc_hi, v32
	v_and_b32_e32 v32, exec_hi, v15
	v_lshlrev_b32_e32 v15, 30, v16
	v_xor_b32_e32 v17, vcc_lo, v17
	v_cmp_gt_i64_e32 vcc, 0, v[14:15]
	v_not_b32_e32 v15, v15
	v_ashrrev_i32_e32 v15, 31, v15
	v_and_b32_e32 v17, exec_lo, v17
	v_xor_b32_e32 v33, vcc_hi, v15
	v_xor_b32_e32 v15, vcc_lo, v15
	v_and_b32_e32 v17, v17, v15
	v_lshlrev_b32_e32 v15, 29, v16
	v_cmp_gt_i64_e32 vcc, 0, v[14:15]
	v_not_b32_e32 v15, v15
	v_ashrrev_i32_e32 v15, 31, v15
	v_and_b32_e32 v32, v32, v33
	v_xor_b32_e32 v33, vcc_hi, v15
	v_xor_b32_e32 v15, vcc_lo, v15
	v_and_b32_e32 v17, v17, v15
	v_lshlrev_b32_e32 v15, 28, v16
	v_cmp_gt_i64_e32 vcc, 0, v[14:15]
	v_not_b32_e32 v15, v15
	v_ashrrev_i32_e32 v15, 31, v15
	v_and_b32_e32 v32, v32, v33
	;; [unrolled: 8-line block ×5, first 2 shown]
	v_xor_b32_e32 v33, vcc_hi, v15
	v_xor_b32_e32 v15, vcc_lo, v15
	v_and_b32_e32 v17, v17, v15
	v_lshlrev_b32_e32 v15, 24, v16
	v_cmp_gt_i64_e32 vcc, 0, v[14:15]
	v_not_b32_e32 v14, v15
	v_ashrrev_i32_e32 v14, 31, v14
	v_xor_b32_e32 v15, vcc_hi, v14
	v_xor_b32_e32 v14, vcc_lo, v14
	; wave barrier
	ds_read_b32 v30, v31 offset:64
	v_and_b32_e32 v32, v32, v33
	v_and_b32_e32 v14, v17, v14
	;; [unrolled: 1-line block ×3, first 2 shown]
	v_mbcnt_lo_u32_b32 v16, v14, 0
	v_mbcnt_hi_u32_b32 v32, v15, v16
	v_cmp_eq_u32_e32 vcc, 0, v32
	v_cmp_ne_u64_e64 s[0:1], 0, v[14:15]
	s_and_b64 s[2:3], s[0:1], vcc
	; wave barrier
	s_and_saveexec_b64 s[0:1], s[2:3]
	s_cbranch_execz .LBB111_95
; %bb.94:
	v_bcnt_u32_b32 v14, v14, 0
	v_bcnt_u32_b32 v14, v15, v14
	s_waitcnt lgkmcnt(0)
	v_add_u32_e32 v14, v30, v14
	ds_write_b32 v31, v14 offset:64
.LBB111_95:
	s_or_b64 exec, exec, s[0:1]
	s_waitcnt vmcnt(1)
	v_xor_b32_e32 v13, 0x7fffffff, v13
	v_not_b32_e32 v12, v12
	v_lshrrev_b64 v[14:15], s48, v[12:13]
	v_and_b32_e32 v14, s16, v14
	v_lshl_add_u32 v15, v14, 4, v14
	v_add_lshl_u32 v34, v27, v15, 2
	v_and_b32_e32 v15, 1, v14
	v_add_co_u32_e32 v17, vcc, -1, v15
	v_addc_co_u32_e64 v35, s[0:1], 0, -1, vcc
	v_cmp_ne_u32_e32 vcc, 0, v15
	v_xor_b32_e32 v17, vcc_lo, v17
	v_mov_b32_e32 v16, 0
	v_xor_b32_e32 v15, vcc_hi, v35
	v_and_b32_e32 v35, exec_lo, v17
	v_lshlrev_b32_e32 v17, 30, v14
	v_cmp_gt_i64_e32 vcc, 0, v[16:17]
	v_not_b32_e32 v17, v17
	v_ashrrev_i32_e32 v17, 31, v17
	v_xor_b32_e32 v36, vcc_hi, v17
	v_xor_b32_e32 v17, vcc_lo, v17
	v_and_b32_e32 v35, v35, v17
	v_lshlrev_b32_e32 v17, 29, v14
	v_cmp_gt_i64_e32 vcc, 0, v[16:17]
	v_not_b32_e32 v17, v17
	v_and_b32_e32 v15, exec_hi, v15
	v_ashrrev_i32_e32 v17, 31, v17
	v_and_b32_e32 v15, v15, v36
	v_xor_b32_e32 v36, vcc_hi, v17
	v_xor_b32_e32 v17, vcc_lo, v17
	v_and_b32_e32 v35, v35, v17
	v_lshlrev_b32_e32 v17, 28, v14
	v_cmp_gt_i64_e32 vcc, 0, v[16:17]
	v_not_b32_e32 v17, v17
	v_ashrrev_i32_e32 v17, 31, v17
	v_and_b32_e32 v15, v15, v36
	v_xor_b32_e32 v36, vcc_hi, v17
	v_xor_b32_e32 v17, vcc_lo, v17
	v_and_b32_e32 v35, v35, v17
	v_lshlrev_b32_e32 v17, 27, v14
	v_cmp_gt_i64_e32 vcc, 0, v[16:17]
	v_not_b32_e32 v17, v17
	;; [unrolled: 8-line block ×4, first 2 shown]
	v_ashrrev_i32_e32 v17, 31, v17
	v_and_b32_e32 v15, v15, v36
	v_xor_b32_e32 v36, vcc_hi, v17
	v_xor_b32_e32 v17, vcc_lo, v17
	v_and_b32_e32 v35, v35, v17
	v_lshlrev_b32_e32 v17, 24, v14
	v_not_b32_e32 v14, v17
	v_cmp_gt_i64_e32 vcc, 0, v[16:17]
	v_ashrrev_i32_e32 v14, 31, v14
	v_xor_b32_e32 v17, vcc_hi, v14
	v_xor_b32_e32 v14, vcc_lo, v14
	; wave barrier
	ds_read_b32 v33, v34 offset:64
	v_and_b32_e32 v15, v15, v36
	v_and_b32_e32 v14, v35, v14
	;; [unrolled: 1-line block ×3, first 2 shown]
	v_mbcnt_lo_u32_b32 v17, v14, 0
	v_mbcnt_hi_u32_b32 v35, v15, v17
	v_cmp_eq_u32_e32 vcc, 0, v35
	v_cmp_ne_u64_e64 s[0:1], 0, v[14:15]
	s_and_b64 s[2:3], s[0:1], vcc
	; wave barrier
	s_and_saveexec_b64 s[0:1], s[2:3]
	s_cbranch_execz .LBB111_97
; %bb.96:
	v_bcnt_u32_b32 v14, v14, 0
	v_bcnt_u32_b32 v14, v15, v14
	s_waitcnt lgkmcnt(0)
	v_add_u32_e32 v14, v33, v14
	ds_write_b32 v34, v14 offset:64
.LBB111_97:
	s_or_b64 exec, exec, s[0:1]
	s_waitcnt vmcnt(0)
	v_xor_b32_e32 v15, 0x7fffffff, v9
	v_not_b32_e32 v14, v8
	v_lshrrev_b64 v[8:9], s48, v[14:15]
	v_and_b32_e32 v8, s16, v8
	v_lshl_add_u32 v9, v8, 4, v8
	v_add_lshl_u32 v37, v27, v9, 2
	v_and_b32_e32 v9, 1, v8
	v_add_co_u32_e32 v17, vcc, -1, v9
	v_addc_co_u32_e64 v38, s[0:1], 0, -1, vcc
	v_cmp_ne_u32_e32 vcc, 0, v9
	v_xor_b32_e32 v17, vcc_lo, v17
	v_xor_b32_e32 v9, vcc_hi, v38
	v_and_b32_e32 v38, exec_lo, v17
	v_lshlrev_b32_e32 v17, 30, v8
	v_cmp_gt_i64_e32 vcc, 0, v[16:17]
	v_not_b32_e32 v17, v17
	v_ashrrev_i32_e32 v17, 31, v17
	v_xor_b32_e32 v39, vcc_hi, v17
	v_xor_b32_e32 v17, vcc_lo, v17
	v_and_b32_e32 v38, v38, v17
	v_lshlrev_b32_e32 v17, 29, v8
	v_cmp_gt_i64_e32 vcc, 0, v[16:17]
	v_not_b32_e32 v17, v17
	v_and_b32_e32 v9, exec_hi, v9
	v_ashrrev_i32_e32 v17, 31, v17
	v_and_b32_e32 v9, v9, v39
	v_xor_b32_e32 v39, vcc_hi, v17
	v_xor_b32_e32 v17, vcc_lo, v17
	v_and_b32_e32 v38, v38, v17
	v_lshlrev_b32_e32 v17, 28, v8
	v_cmp_gt_i64_e32 vcc, 0, v[16:17]
	v_not_b32_e32 v17, v17
	v_ashrrev_i32_e32 v17, 31, v17
	v_and_b32_e32 v9, v9, v39
	v_xor_b32_e32 v39, vcc_hi, v17
	v_xor_b32_e32 v17, vcc_lo, v17
	v_and_b32_e32 v38, v38, v17
	v_lshlrev_b32_e32 v17, 27, v8
	v_cmp_gt_i64_e32 vcc, 0, v[16:17]
	v_not_b32_e32 v17, v17
	;; [unrolled: 8-line block ×4, first 2 shown]
	v_ashrrev_i32_e32 v17, 31, v17
	v_and_b32_e32 v9, v9, v39
	v_xor_b32_e32 v39, vcc_hi, v17
	v_xor_b32_e32 v17, vcc_lo, v17
	v_and_b32_e32 v38, v38, v17
	v_lshlrev_b32_e32 v17, 24, v8
	v_not_b32_e32 v8, v17
	v_cmp_gt_i64_e32 vcc, 0, v[16:17]
	v_ashrrev_i32_e32 v8, 31, v8
	v_xor_b32_e32 v16, vcc_hi, v8
	v_xor_b32_e32 v8, vcc_lo, v8
	; wave barrier
	ds_read_b32 v27, v37 offset:64
	v_and_b32_e32 v9, v9, v39
	v_and_b32_e32 v8, v38, v8
	;; [unrolled: 1-line block ×3, first 2 shown]
	v_mbcnt_lo_u32_b32 v16, v8, 0
	v_mbcnt_hi_u32_b32 v38, v9, v16
	v_cmp_eq_u32_e32 vcc, 0, v38
	v_cmp_ne_u64_e64 s[0:1], 0, v[8:9]
	v_add_u32_e32 v36, 64, v20
	s_and_b64 s[2:3], s[0:1], vcc
	; wave barrier
	s_and_saveexec_b64 s[0:1], s[2:3]
	s_cbranch_execz .LBB111_99
; %bb.98:
	v_bcnt_u32_b32 v8, v8, 0
	v_bcnt_u32_b32 v8, v9, v8
	s_waitcnt lgkmcnt(0)
	v_add_u32_e32 v8, v27, v8
	ds_write_b32 v37, v8 offset:64
.LBB111_99:
	s_or_b64 exec, exec, s[0:1]
	; wave barrier
	s_waitcnt lgkmcnt(0)
	s_barrier
	ds_read2_b32 v[16:17], v20 offset0:16 offset1:17
	ds_read2_b32 v[8:9], v36 offset0:2 offset1:3
	ds_read_b32 v39, v36 offset:16
	v_cmp_lt_u32_e64 s[8:9], 31, v3
	s_waitcnt lgkmcnt(1)
	v_add3_u32 v40, v17, v16, v8
	s_waitcnt lgkmcnt(0)
	v_add3_u32 v39, v40, v9, v39
	v_and_b32_e32 v40, 15, v3
	v_cmp_eq_u32_e32 vcc, 0, v40
	v_mov_b32_dpp v41, v39 row_shr:1 row_mask:0xf bank_mask:0xf
	v_cndmask_b32_e64 v41, v41, 0, vcc
	v_add_u32_e32 v39, v41, v39
	v_cmp_lt_u32_e64 s[0:1], 1, v40
	v_cmp_lt_u32_e64 s[2:3], 3, v40
	v_mov_b32_dpp v41, v39 row_shr:2 row_mask:0xf bank_mask:0xf
	v_cndmask_b32_e64 v41, 0, v41, s[0:1]
	v_add_u32_e32 v39, v39, v41
	v_cmp_lt_u32_e64 s[4:5], 7, v40
	s_nop 0
	v_mov_b32_dpp v41, v39 row_shr:4 row_mask:0xf bank_mask:0xf
	v_cndmask_b32_e64 v41, 0, v41, s[2:3]
	v_add_u32_e32 v39, v39, v41
	s_nop 1
	v_mov_b32_dpp v41, v39 row_shr:8 row_mask:0xf bank_mask:0xf
	v_cndmask_b32_e64 v40, 0, v41, s[4:5]
	v_add_u32_e32 v39, v39, v40
	v_bfe_i32 v41, v3, 4, 1
	s_nop 0
	v_mov_b32_dpp v40, v39 row_bcast:15 row_mask:0xf bank_mask:0xf
	v_and_b32_e32 v40, v41, v40
	v_add_u32_e32 v39, v39, v40
	v_and_b32_e32 v41, 63, v2
	s_nop 0
	v_mov_b32_dpp v40, v39 row_bcast:31 row_mask:0xf bank_mask:0xf
	v_cndmask_b32_e64 v40, 0, v40, s[8:9]
	v_add_u32_e32 v39, v39, v40
	v_lshrrev_b32_e32 v40, 6, v2
	v_cmp_eq_u32_e64 s[8:9], 63, v41
	s_and_saveexec_b64 s[14:15], s[8:9]
	s_cbranch_execz .LBB111_101
; %bb.100:
	v_lshlrev_b32_e32 v41, 2, v40
	ds_write_b32 v41, v39
.LBB111_101:
	s_or_b64 exec, exec, s[14:15]
	v_cmp_gt_u32_e64 s[8:9], 16, v2
	s_waitcnt lgkmcnt(0)
	s_barrier
	s_and_saveexec_b64 s[14:15], s[8:9]
	s_cbranch_execz .LBB111_103
; %bb.102:
	v_lshlrev_b32_e32 v41, 2, v2
	ds_read_b32 v42, v41
	s_waitcnt lgkmcnt(0)
	s_nop 0
	v_mov_b32_dpp v43, v42 row_shr:1 row_mask:0xf bank_mask:0xf
	v_cndmask_b32_e64 v43, v43, 0, vcc
	v_add_u32_e32 v42, v43, v42
	s_nop 1
	v_mov_b32_dpp v43, v42 row_shr:2 row_mask:0xf bank_mask:0xf
	v_cndmask_b32_e64 v43, 0, v43, s[0:1]
	v_add_u32_e32 v42, v42, v43
	s_nop 1
	v_mov_b32_dpp v43, v42 row_shr:4 row_mask:0xf bank_mask:0xf
	v_cndmask_b32_e64 v43, 0, v43, s[2:3]
	;; [unrolled: 4-line block ×3, first 2 shown]
	v_add_u32_e32 v42, v42, v43
	ds_write_b32 v41, v42
.LBB111_103:
	s_or_b64 exec, exec, s[14:15]
	v_cmp_lt_u32_e32 vcc, 63, v2
	v_mov_b32_e32 v41, 0
	s_waitcnt lgkmcnt(0)
	s_barrier
	s_and_saveexec_b64 s[0:1], vcc
	s_cbranch_execz .LBB111_105
; %bb.104:
	v_lshl_add_u32 v40, v40, 2, -4
	ds_read_b32 v41, v40
.LBB111_105:
	s_or_b64 exec, exec, s[0:1]
	v_add_u32_e32 v40, -1, v3
	v_and_b32_e32 v42, 64, v3
	v_cmp_lt_i32_e32 vcc, v40, v42
	v_cndmask_b32_e32 v40, v40, v3, vcc
	s_waitcnt lgkmcnt(0)
	v_add_u32_e32 v39, v41, v39
	v_lshlrev_b32_e32 v40, 2, v40
	ds_bpermute_b32 v39, v40, v39
	v_cmp_eq_u32_e32 vcc, 0, v3
	s_movk_i32 s2, 0xff
	s_movk_i32 s3, 0x100
	v_cmp_lt_u32_e64 s[0:1], s2, v2
	s_waitcnt lgkmcnt(0)
	v_cndmask_b32_e32 v3, v39, v41, vcc
	v_cmp_ne_u32_e32 vcc, 0, v2
	v_cndmask_b32_e32 v3, 0, v3, vcc
	v_add_u32_e32 v16, v3, v16
	v_add_u32_e32 v17, v16, v17
	;; [unrolled: 1-line block ×4, first 2 shown]
	ds_write2_b32 v20, v3, v16 offset0:16 offset1:17
	ds_write2_b32 v36, v17, v8 offset0:2 offset1:3
	ds_write_b32 v36, v9 offset:16
	s_waitcnt lgkmcnt(0)
	s_barrier
	ds_read_b32 v17, v21 offset:64
	ds_read_b32 v20, v24 offset:64
	;; [unrolled: 1-line block ×6, first 2 shown]
	v_cmp_gt_u32_e32 vcc, s3, v2
	v_pk_mov_b32 v[8:9], 0, 0
                                        ; implicit-def: $vgpr16
	s_and_saveexec_b64 s[4:5], vcc
	s_cbranch_execz .LBB111_109
; %bb.106:
	v_mul_u32_u24_e32 v8, 17, v2
	v_lshlrev_b32_e32 v16, 2, v8
	ds_read_b32 v8, v16 offset:64
	v_cmp_ne_u32_e64 s[2:3], s2, v2
	v_mov_b32_e32 v9, 0x1800
	s_and_saveexec_b64 s[8:9], s[2:3]
	s_cbranch_execz .LBB111_108
; %bb.107:
	ds_read_b32 v9, v16 offset:132
.LBB111_108:
	s_or_b64 exec, exec, s[8:9]
	s_waitcnt lgkmcnt(0)
	v_sub_u32_e32 v16, v9, v8
	v_mov_b32_e32 v9, 0
.LBB111_109:
	s_or_b64 exec, exec, s[4:5]
	v_add_u32_e32 v30, v32, v30
	v_add_u32_e32 v26, v29, v26
	;; [unrolled: 1-line block ×5, first 2 shown]
	s_waitcnt lgkmcnt(5)
	v_add_lshl_u32 v17, v17, v22, 3
	s_waitcnt lgkmcnt(4)
	v_add_lshl_u32 v20, v23, v20, 3
	;; [unrolled: 2-line block ×4, first 2 shown]
	s_waitcnt lgkmcnt(0)
	s_barrier
	ds_write_b64 v17, v[0:1] offset:2048
	ds_write_b64 v20, v[4:5] offset:2048
	;; [unrolled: 1-line block ×4, first 2 shown]
	v_add_lshl_u32 v10, v31, v24, 3
	v_add_lshl_u32 v11, v27, v3, 3
	ds_write_b64 v10, v[12:13] offset:2048
	ds_write_b64 v11, v[14:15] offset:2048
	s_waitcnt lgkmcnt(0)
	s_barrier
	s_and_saveexec_b64 s[2:3], s[0:1]
	s_xor_b64 s[0:1], exec, s[2:3]
; %bb.110:
	v_mov_b32_e32 v3, 0
; %bb.111:
	s_andn2_saveexec_b64 s[2:3], s[0:1]
	s_cbranch_execz .LBB111_121
; %bb.112:
	v_lshl_or_b32 v0, s6, 8, v2
	v_mov_b32_e32 v1, 0
	v_lshlrev_b64 v[4:5], 2, v[0:1]
	v_mov_b32_e32 v3, s31
	v_add_co_u32_e64 v4, s[0:1], s30, v4
	v_addc_co_u32_e64 v5, s[0:1], v3, v5, s[0:1]
	v_or_b32_e32 v0, 2.0, v16
	s_mov_b64 s[4:5], 0
	s_brev_b32 s17, 1
	s_mov_b32 s18, s6
	v_mov_b32_e32 v12, 0
	global_store_dword v[4:5], v0, off
                                        ; implicit-def: $sgpr0_sgpr1
	s_branch .LBB111_115
.LBB111_113:                            ;   in Loop: Header=BB111_115 Depth=1
	s_or_b64 exec, exec, s[14:15]
.LBB111_114:                            ;   in Loop: Header=BB111_115 Depth=1
	s_or_b64 exec, exec, s[8:9]
	v_and_b32_e32 v6, 0x3fffffff, v13
	v_add_u32_e32 v12, v6, v12
	v_cmp_eq_u32_e64 s[0:1], s17, v0
	s_and_b64 s[8:9], exec, s[0:1]
	s_or_b64 s[4:5], s[8:9], s[4:5]
	s_andn2_b64 exec, exec, s[4:5]
	s_cbranch_execz .LBB111_120
.LBB111_115:                            ; =>This Loop Header: Depth=1
                                        ;     Child Loop BB111_118 Depth 2
	s_or_b64 s[0:1], s[0:1], exec
	s_cmp_eq_u32 s18, 0
	s_cbranch_scc1 .LBB111_119
; %bb.116:                              ;   in Loop: Header=BB111_115 Depth=1
	s_add_i32 s18, s18, -1
	v_lshl_or_b32 v0, s18, 8, v2
	v_lshlrev_b64 v[6:7], 2, v[0:1]
	v_add_co_u32_e64 v6, s[0:1], s30, v6
	v_addc_co_u32_e64 v7, s[0:1], v3, v7, s[0:1]
	global_load_dword v13, v[6:7], off glc
	s_waitcnt vmcnt(0)
	v_and_b32_e32 v0, -2.0, v13
	v_cmp_eq_u32_e64 s[0:1], 0, v0
	s_and_saveexec_b64 s[8:9], s[0:1]
	s_cbranch_execz .LBB111_114
; %bb.117:                              ;   in Loop: Header=BB111_115 Depth=1
	s_mov_b64 s[14:15], 0
.LBB111_118:                            ;   Parent Loop BB111_115 Depth=1
                                        ; =>  This Inner Loop Header: Depth=2
	global_load_dword v13, v[6:7], off glc
	s_waitcnt vmcnt(0)
	v_and_b32_e32 v0, -2.0, v13
	v_cmp_ne_u32_e64 s[0:1], 0, v0
	s_or_b64 s[14:15], s[0:1], s[14:15]
	s_andn2_b64 exec, exec, s[14:15]
	s_cbranch_execnz .LBB111_118
	s_branch .LBB111_113
.LBB111_119:                            ;   in Loop: Header=BB111_115 Depth=1
                                        ; implicit-def: $sgpr18
	s_and_b64 s[8:9], exec, s[0:1]
	s_or_b64 s[4:5], s[8:9], s[4:5]
	s_andn2_b64 exec, exec, s[4:5]
	s_cbranch_execnz .LBB111_115
.LBB111_120:
	s_or_b64 exec, exec, s[4:5]
	v_add_u32_e32 v0, v12, v16
	v_or_b32_e32 v0, 0x80000000, v0
	global_store_dword v[4:5], v0, off
	v_lshlrev_b32_e32 v4, 3, v2
	global_load_dwordx2 v[0:1], v4, s[44:45]
	v_sub_co_u32_e64 v5, s[0:1], v12, v8
	v_subb_co_u32_e64 v6, s[0:1], 0, v9, s[0:1]
	v_mov_b32_e32 v3, 0
	s_waitcnt vmcnt(0)
	v_add_co_u32_e64 v0, s[0:1], v5, v0
	v_addc_co_u32_e64 v1, s[0:1], v6, v1, s[0:1]
	ds_write_b64 v4, v[0:1]
.LBB111_121:
	s_or_b64 exec, exec, s[2:3]
	v_lshlrev_b32_e32 v4, 3, v2
	s_waitcnt lgkmcnt(0)
	s_barrier
	ds_read2st64_b64 v[12:15], v4 offset0:20 offset1:36
	v_lshlrev_b32_e32 v5, 3, v2
	ds_read2st64_b64 v[24:27], v4 offset0:52 offset1:68
	ds_read_b64 v[0:1], v5 offset:2048
	v_mov_b32_e32 v40, s39
	s_waitcnt lgkmcnt(2)
	v_lshrrev_b64 v[6:7], s48, v[14:15]
	v_and_b32_e32 v6, s16, v6
	v_lshlrev_b32_e32 v23, 3, v6
	s_waitcnt lgkmcnt(1)
	v_lshrrev_b64 v[6:7], s48, v[26:27]
	v_and_b32_e32 v6, s16, v6
	v_lshlrev_b32_e32 v42, 3, v6
	ds_read_b64 v[6:7], v42
	ds_read_b64 v[28:29], v23
	ds_read_b64 v[30:31], v4 offset:43008
	s_waitcnt lgkmcnt(3)
	v_lshrrev_b64 v[32:33], s48, v[0:1]
	v_and_b32_e32 v34, s16, v32
	v_xor_b32_e32 v33, 0x7fffffff, v1
	v_xor_b32_e32 v32, -1, v0
	v_lshrrev_b64 v[0:1], s48, v[12:13]
	v_and_b32_e32 v0, s16, v0
	v_lshlrev_b32_e32 v44, 3, v0
	v_lshrrev_b64 v[0:1], s48, v[24:25]
	v_and_b32_e32 v0, s16, v0
	v_lshlrev_b32_e32 v43, 3, v34
	v_lshlrev_b32_e32 v45, 3, v0
	s_waitcnt lgkmcnt(0)
	v_lshrrev_b64 v[0:1], s48, v[30:31]
	v_and_b32_e32 v34, s16, v0
	ds_read_b64 v[0:1], v43
	v_lshlrev_b32_e32 v46, 3, v34
	ds_read_b64 v[34:35], v44
	ds_read_b64 v[36:37], v45
	;; [unrolled: 1-line block ×3, first 2 shown]
	v_xor_b32_e32 v13, 0x7fffffff, v13
	v_xor_b32_e32 v12, -1, v12
	s_waitcnt lgkmcnt(3)
	v_lshlrev_b64 v[0:1], 3, v[0:1]
	v_add_co_u32_e64 v41, s[0:1], s38, v0
	v_addc_co_u32_e64 v47, s[0:1], v40, v1, s[0:1]
	v_lshlrev_b64 v[0:1], 3, v[2:3]
	v_add_co_u32_e64 v40, s[0:1], v41, v0
	v_addc_co_u32_e64 v41, s[0:1], v47, v1, s[0:1]
	global_store_dwordx2 v[40:41], v[32:33], off
	s_waitcnt lgkmcnt(2)
	v_lshlrev_b64 v[32:33], 3, v[34:35]
	v_mov_b32_e32 v34, s39
	v_add_co_u32_e64 v32, s[0:1], s38, v32
	v_addc_co_u32_e64 v33, s[0:1], v34, v33, s[0:1]
	v_or_b32_e32 v34, 0x2000, v4
	v_add_co_u32_e64 v32, s[0:1], v32, v34
	v_addc_co_u32_e64 v33, s[0:1], 0, v33, s[0:1]
	global_store_dwordx2 v[32:33], v[12:13], off
	v_xor_b32_e32 v13, 0x7fffffff, v15
	v_xor_b32_e32 v12, -1, v14
	v_lshlrev_b64 v[14:15], 3, v[28:29]
	v_mov_b32_e32 v28, s39
	v_add_co_u32_e64 v14, s[0:1], s38, v14
	v_addc_co_u32_e64 v15, s[0:1], v28, v15, s[0:1]
	v_or_b32_e32 v32, 0x4000, v4
	v_add_co_u32_e64 v14, s[0:1], v14, v32
	v_addc_co_u32_e64 v15, s[0:1], 0, v15, s[0:1]
	global_store_dwordx2 v[14:15], v[12:13], off
	s_waitcnt lgkmcnt(1)
	v_lshlrev_b64 v[14:15], 3, v[36:37]
	v_xor_b32_e32 v12, -1, v24
	v_mov_b32_e32 v24, s39
	v_add_co_u32_e64 v14, s[0:1], s38, v14
	v_addc_co_u32_e64 v15, s[0:1], v24, v15, s[0:1]
	v_or_b32_e32 v33, 0x6000, v4
	v_add_co_u32_e64 v14, s[0:1], v14, v33
	v_xor_b32_e32 v13, 0x7fffffff, v25
	v_addc_co_u32_e64 v15, s[0:1], 0, v15, s[0:1]
	v_lshlrev_b64 v[6:7], 3, v[6:7]
	global_store_dwordx2 v[14:15], v[12:13], off
	v_mov_b32_e32 v14, s39
	v_add_co_u32_e64 v6, s[0:1], s38, v6
	v_addc_co_u32_e64 v7, s[0:1], v14, v7, s[0:1]
	v_or_b32_e32 v35, 0x8000, v4
	v_add_co_u32_e64 v6, s[0:1], v6, v35
	v_xor_b32_e32 v13, 0x7fffffff, v27
	v_xor_b32_e32 v12, -1, v26
	v_addc_co_u32_e64 v7, s[0:1], 0, v7, s[0:1]
	global_store_dwordx2 v[6:7], v[12:13], off
	s_waitcnt lgkmcnt(0)
	v_lshlrev_b64 v[12:13], 3, v[38:39]
	v_add_co_u32_e64 v12, s[0:1], s38, v12
	v_xor_b32_e32 v6, -1, v30
	v_addc_co_u32_e64 v13, s[0:1], v14, v13, s[0:1]
	v_or_b32_e32 v30, 0xa000, v4
	v_add_co_u32_e64 v12, s[0:1], v12, v30
	v_addc_co_u32_e64 v13, s[0:1], 0, v13, s[0:1]
	s_add_u32 s0, s40, s12
	v_xor_b32_e32 v7, 0x7fffffff, v31
	s_addc_u32 s1, s41, s13
	global_store_dwordx2 v[12:13], v[6:7], off
	v_mov_b32_e32 v6, s1
	v_add_co_u32_e64 v7, s[0:1], s0, v18
	v_addc_co_u32_e64 v12, s[0:1], 0, v6, s[0:1]
	v_add_co_u32_e64 v6, s[0:1], v7, v19
	v_addc_co_u32_e64 v7, s[0:1], 0, v12, s[0:1]
	global_load_dwordx2 v[12:13], v[6:7], off
	global_load_dwordx2 v[14:15], v[6:7], off offset:512
	global_load_dwordx2 v[18:19], v[6:7], off offset:1024
	;; [unrolled: 1-line block ×5, first 2 shown]
	s_barrier
	s_add_i32 s7, s7, -1
	s_cmp_eq_u32 s6, s7
	s_waitcnt vmcnt(5)
	ds_write_b64 v17, v[12:13] offset:2048
	s_waitcnt vmcnt(4)
	ds_write_b64 v20, v[14:15] offset:2048
	;; [unrolled: 2-line block ×6, first 2 shown]
	s_waitcnt lgkmcnt(0)
	s_barrier
	ds_read_b64 v[6:7], v43
	ds_read_b64 v[10:11], v5 offset:2048
	ds_read_b64 v[14:15], v44
	ds_read_b64 v[18:19], v4 offset:43008
	v_mov_b32_e32 v5, s43
	s_waitcnt lgkmcnt(3)
	v_lshlrev_b64 v[6:7], 3, v[6:7]
	v_add_co_u32_e64 v6, s[0:1], s42, v6
	v_addc_co_u32_e64 v5, s[0:1], v5, v7, s[0:1]
	v_add_co_u32_e64 v0, s[0:1], v6, v0
	v_addc_co_u32_e64 v1, s[0:1], v5, v1, s[0:1]
	ds_read_b64 v[6:7], v23
	s_waitcnt lgkmcnt(3)
	global_store_dwordx2 v[0:1], v[10:11], off
	ds_read2st64_b64 v[10:13], v4 offset0:20 offset1:36
	s_waitcnt lgkmcnt(3)
	v_lshlrev_b64 v[0:1], 3, v[14:15]
	v_mov_b32_e32 v5, s43
	v_add_co_u32_e64 v0, s[0:1], s42, v0
	v_addc_co_u32_e64 v1, s[0:1], v5, v1, s[0:1]
	v_add_co_u32_e64 v0, s[0:1], v0, v34
	v_addc_co_u32_e64 v1, s[0:1], 0, v1, s[0:1]
	s_waitcnt lgkmcnt(1)
	v_lshlrev_b64 v[6:7], 3, v[6:7]
	s_waitcnt lgkmcnt(0)
	global_store_dwordx2 v[0:1], v[10:11], off
	v_add_co_u32_e64 v6, s[0:1], s42, v6
	ds_read_b64 v[0:1], v45
	ds_read_b64 v[10:11], v42
	;; [unrolled: 1-line block ×3, first 2 shown]
	v_addc_co_u32_e64 v5, s[0:1], v5, v7, s[0:1]
	v_add_co_u32_e64 v6, s[0:1], v6, v32
	v_addc_co_u32_e64 v7, s[0:1], 0, v5, s[0:1]
	global_store_dwordx2 v[6:7], v[12:13], off
	ds_read2st64_b64 v[4:7], v4 offset0:52 offset1:68
	s_waitcnt lgkmcnt(3)
	v_lshlrev_b64 v[0:1], 3, v[0:1]
	v_mov_b32_e32 v12, s43
	v_add_co_u32_e64 v0, s[0:1], s42, v0
	v_addc_co_u32_e64 v1, s[0:1], v12, v1, s[0:1]
	v_add_co_u32_e64 v0, s[0:1], v0, v33
	v_addc_co_u32_e64 v1, s[0:1], 0, v1, s[0:1]
	s_waitcnt lgkmcnt(0)
	global_store_dwordx2 v[0:1], v[4:5], off
	v_lshlrev_b64 v[0:1], 3, v[10:11]
	v_mov_b32_e32 v4, s43
	v_add_co_u32_e64 v0, s[0:1], s42, v0
	v_addc_co_u32_e64 v1, s[0:1], v4, v1, s[0:1]
	v_add_co_u32_e64 v0, s[0:1], v0, v35
	v_addc_co_u32_e64 v1, s[0:1], 0, v1, s[0:1]
	global_store_dwordx2 v[0:1], v[6:7], off
	v_lshlrev_b64 v[0:1], 3, v[14:15]
	v_add_co_u32_e64 v0, s[0:1], s42, v0
	v_addc_co_u32_e64 v1, s[0:1], v4, v1, s[0:1]
	v_add_co_u32_e64 v0, s[0:1], v0, v30
	v_addc_co_u32_e64 v1, s[0:1], 0, v1, s[0:1]
	s_cselect_b64 s[0:1], -1, 0
	s_and_b64 s[2:3], vcc, s[0:1]
	global_store_dwordx2 v[0:1], v[18:19], off
                                        ; implicit-def: $vgpr4_vgpr5
	s_and_saveexec_b64 s[0:1], s[2:3]
; %bb.122:
	v_add_co_u32_e32 v4, vcc, v8, v16
	v_addc_co_u32_e32 v5, vcc, 0, v9, vcc
	s_or_b64 s[10:11], s[10:11], exec
; %bb.123:
	s_or_b64 exec, exec, s[0:1]
.LBB111_124:
	s_and_saveexec_b64 s[0:1], s[10:11]
	s_cbranch_execnz .LBB111_126
; %bb.125:
	s_endpgm
.LBB111_126:
	v_lshlrev_b32_e32 v6, 3, v2
	v_lshlrev_b64 v[0:1], 3, v[2:3]
	ds_read_b64 v[2:3], v6
	v_mov_b32_e32 v7, s47
	v_add_co_u32_e32 v0, vcc, s46, v0
	v_addc_co_u32_e32 v1, vcc, v7, v1, vcc
	s_waitcnt lgkmcnt(0)
	v_add_co_u32_e32 v2, vcc, v2, v4
	v_addc_co_u32_e32 v3, vcc, v3, v5, vcc
	global_store_dwordx2 v[0:1], v[2:3], off
	s_endpgm
.LBB111_127:
	global_load_dwordx2 v[4:5], v[18:19], off
	s_or_b64 exec, exec, s[28:29]
                                        ; implicit-def: $vgpr6_vgpr7
	s_and_saveexec_b64 s[28:29], s[0:1]
	s_cbranch_execz .LBB111_59
.LBB111_128:
	global_load_dwordx2 v[6:7], v[18:19], off offset:512
	s_or_b64 exec, exec, s[28:29]
                                        ; implicit-def: $vgpr10_vgpr11
	s_and_saveexec_b64 s[0:1], s[2:3]
	s_cbranch_execz .LBB111_60
.LBB111_129:
	global_load_dwordx2 v[10:11], v[18:19], off offset:1024
	s_or_b64 exec, exec, s[0:1]
                                        ; implicit-def: $vgpr12_vgpr13
	s_and_saveexec_b64 s[0:1], s[26:27]
	s_cbranch_execz .LBB111_61
.LBB111_130:
	global_load_dwordx2 v[12:13], v[18:19], off offset:1536
	s_or_b64 exec, exec, s[0:1]
                                        ; implicit-def: $vgpr14_vgpr15
	s_and_saveexec_b64 s[0:1], s[8:9]
	s_cbranch_execz .LBB111_62
.LBB111_131:
	global_load_dwordx2 v[14:15], v[18:19], off offset:2048
	s_or_b64 exec, exec, s[0:1]
                                        ; implicit-def: $vgpr16_vgpr17
	s_and_saveexec_b64 s[0:1], s[10:11]
	s_cbranch_execnz .LBB111_63
	s_branch .LBB111_64
.LBB111_132:
	v_lshlrev_b32_e32 v4, 3, v35
	ds_read_b64 v[4:5], v4
	ds_read_b64 v[6:7], v28 offset:2048
	v_mov_b32_e32 v10, s43
	s_waitcnt lgkmcnt(1)
	v_lshlrev_b64 v[4:5], 3, v[4:5]
	v_add_co_u32_e32 v4, vcc, s42, v4
	v_addc_co_u32_e32 v5, vcc, v10, v5, vcc
	v_add_co_u32_e32 v4, vcc, v4, v28
	v_addc_co_u32_e32 v5, vcc, 0, v5, vcc
	s_waitcnt lgkmcnt(0)
	global_store_dwordx2 v[4:5], v[6:7], off
	s_or_b64 exec, exec, s[0:1]
	s_and_saveexec_b64 s[0:1], s[16:17]
	s_cbranch_execz .LBB111_78
.LBB111_133:
	v_lshlrev_b32_e32 v4, 3, v20
	ds_read_b64 v[4:5], v4
	ds_read_b64 v[6:7], v28 offset:10240
	v_mov_b32_e32 v10, s43
	s_waitcnt lgkmcnt(1)
	v_lshlrev_b64 v[4:5], 3, v[4:5]
	v_add_co_u32_e32 v4, vcc, s42, v4
	v_addc_co_u32_e32 v5, vcc, v10, v5, vcc
	v_add_co_u32_e32 v4, vcc, v4, v29
	v_addc_co_u32_e32 v5, vcc, 0, v5, vcc
	s_waitcnt lgkmcnt(0)
	global_store_dwordx2 v[4:5], v[6:7], off
	s_or_b64 exec, exec, s[0:1]
	s_and_saveexec_b64 s[0:1], s[18:19]
	s_cbranch_execz .LBB111_79
.LBB111_134:
	v_lshlrev_b32_e32 v4, 3, v34
	ds_read_b64 v[4:5], v4
	ds_read_b64 v[6:7], v28 offset:18432
	v_mov_b32_e32 v10, s43
	s_waitcnt lgkmcnt(1)
	v_lshlrev_b64 v[4:5], 3, v[4:5]
	v_add_co_u32_e32 v4, vcc, s42, v4
	v_addc_co_u32_e32 v5, vcc, v10, v5, vcc
	v_add_co_u32_e32 v4, vcc, v4, v30
	v_addc_co_u32_e32 v5, vcc, 0, v5, vcc
	s_waitcnt lgkmcnt(0)
	global_store_dwordx2 v[4:5], v[6:7], off
	s_or_b64 exec, exec, s[0:1]
	s_and_saveexec_b64 s[0:1], s[20:21]
	s_cbranch_execz .LBB111_80
.LBB111_135:
	v_lshlrev_b32_e32 v4, 3, v18
	ds_read_b64 v[4:5], v4
	ds_read_b64 v[6:7], v28 offset:26624
	v_mov_b32_e32 v10, s43
	s_waitcnt lgkmcnt(1)
	v_lshlrev_b64 v[4:5], 3, v[4:5]
	v_add_co_u32_e32 v4, vcc, s42, v4
	v_addc_co_u32_e32 v5, vcc, v10, v5, vcc
	v_add_co_u32_e32 v4, vcc, v4, v31
	v_addc_co_u32_e32 v5, vcc, 0, v5, vcc
	s_waitcnt lgkmcnt(0)
	global_store_dwordx2 v[4:5], v[6:7], off
	s_or_b64 exec, exec, s[0:1]
	s_and_saveexec_b64 s[0:1], s[22:23]
	s_cbranch_execz .LBB111_81
.LBB111_136:
	v_lshlrev_b32_e32 v4, 3, v19
	ds_read_b64 v[4:5], v4
	ds_read_b64 v[6:7], v28 offset:34816
	v_mov_b32_e32 v10, s43
	s_waitcnt lgkmcnt(1)
	v_lshlrev_b64 v[4:5], 3, v[4:5]
	v_add_co_u32_e32 v4, vcc, s42, v4
	v_addc_co_u32_e32 v5, vcc, v10, v5, vcc
	v_add_co_u32_e32 v4, vcc, v4, v32
	v_addc_co_u32_e32 v5, vcc, 0, v5, vcc
	s_waitcnt lgkmcnt(0)
	global_store_dwordx2 v[4:5], v[6:7], off
	s_or_b64 exec, exec, s[0:1]
	s_and_saveexec_b64 s[0:1], s[24:25]
	s_cbranch_execnz .LBB111_82
	s_branch .LBB111_83
	.section	.rodata,"a",@progbits
	.p2align	6, 0x0
	.amdhsa_kernel _ZN7rocprim17ROCPRIM_304000_NS6detail25onesweep_iteration_kernelINS1_34wrapped_radix_sort_onesweep_configINS0_14default_configElN2at4cuda3cub6detail10OpaqueTypeILi8EEEEELb1EPlSC_PSA_SD_mNS0_19identity_decomposerEEEvT1_T2_T3_T4_jPT5_SK_PNS1_23onesweep_lookback_stateET6_jjj
		.amdhsa_group_segment_fixed_size 51200
		.amdhsa_private_segment_fixed_size 0
		.amdhsa_kernarg_size 336
		.amdhsa_user_sgpr_count 6
		.amdhsa_user_sgpr_private_segment_buffer 1
		.amdhsa_user_sgpr_dispatch_ptr 0
		.amdhsa_user_sgpr_queue_ptr 0
		.amdhsa_user_sgpr_kernarg_segment_ptr 1
		.amdhsa_user_sgpr_dispatch_id 0
		.amdhsa_user_sgpr_flat_scratch_init 0
		.amdhsa_user_sgpr_kernarg_preload_length 0
		.amdhsa_user_sgpr_kernarg_preload_offset 0
		.amdhsa_user_sgpr_private_segment_size 0
		.amdhsa_uses_dynamic_stack 0
		.amdhsa_system_sgpr_private_segment_wavefront_offset 0
		.amdhsa_system_sgpr_workgroup_id_x 1
		.amdhsa_system_sgpr_workgroup_id_y 0
		.amdhsa_system_sgpr_workgroup_id_z 0
		.amdhsa_system_sgpr_workgroup_info 0
		.amdhsa_system_vgpr_workitem_id 2
		.amdhsa_next_free_vgpr 48
		.amdhsa_next_free_sgpr 54
		.amdhsa_accum_offset 48
		.amdhsa_reserve_vcc 1
		.amdhsa_reserve_flat_scratch 0
		.amdhsa_float_round_mode_32 0
		.amdhsa_float_round_mode_16_64 0
		.amdhsa_float_denorm_mode_32 3
		.amdhsa_float_denorm_mode_16_64 3
		.amdhsa_dx10_clamp 1
		.amdhsa_ieee_mode 1
		.amdhsa_fp16_overflow 0
		.amdhsa_tg_split 0
		.amdhsa_exception_fp_ieee_invalid_op 0
		.amdhsa_exception_fp_denorm_src 0
		.amdhsa_exception_fp_ieee_div_zero 0
		.amdhsa_exception_fp_ieee_overflow 0
		.amdhsa_exception_fp_ieee_underflow 0
		.amdhsa_exception_fp_ieee_inexact 0
		.amdhsa_exception_int_div_zero 0
	.end_amdhsa_kernel
	.section	.text._ZN7rocprim17ROCPRIM_304000_NS6detail25onesweep_iteration_kernelINS1_34wrapped_radix_sort_onesweep_configINS0_14default_configElN2at4cuda3cub6detail10OpaqueTypeILi8EEEEELb1EPlSC_PSA_SD_mNS0_19identity_decomposerEEEvT1_T2_T3_T4_jPT5_SK_PNS1_23onesweep_lookback_stateET6_jjj,"axG",@progbits,_ZN7rocprim17ROCPRIM_304000_NS6detail25onesweep_iteration_kernelINS1_34wrapped_radix_sort_onesweep_configINS0_14default_configElN2at4cuda3cub6detail10OpaqueTypeILi8EEEEELb1EPlSC_PSA_SD_mNS0_19identity_decomposerEEEvT1_T2_T3_T4_jPT5_SK_PNS1_23onesweep_lookback_stateET6_jjj,comdat
.Lfunc_end111:
	.size	_ZN7rocprim17ROCPRIM_304000_NS6detail25onesweep_iteration_kernelINS1_34wrapped_radix_sort_onesweep_configINS0_14default_configElN2at4cuda3cub6detail10OpaqueTypeILi8EEEEELb1EPlSC_PSA_SD_mNS0_19identity_decomposerEEEvT1_T2_T3_T4_jPT5_SK_PNS1_23onesweep_lookback_stateET6_jjj, .Lfunc_end111-_ZN7rocprim17ROCPRIM_304000_NS6detail25onesweep_iteration_kernelINS1_34wrapped_radix_sort_onesweep_configINS0_14default_configElN2at4cuda3cub6detail10OpaqueTypeILi8EEEEELb1EPlSC_PSA_SD_mNS0_19identity_decomposerEEEvT1_T2_T3_T4_jPT5_SK_PNS1_23onesweep_lookback_stateET6_jjj
                                        ; -- End function
	.section	.AMDGPU.csdata,"",@progbits
; Kernel info:
; codeLenInByte = 11512
; NumSgprs: 58
; NumVgprs: 48
; NumAgprs: 0
; TotalNumVgprs: 48
; ScratchSize: 0
; MemoryBound: 0
; FloatMode: 240
; IeeeMode: 1
; LDSByteSize: 51200 bytes/workgroup (compile time only)
; SGPRBlocks: 7
; VGPRBlocks: 5
; NumSGPRsForWavesPerEU: 58
; NumVGPRsForWavesPerEU: 48
; AccumOffset: 48
; Occupancy: 4
; WaveLimiterHint : 1
; COMPUTE_PGM_RSRC2:SCRATCH_EN: 0
; COMPUTE_PGM_RSRC2:USER_SGPR: 6
; COMPUTE_PGM_RSRC2:TRAP_HANDLER: 0
; COMPUTE_PGM_RSRC2:TGID_X_EN: 1
; COMPUTE_PGM_RSRC2:TGID_Y_EN: 0
; COMPUTE_PGM_RSRC2:TGID_Z_EN: 0
; COMPUTE_PGM_RSRC2:TIDIG_COMP_CNT: 2
; COMPUTE_PGM_RSRC3_GFX90A:ACCUM_OFFSET: 11
; COMPUTE_PGM_RSRC3_GFX90A:TG_SPLIT: 0
	.section	.text._ZN7rocprim17ROCPRIM_304000_NS6detail28radix_sort_block_sort_kernelINS1_36wrapped_radix_sort_block_sort_configINS0_13kernel_configILj256ELj4ELj4294967295EEElN2at4cuda3cub6detail10OpaqueTypeILi8EEEEELb0EPKlPlPKSB_PSB_NS0_19identity_decomposerEEEvT1_T2_T3_T4_jT5_jj,"axG",@progbits,_ZN7rocprim17ROCPRIM_304000_NS6detail28radix_sort_block_sort_kernelINS1_36wrapped_radix_sort_block_sort_configINS0_13kernel_configILj256ELj4ELj4294967295EEElN2at4cuda3cub6detail10OpaqueTypeILi8EEEEELb0EPKlPlPKSB_PSB_NS0_19identity_decomposerEEEvT1_T2_T3_T4_jT5_jj,comdat
	.protected	_ZN7rocprim17ROCPRIM_304000_NS6detail28radix_sort_block_sort_kernelINS1_36wrapped_radix_sort_block_sort_configINS0_13kernel_configILj256ELj4ELj4294967295EEElN2at4cuda3cub6detail10OpaqueTypeILi8EEEEELb0EPKlPlPKSB_PSB_NS0_19identity_decomposerEEEvT1_T2_T3_T4_jT5_jj ; -- Begin function _ZN7rocprim17ROCPRIM_304000_NS6detail28radix_sort_block_sort_kernelINS1_36wrapped_radix_sort_block_sort_configINS0_13kernel_configILj256ELj4ELj4294967295EEElN2at4cuda3cub6detail10OpaqueTypeILi8EEEEELb0EPKlPlPKSB_PSB_NS0_19identity_decomposerEEEvT1_T2_T3_T4_jT5_jj
	.globl	_ZN7rocprim17ROCPRIM_304000_NS6detail28radix_sort_block_sort_kernelINS1_36wrapped_radix_sort_block_sort_configINS0_13kernel_configILj256ELj4ELj4294967295EEElN2at4cuda3cub6detail10OpaqueTypeILi8EEEEELb0EPKlPlPKSB_PSB_NS0_19identity_decomposerEEEvT1_T2_T3_T4_jT5_jj
	.p2align	8
	.type	_ZN7rocprim17ROCPRIM_304000_NS6detail28radix_sort_block_sort_kernelINS1_36wrapped_radix_sort_block_sort_configINS0_13kernel_configILj256ELj4ELj4294967295EEElN2at4cuda3cub6detail10OpaqueTypeILi8EEEEELb0EPKlPlPKSB_PSB_NS0_19identity_decomposerEEEvT1_T2_T3_T4_jT5_jj,@function
_ZN7rocprim17ROCPRIM_304000_NS6detail28radix_sort_block_sort_kernelINS1_36wrapped_radix_sort_block_sort_configINS0_13kernel_configILj256ELj4ELj4294967295EEElN2at4cuda3cub6detail10OpaqueTypeILi8EEEEELb0EPKlPlPKSB_PSB_NS0_19identity_decomposerEEEvT1_T2_T3_T4_jT5_jj: ; @_ZN7rocprim17ROCPRIM_304000_NS6detail28radix_sort_block_sort_kernelINS1_36wrapped_radix_sort_block_sort_configINS0_13kernel_configILj256ELj4ELj4294967295EEElN2at4cuda3cub6detail10OpaqueTypeILi8EEEEELb0EPKlPlPKSB_PSB_NS0_19identity_decomposerEEEvT1_T2_T3_T4_jT5_jj
; %bb.0:
	s_load_dword s7, s[4:5], 0x20
	s_load_dwordx8 s[36:43], s[4:5], 0x0
	s_lshl_b32 s0, s6, 10
	s_mov_b32 s1, 0
	v_mbcnt_lo_u32_b32 v1, -1, 0
	s_waitcnt lgkmcnt(0)
	s_lshr_b32 s2, s7, 10
	s_cmp_lg_u32 s6, s2
	s_cselect_b64 s[30:31], -1, 0
	s_lshl_b64 s[28:29], s[0:1], 3
	v_and_b32_e32 v16, 0x3ff, v0
	s_add_u32 s1, s36, s28
	v_mbcnt_hi_u32_b32 v1, -1, v1
	s_addc_u32 s3, s37, s29
	v_lshlrev_b32_e32 v12, 2, v16
	v_lshlrev_b32_e32 v17, 3, v1
	v_and_b32_e32 v14, 0x300, v12
	v_mov_b32_e32 v2, s3
	v_add_co_u32_e32 v3, vcc, s1, v17
	v_addc_co_u32_e32 v2, vcc, 0, v2, vcc
	v_lshlrev_b32_e32 v19, 3, v14
	v_add_co_u32_e32 v10, vcc, v3, v19
	s_cmp_eq_u32 s6, s2
	v_addc_co_u32_e32 v11, vcc, 0, v2, vcc
	v_add_u32_e32 v13, v1, v14
	s_cbranch_scc1 .LBB112_2
; %bb.1:
	s_add_u32 s1, s40, s28
	s_addc_u32 s2, s41, s29
	v_mov_b32_e32 v15, s2
	v_add_co_u32_e32 v18, vcc, s1, v17
	v_addc_co_u32_e32 v15, vcc, 0, v15, vcc
	v_add_co_u32_e32 v20, vcc, v18, v19
	v_addc_co_u32_e32 v21, vcc, 0, v15, vcc
	global_load_dwordx2 v[2:3], v[10:11], off
	global_load_dwordx2 v[4:5], v[10:11], off offset:512
	global_load_dwordx2 v[6:7], v[10:11], off offset:1024
	;; [unrolled: 1-line block ×3, first 2 shown]
	global_load_dwordx2 v[34:35], v[20:21], off
	global_load_dwordx2 v[36:37], v[20:21], off offset:512
	global_load_dwordx2 v[38:39], v[20:21], off offset:1024
	;; [unrolled: 1-line block ×3, first 2 shown]
	v_add_u32_e32 v20, v1, v14
	v_add_u32_e32 v14, 64, v20
	;; [unrolled: 1-line block ×4, first 2 shown]
	s_sub_i32 s33, s7, s0
	s_cbranch_execz .LBB112_3
	s_branch .LBB112_17
.LBB112_2:
                                        ; implicit-def: $vgpr2_vgpr3_vgpr4_vgpr5_vgpr6_vgpr7_vgpr8_vgpr9
                                        ; implicit-def: $vgpr34_vgpr35
                                        ; implicit-def: $vgpr36_vgpr37
                                        ; implicit-def: $vgpr38_vgpr39
                                        ; implicit-def: $vgpr40_vgpr41
                                        ; implicit-def: $vgpr20
                                        ; implicit-def: $vgpr14
                                        ; implicit-def: $vgpr15
                                        ; implicit-def: $vgpr18
	s_sub_i32 s33, s7, s0
.LBB112_3:
	s_brev_b32 s9, -2
	s_mov_b32 s8, -1
	s_mov_b32 s10, s8
	s_mov_b32 s11, s9
	s_mov_b32 s12, s8
	s_mov_b32 s13, s9
	s_mov_b32 s14, s8
	s_mov_b32 s15, s9
	s_waitcnt vmcnt(4)
	v_pk_mov_b32 v[2:3], s[8:9], s[8:9] op_sel:[0,1]
	v_cmp_gt_u32_e32 vcc, s33, v13
	v_pk_mov_b32 v[4:5], s[10:11], s[10:11] op_sel:[0,1]
	v_pk_mov_b32 v[6:7], s[12:13], s[12:13] op_sel:[0,1]
	;; [unrolled: 1-line block ×3, first 2 shown]
	s_and_saveexec_b64 s[0:1], vcc
	s_cbranch_execz .LBB112_5
; %bb.4:
	global_load_dwordx2 v[2:3], v[10:11], off
	v_mov_b32_e32 v4, -1
	v_bfrev_b32_e32 v5, -2
	v_mov_b32_e32 v6, v4
	v_mov_b32_e32 v7, v5
	;; [unrolled: 1-line block ×4, first 2 shown]
.LBB112_5:
	s_or_b64 exec, exec, s[0:1]
	v_add_u32_e32 v14, 64, v13
	v_cmp_gt_u32_e64 s[0:1], s33, v14
	s_and_saveexec_b64 s[2:3], s[0:1]
	s_cbranch_execz .LBB112_7
; %bb.6:
	global_load_dwordx2 v[4:5], v[10:11], off offset:512
.LBB112_7:
	s_or_b64 exec, exec, s[2:3]
	v_add_u32_e32 v15, 0x80, v13
	v_cmp_gt_u32_e64 s[2:3], s33, v15
	s_and_saveexec_b64 s[6:7], s[2:3]
	s_cbranch_execz .LBB112_9
; %bb.8:
	global_load_dwordx2 v[6:7], v[10:11], off offset:1024
.LBB112_9:
	;; [unrolled: 8-line block ×3, first 2 shown]
	s_or_b64 exec, exec, s[8:9]
	s_add_u32 s8, s40, s28
	s_addc_u32 s9, s41, s29
	v_mov_b32_e32 v10, s9
	v_add_co_u32_e64 v11, s[8:9], s8, v17
	v_addc_co_u32_e64 v17, s[8:9], 0, v10, s[8:9]
	v_add_co_u32_e64 v10, s[8:9], v11, v19
	v_addc_co_u32_e64 v11, s[8:9], 0, v17, s[8:9]
                                        ; implicit-def: $vgpr34_vgpr35
	s_and_saveexec_b64 s[8:9], vcc
	s_cbranch_execnz .LBB112_54
; %bb.12:
	s_or_b64 exec, exec, s[8:9]
                                        ; implicit-def: $vgpr36_vgpr37
	s_and_saveexec_b64 s[8:9], s[0:1]
	s_cbranch_execnz .LBB112_55
.LBB112_13:
	s_or_b64 exec, exec, s[8:9]
                                        ; implicit-def: $vgpr38_vgpr39
	s_and_saveexec_b64 s[0:1], s[2:3]
	s_cbranch_execnz .LBB112_56
.LBB112_14:
	s_or_b64 exec, exec, s[0:1]
                                        ; implicit-def: $vgpr40_vgpr41
	s_and_saveexec_b64 s[0:1], s[6:7]
	s_cbranch_execz .LBB112_16
.LBB112_15:
	global_load_dwordx2 v[40:41], v[10:11], off offset:1536
.LBB112_16:
	s_or_b64 exec, exec, s[0:1]
	v_mov_b32_e32 v20, v13
.LBB112_17:
	s_load_dwordx2 s[34:35], s[4:5], 0x28
	s_load_dword s0, s[4:5], 0x3c
	v_bfe_u32 v10, v0, 10, 10
	v_bfe_u32 v0, v0, 20, 10
	s_mov_b32 s26, 0
	v_cmp_lt_u32_e64 s[10:11], 31, v1
	s_waitcnt lgkmcnt(0)
	s_lshr_b32 s1, s0, 16
	s_and_b32 s0, s0, 0xffff
	v_mad_u32_u24 v0, v0, s1, v10
	v_mad_u64_u32 v[10:11], s[0:1], v0, s0, v[16:17]
	v_and_b32_e32 v0, 15, v1
	v_cmp_eq_u32_e64 s[0:1], 0, v0
	v_cmp_lt_u32_e64 s[2:3], 1, v0
	v_cmp_lt_u32_e64 s[4:5], 3, v0
	;; [unrolled: 1-line block ×3, first 2 shown]
	v_and_b32_e32 v0, 16, v1
	v_cmp_eq_u32_e64 s[8:9], 0, v0
	v_and_b32_e32 v0, 0x3c0, v16
	v_min_u32_e32 v0, 0xc0, v0
	v_or_b32_e32 v0, 63, v0
	v_lshrrev_b32_e32 v42, 6, v10
	v_cmp_eq_u32_e64 s[12:13], v0, v16
	v_add_u32_e32 v0, -1, v1
	v_and_b32_e32 v10, 64, v1
	v_cmp_lt_i32_e32 vcc, v0, v10
	v_cndmask_b32_e32 v0, v0, v1, vcc
	v_lshlrev_b32_e32 v43, 2, v0
	v_lshrrev_b32_e32 v0, 4, v16
	v_lshlrev_b32_e32 v17, 2, v12
	v_cmp_eq_u32_e64 s[18:19], 0, v1
	v_and_b32_e32 v44, 60, v0
	v_mul_i32_i24_e32 v0, -12, v16
	v_and_b32_e32 v1, 3, v1
	s_mov_b32 s27, s26
	s_mov_b32 s40, s26
	s_mov_b32 s41, s26
	s_waitcnt vmcnt(0)
	v_xor_b32_e32 v3, 0x80000000, v3
	v_xor_b32_e32 v5, 0x80000000, v5
	;; [unrolled: 1-line block ×3, first 2 shown]
	s_add_i32 s36, s35, s34
	v_xor_b32_e32 v9, 0x80000000, v9
	v_cmp_gt_u32_e64 s[14:15], 4, v16
	v_cmp_lt_u32_e64 s[16:17], 63, v16
	v_cmp_eq_u32_e64 s[20:21], 0, v16
	v_cmp_eq_u32_e64 s[22:23], 0, v1
	v_cmp_lt_u32_e64 s[24:25], 1, v1
	v_add_u32_e32 v45, -4, v44
	v_lshlrev_b32_e32 v46, 3, v20
	v_lshlrev_b32_e32 v47, 3, v14
	;; [unrolled: 1-line block ×4, first 2 shown]
	v_pk_mov_b32 v[10:11], s[26:27], s[26:27] op_sel:[0,1]
	v_pk_mov_b32 v[12:13], s[40:41], s[40:41] op_sel:[0,1]
	v_add_u32_e32 v50, v17, v0
	v_mov_b32_e32 v14, 0
	s_branch .LBB112_19
.LBB112_18:                             ;   in Loop: Header=BB112_19 Depth=1
	s_barrier
	ds_write_b64 v0, v[32:33]
	ds_write_b64 v1, v[30:31]
	;; [unrolled: 1-line block ×4, first 2 shown]
	s_waitcnt lgkmcnt(0)
	s_barrier
	ds_read_b64 v[2:3], v46
	ds_read_b64 v[4:5], v47
	;; [unrolled: 1-line block ×4, first 2 shown]
	s_waitcnt lgkmcnt(0)
	s_barrier
	ds_write_b64 v0, v[24:25]
	ds_write_b64 v1, v[22:23]
	;; [unrolled: 1-line block ×4, first 2 shown]
	s_waitcnt lgkmcnt(0)
	s_barrier
	ds_read_b64 v[34:35], v46
	ds_read_b64 v[36:37], v47
	;; [unrolled: 1-line block ×4, first 2 shown]
	s_add_i32 s35, s35, -8
	s_waitcnt lgkmcnt(0)
	s_barrier
	s_cbranch_execz .LBB112_35
.LBB112_19:                             ; =>This Inner Loop Header: Depth=1
	s_min_u32 s26, s35, 8
	v_pk_mov_b32 v[32:33], v[2:3], v[2:3] op_sel:[0,1]
	s_lshl_b32 s26, -1, s26
	s_not_b32 s37, s26
	v_lshrrev_b64 v[0:1], s34, v[32:33]
	v_and_b32_e32 v0, s37, v0
	v_lshl_add_u32 v1, v0, 2, v42
	v_pk_mov_b32 v[30:31], v[4:5], v[4:5] op_sel:[0,1]
	v_lshl_add_u32 v4, v1, 2, 16
	v_and_b32_e32 v1, 1, v0
	v_add_co_u32_e32 v2, vcc, -1, v1
	v_addc_co_u32_e64 v3, s[26:27], 0, -1, vcc
	v_cmp_ne_u32_e32 vcc, 0, v1
	v_lshlrev_b32_e32 v15, 30, v0
	v_xor_b32_e32 v1, vcc_hi, v3
	v_not_b32_e32 v3, v15
	v_xor_b32_e32 v2, vcc_lo, v2
	v_cmp_gt_i64_e32 vcc, 0, v[14:15]
	v_ashrrev_i32_e32 v3, 31, v3
	v_and_b32_e32 v2, exec_lo, v2
	v_xor_b32_e32 v5, vcc_hi, v3
	v_xor_b32_e32 v3, vcc_lo, v3
	v_lshlrev_b32_e32 v15, 29, v0
	v_and_b32_e32 v2, v2, v3
	v_not_b32_e32 v3, v15
	v_and_b32_e32 v1, exec_hi, v1
	v_cmp_gt_i64_e32 vcc, 0, v[14:15]
	v_ashrrev_i32_e32 v3, 31, v3
	v_and_b32_e32 v1, v1, v5
	v_xor_b32_e32 v5, vcc_hi, v3
	v_xor_b32_e32 v3, vcc_lo, v3
	v_lshlrev_b32_e32 v15, 28, v0
	v_and_b32_e32 v2, v2, v3
	v_not_b32_e32 v3, v15
	v_cmp_gt_i64_e32 vcc, 0, v[14:15]
	v_ashrrev_i32_e32 v3, 31, v3
	v_and_b32_e32 v1, v1, v5
	v_xor_b32_e32 v5, vcc_hi, v3
	v_xor_b32_e32 v3, vcc_lo, v3
	v_lshlrev_b32_e32 v15, 27, v0
	v_and_b32_e32 v2, v2, v3
	v_not_b32_e32 v3, v15
	;; [unrolled: 8-line block ×3, first 2 shown]
	v_cmp_gt_i64_e32 vcc, 0, v[14:15]
	v_ashrrev_i32_e32 v3, 31, v3
	v_and_b32_e32 v1, v1, v5
	v_xor_b32_e32 v5, vcc_hi, v3
	v_xor_b32_e32 v3, vcc_lo, v3
	v_lshlrev_b32_e32 v15, 25, v0
	v_and_b32_e32 v2, v2, v3
	v_cmp_gt_i64_e32 vcc, 0, v[14:15]
	v_not_b32_e32 v3, v15
	v_lshlrev_b32_e32 v15, 24, v0
	v_ashrrev_i32_e32 v3, 31, v3
	v_not_b32_e32 v0, v15
	v_and_b32_e32 v1, v1, v5
	v_xor_b32_e32 v5, vcc_hi, v3
	v_xor_b32_e32 v3, vcc_lo, v3
	v_cmp_gt_i64_e32 vcc, 0, v[14:15]
	v_ashrrev_i32_e32 v0, 31, v0
	v_and_b32_e32 v2, v2, v3
	v_xor_b32_e32 v3, vcc_hi, v0
	v_xor_b32_e32 v0, vcc_lo, v0
	v_and_b32_e32 v1, v1, v5
	v_and_b32_e32 v0, v2, v0
	;; [unrolled: 1-line block ×3, first 2 shown]
	v_mbcnt_lo_u32_b32 v2, v0, 0
	v_mbcnt_hi_u32_b32 v5, v1, v2
	v_cmp_eq_u32_e32 vcc, 0, v5
	v_cmp_ne_u64_e64 s[26:27], 0, v[0:1]
	v_pk_mov_b32 v[26:27], v[8:9], v[8:9] op_sel:[0,1]
	v_pk_mov_b32 v[28:29], v[6:7], v[6:7] op_sel:[0,1]
	;; [unrolled: 1-line block ×6, first 2 shown]
	s_and_b64 s[40:41], s[26:27], vcc
	ds_write2_b64 v17, v[10:11], v[12:13] offset0:2 offset1:3
	s_waitcnt lgkmcnt(0)
	s_barrier
	s_waitcnt lgkmcnt(0)
	; wave barrier
	s_and_saveexec_b64 s[26:27], s[40:41]
	s_cbranch_execz .LBB112_21
; %bb.20:                               ;   in Loop: Header=BB112_19 Depth=1
	v_bcnt_u32_b32 v0, v0, 0
	v_bcnt_u32_b32 v0, v1, v0
	ds_write_b32 v4, v0
.LBB112_21:                             ;   in Loop: Header=BB112_19 Depth=1
	s_or_b64 exec, exec, s[26:27]
	v_lshrrev_b64 v[0:1], s34, v[30:31]
	v_and_b32_e32 v0, s37, v0
	v_lshlrev_b32_e32 v1, 2, v0
	v_add_lshl_u32 v1, v1, v42, 2
	; wave barrier
	v_add_u32_e32 v7, 16, v1
	ds_read_b32 v6, v1 offset:16
	v_and_b32_e32 v1, 1, v0
	v_add_co_u32_e32 v2, vcc, -1, v1
	v_addc_co_u32_e64 v3, s[26:27], 0, -1, vcc
	v_cmp_ne_u32_e32 vcc, 0, v1
	v_lshlrev_b32_e32 v15, 30, v0
	v_xor_b32_e32 v1, vcc_hi, v3
	v_not_b32_e32 v3, v15
	v_xor_b32_e32 v2, vcc_lo, v2
	v_cmp_gt_i64_e32 vcc, 0, v[14:15]
	v_ashrrev_i32_e32 v3, 31, v3
	v_and_b32_e32 v2, exec_lo, v2
	v_xor_b32_e32 v8, vcc_hi, v3
	v_xor_b32_e32 v3, vcc_lo, v3
	v_lshlrev_b32_e32 v15, 29, v0
	v_and_b32_e32 v2, v2, v3
	v_not_b32_e32 v3, v15
	v_and_b32_e32 v1, exec_hi, v1
	v_cmp_gt_i64_e32 vcc, 0, v[14:15]
	v_ashrrev_i32_e32 v3, 31, v3
	v_and_b32_e32 v1, v1, v8
	v_xor_b32_e32 v8, vcc_hi, v3
	v_xor_b32_e32 v3, vcc_lo, v3
	v_lshlrev_b32_e32 v15, 28, v0
	v_and_b32_e32 v2, v2, v3
	v_not_b32_e32 v3, v15
	v_cmp_gt_i64_e32 vcc, 0, v[14:15]
	v_ashrrev_i32_e32 v3, 31, v3
	v_and_b32_e32 v1, v1, v8
	v_xor_b32_e32 v8, vcc_hi, v3
	v_xor_b32_e32 v3, vcc_lo, v3
	v_lshlrev_b32_e32 v15, 27, v0
	v_and_b32_e32 v2, v2, v3
	v_not_b32_e32 v3, v15
	;; [unrolled: 8-line block ×3, first 2 shown]
	v_cmp_gt_i64_e32 vcc, 0, v[14:15]
	v_ashrrev_i32_e32 v3, 31, v3
	v_and_b32_e32 v1, v1, v8
	v_xor_b32_e32 v8, vcc_hi, v3
	v_xor_b32_e32 v3, vcc_lo, v3
	v_lshlrev_b32_e32 v15, 25, v0
	v_and_b32_e32 v2, v2, v3
	v_cmp_gt_i64_e32 vcc, 0, v[14:15]
	v_not_b32_e32 v3, v15
	v_lshlrev_b32_e32 v15, 24, v0
	v_ashrrev_i32_e32 v3, 31, v3
	v_not_b32_e32 v0, v15
	v_and_b32_e32 v1, v1, v8
	v_xor_b32_e32 v8, vcc_hi, v3
	v_xor_b32_e32 v3, vcc_lo, v3
	v_cmp_gt_i64_e32 vcc, 0, v[14:15]
	v_ashrrev_i32_e32 v0, 31, v0
	v_and_b32_e32 v2, v2, v3
	v_xor_b32_e32 v3, vcc_hi, v0
	v_xor_b32_e32 v0, vcc_lo, v0
	v_and_b32_e32 v1, v1, v8
	v_and_b32_e32 v0, v2, v0
	;; [unrolled: 1-line block ×3, first 2 shown]
	v_mbcnt_lo_u32_b32 v2, v0, 0
	v_mbcnt_hi_u32_b32 v8, v1, v2
	v_cmp_eq_u32_e32 vcc, 0, v8
	v_cmp_ne_u64_e64 s[26:27], 0, v[0:1]
	s_and_b64 s[40:41], s[26:27], vcc
	; wave barrier
	s_and_saveexec_b64 s[26:27], s[40:41]
	s_cbranch_execz .LBB112_23
; %bb.22:                               ;   in Loop: Header=BB112_19 Depth=1
	v_bcnt_u32_b32 v0, v0, 0
	v_bcnt_u32_b32 v0, v1, v0
	s_waitcnt lgkmcnt(0)
	v_add_u32_e32 v0, v6, v0
	ds_write_b32 v7, v0
.LBB112_23:                             ;   in Loop: Header=BB112_19 Depth=1
	s_or_b64 exec, exec, s[26:27]
	v_lshrrev_b64 v[0:1], s34, v[28:29]
	v_and_b32_e32 v0, s37, v0
	v_lshlrev_b32_e32 v1, 2, v0
	v_add_lshl_u32 v1, v1, v42, 2
	; wave barrier
	v_add_u32_e32 v34, 16, v1
	ds_read_b32 v9, v1 offset:16
	v_and_b32_e32 v1, 1, v0
	v_add_co_u32_e32 v2, vcc, -1, v1
	v_addc_co_u32_e64 v3, s[26:27], 0, -1, vcc
	v_cmp_ne_u32_e32 vcc, 0, v1
	v_lshlrev_b32_e32 v15, 30, v0
	v_xor_b32_e32 v1, vcc_hi, v3
	v_not_b32_e32 v3, v15
	v_xor_b32_e32 v2, vcc_lo, v2
	v_cmp_gt_i64_e32 vcc, 0, v[14:15]
	v_ashrrev_i32_e32 v3, 31, v3
	v_and_b32_e32 v1, exec_hi, v1
	v_xor_b32_e32 v15, vcc_hi, v3
	v_and_b32_e32 v2, exec_lo, v2
	v_xor_b32_e32 v3, vcc_lo, v3
	v_and_b32_e32 v1, v1, v15
	v_lshlrev_b32_e32 v15, 29, v0
	v_and_b32_e32 v2, v2, v3
	v_not_b32_e32 v3, v15
	v_cmp_gt_i64_e32 vcc, 0, v[14:15]
	v_ashrrev_i32_e32 v3, 31, v3
	v_xor_b32_e32 v15, vcc_hi, v3
	v_xor_b32_e32 v3, vcc_lo, v3
	v_and_b32_e32 v1, v1, v15
	v_lshlrev_b32_e32 v15, 28, v0
	v_and_b32_e32 v2, v2, v3
	v_not_b32_e32 v3, v15
	v_cmp_gt_i64_e32 vcc, 0, v[14:15]
	v_ashrrev_i32_e32 v3, 31, v3
	v_xor_b32_e32 v15, vcc_hi, v3
	;; [unrolled: 8-line block ×5, first 2 shown]
	v_and_b32_e32 v1, v1, v15
	v_lshlrev_b32_e32 v15, 24, v0
	v_not_b32_e32 v0, v15
	v_xor_b32_e32 v3, vcc_lo, v3
	v_cmp_gt_i64_e32 vcc, 0, v[14:15]
	v_ashrrev_i32_e32 v0, 31, v0
	v_and_b32_e32 v2, v2, v3
	v_xor_b32_e32 v3, vcc_hi, v0
	v_xor_b32_e32 v0, vcc_lo, v0
	v_and_b32_e32 v0, v2, v0
	v_and_b32_e32 v1, v1, v3
	v_mbcnt_lo_u32_b32 v2, v0, 0
	v_mbcnt_hi_u32_b32 v35, v1, v2
	v_cmp_eq_u32_e32 vcc, 0, v35
	v_cmp_ne_u64_e64 s[26:27], 0, v[0:1]
	s_and_b64 s[40:41], s[26:27], vcc
	; wave barrier
	s_and_saveexec_b64 s[26:27], s[40:41]
	s_cbranch_execz .LBB112_25
; %bb.24:                               ;   in Loop: Header=BB112_19 Depth=1
	v_bcnt_u32_b32 v0, v0, 0
	v_bcnt_u32_b32 v0, v1, v0
	s_waitcnt lgkmcnt(0)
	v_add_u32_e32 v0, v9, v0
	ds_write_b32 v34, v0
.LBB112_25:                             ;   in Loop: Header=BB112_19 Depth=1
	s_or_b64 exec, exec, s[26:27]
	v_lshrrev_b64 v[0:1], s34, v[26:27]
	v_and_b32_e32 v0, s37, v0
	v_lshlrev_b32_e32 v1, 2, v0
	v_add_lshl_u32 v1, v1, v42, 2
	; wave barrier
	v_add_u32_e32 v37, 16, v1
	ds_read_b32 v36, v1 offset:16
	v_and_b32_e32 v1, 1, v0
	v_add_co_u32_e32 v2, vcc, -1, v1
	v_addc_co_u32_e64 v3, s[26:27], 0, -1, vcc
	v_cmp_ne_u32_e32 vcc, 0, v1
	v_lshlrev_b32_e32 v15, 30, v0
	v_xor_b32_e32 v1, vcc_hi, v3
	v_not_b32_e32 v3, v15
	v_xor_b32_e32 v2, vcc_lo, v2
	v_cmp_gt_i64_e32 vcc, 0, v[14:15]
	v_ashrrev_i32_e32 v3, 31, v3
	v_and_b32_e32 v1, exec_hi, v1
	v_xor_b32_e32 v15, vcc_hi, v3
	v_and_b32_e32 v2, exec_lo, v2
	v_xor_b32_e32 v3, vcc_lo, v3
	v_and_b32_e32 v1, v1, v15
	v_lshlrev_b32_e32 v15, 29, v0
	v_and_b32_e32 v2, v2, v3
	v_not_b32_e32 v3, v15
	v_cmp_gt_i64_e32 vcc, 0, v[14:15]
	v_ashrrev_i32_e32 v3, 31, v3
	v_xor_b32_e32 v15, vcc_hi, v3
	v_xor_b32_e32 v3, vcc_lo, v3
	v_and_b32_e32 v1, v1, v15
	v_lshlrev_b32_e32 v15, 28, v0
	v_and_b32_e32 v2, v2, v3
	v_not_b32_e32 v3, v15
	v_cmp_gt_i64_e32 vcc, 0, v[14:15]
	v_ashrrev_i32_e32 v3, 31, v3
	v_xor_b32_e32 v15, vcc_hi, v3
	;; [unrolled: 8-line block ×5, first 2 shown]
	v_and_b32_e32 v1, v1, v15
	v_lshlrev_b32_e32 v15, 24, v0
	v_not_b32_e32 v0, v15
	v_xor_b32_e32 v3, vcc_lo, v3
	v_cmp_gt_i64_e32 vcc, 0, v[14:15]
	v_ashrrev_i32_e32 v0, 31, v0
	v_and_b32_e32 v2, v2, v3
	v_xor_b32_e32 v3, vcc_hi, v0
	v_xor_b32_e32 v0, vcc_lo, v0
	v_and_b32_e32 v0, v2, v0
	v_and_b32_e32 v1, v1, v3
	v_mbcnt_lo_u32_b32 v2, v0, 0
	v_mbcnt_hi_u32_b32 v15, v1, v2
	v_cmp_eq_u32_e32 vcc, 0, v15
	v_cmp_ne_u64_e64 s[26:27], 0, v[0:1]
	s_and_b64 s[40:41], s[26:27], vcc
	; wave barrier
	s_and_saveexec_b64 s[26:27], s[40:41]
	s_cbranch_execz .LBB112_27
; %bb.26:                               ;   in Loop: Header=BB112_19 Depth=1
	v_bcnt_u32_b32 v0, v0, 0
	v_bcnt_u32_b32 v0, v1, v0
	s_waitcnt lgkmcnt(0)
	v_add_u32_e32 v0, v36, v0
	ds_write_b32 v37, v0
.LBB112_27:                             ;   in Loop: Header=BB112_19 Depth=1
	s_or_b64 exec, exec, s[26:27]
	; wave barrier
	s_waitcnt lgkmcnt(0)
	s_barrier
	ds_read2_b64 v[0:3], v17 offset0:2 offset1:3
	s_waitcnt lgkmcnt(0)
	v_add_u32_e32 v38, v1, v0
	v_add3_u32 v3, v38, v2, v3
	s_nop 1
	v_mov_b32_dpp v38, v3 row_shr:1 row_mask:0xf bank_mask:0xf
	v_cndmask_b32_e64 v38, v38, 0, s[0:1]
	v_add_u32_e32 v3, v38, v3
	s_nop 1
	v_mov_b32_dpp v38, v3 row_shr:2 row_mask:0xf bank_mask:0xf
	v_cndmask_b32_e64 v38, 0, v38, s[2:3]
	v_add_u32_e32 v3, v3, v38
	;; [unrolled: 4-line block ×4, first 2 shown]
	s_nop 1
	v_mov_b32_dpp v38, v3 row_bcast:15 row_mask:0xf bank_mask:0xf
	v_cndmask_b32_e64 v38, v38, 0, s[8:9]
	v_add_u32_e32 v3, v3, v38
	s_nop 1
	v_mov_b32_dpp v38, v3 row_bcast:31 row_mask:0xf bank_mask:0xf
	v_cndmask_b32_e64 v38, 0, v38, s[10:11]
	v_add_u32_e32 v3, v3, v38
	s_and_saveexec_b64 s[26:27], s[12:13]
	s_cbranch_execz .LBB112_29
; %bb.28:                               ;   in Loop: Header=BB112_19 Depth=1
	ds_write_b32 v44, v3
.LBB112_29:                             ;   in Loop: Header=BB112_19 Depth=1
	s_or_b64 exec, exec, s[26:27]
	s_waitcnt lgkmcnt(0)
	s_barrier
	s_and_saveexec_b64 s[26:27], s[14:15]
	s_cbranch_execz .LBB112_31
; %bb.30:                               ;   in Loop: Header=BB112_19 Depth=1
	ds_read_b32 v38, v50
	s_waitcnt lgkmcnt(0)
	s_nop 0
	v_mov_b32_dpp v39, v38 row_shr:1 row_mask:0xf bank_mask:0xf
	v_cndmask_b32_e64 v39, v39, 0, s[22:23]
	v_add_u32_e32 v38, v39, v38
	s_nop 1
	v_mov_b32_dpp v39, v38 row_shr:2 row_mask:0xf bank_mask:0xf
	v_cndmask_b32_e64 v39, 0, v39, s[24:25]
	v_add_u32_e32 v38, v38, v39
	ds_write_b32 v50, v38
.LBB112_31:                             ;   in Loop: Header=BB112_19 Depth=1
	s_or_b64 exec, exec, s[26:27]
	v_mov_b32_e32 v38, 0
	s_waitcnt lgkmcnt(0)
	s_barrier
	s_and_saveexec_b64 s[26:27], s[16:17]
	s_cbranch_execz .LBB112_33
; %bb.32:                               ;   in Loop: Header=BB112_19 Depth=1
	ds_read_b32 v38, v45
.LBB112_33:                             ;   in Loop: Header=BB112_19 Depth=1
	s_or_b64 exec, exec, s[26:27]
	s_waitcnt lgkmcnt(0)
	v_add_u32_e32 v3, v38, v3
	ds_bpermute_b32 v3, v43, v3
	s_add_i32 s34, s34, 8
	s_cmp_ge_u32 s34, s36
	s_waitcnt lgkmcnt(0)
	v_cndmask_b32_e64 v3, v3, v38, s[18:19]
	v_cndmask_b32_e64 v38, v3, 0, s[20:21]
	v_add_u32_e32 v39, v38, v0
	v_add_u32_e32 v0, v39, v1
	;; [unrolled: 1-line block ×3, first 2 shown]
	ds_write2_b64 v17, v[38:39], v[0:1] offset0:2 offset1:3
	s_waitcnt lgkmcnt(0)
	s_barrier
	ds_read_b32 v0, v4
	ds_read_b32 v1, v7
	;; [unrolled: 1-line block ×4, first 2 shown]
	v_lshlrev_b32_e32 v4, 3, v5
	s_waitcnt lgkmcnt(3)
	v_lshl_add_u32 v0, v0, 3, v4
	v_lshlrev_b32_e32 v4, 3, v8
	v_lshlrev_b32_e32 v5, 3, v6
	s_waitcnt lgkmcnt(2)
	v_lshlrev_b32_e32 v1, 3, v1
	v_add3_u32 v1, v4, v5, v1
	v_lshlrev_b32_e32 v4, 3, v35
	v_lshlrev_b32_e32 v5, 3, v9
	s_waitcnt lgkmcnt(1)
	v_lshlrev_b32_e32 v2, 3, v2
	v_add3_u32 v51, v4, v5, v2
	;; [unrolled: 5-line block ×3, first 2 shown]
	s_cbranch_scc0 .LBB112_18
; %bb.34:
                                        ; implicit-def: $vgpr8_vgpr9
                                        ; implicit-def: $sgpr34
                                        ; implicit-def: $vgpr34_vgpr35
                                        ; implicit-def: $vgpr36_vgpr37
                                        ; implicit-def: $vgpr38_vgpr39
                                        ; implicit-def: $vgpr40_vgpr41
.LBB112_35:
	v_lshlrev_b32_e32 v17, 3, v16
	s_barrier
	ds_write_b64 v0, v[32:33]
	ds_write_b64 v1, v[30:31]
	;; [unrolled: 1-line block ×4, first 2 shown]
	s_waitcnt lgkmcnt(0)
	s_barrier
	ds_read2st64_b64 v[12:15], v17 offset1:4
	ds_read2st64_b64 v[8:11], v17 offset0:8 offset1:12
	s_waitcnt lgkmcnt(0)
	s_barrier
	ds_write_b64 v0, v[24:25]
	ds_write_b64 v1, v[22:23]
	;; [unrolled: 1-line block ×4, first 2 shown]
	s_waitcnt lgkmcnt(0)
	s_barrier
	ds_read2st64_b64 v[4:7], v17 offset1:4
	ds_read2st64_b64 v[0:3], v17 offset0:8 offset1:12
	s_add_u32 s0, s38, s28
	s_addc_u32 s1, s39, s29
	v_mov_b32_e32 v19, s1
	v_add_co_u32_e64 v18, s[0:1], s0, v17
	v_xor_b32_e32 v13, 0x80000000, v13
	v_xor_b32_e32 v15, 0x80000000, v15
	;; [unrolled: 1-line block ×4, first 2 shown]
	s_andn2_b64 vcc, exec, s[30:31]
	v_addc_co_u32_e64 v19, s[0:1], 0, v19, s[0:1]
	s_cbranch_vccnz .LBB112_37
; %bb.36:
	v_add_co_u32_e32 v20, vcc, 0x1000, v18
	s_add_u32 s0, s42, s28
	v_addc_co_u32_e32 v21, vcc, 0, v19, vcc
	s_addc_u32 s1, s43, s29
	global_store_dwordx2 v[18:19], v[12:13], off
	global_store_dwordx2 v[18:19], v[14:15], off offset:2048
	global_store_dwordx2 v[20:21], v[8:9], off
	global_store_dwordx2 v[20:21], v[10:11], off offset:2048
	v_mov_b32_e32 v20, s1
	v_add_co_u32_e32 v21, vcc, s0, v17
	v_addc_co_u32_e32 v22, vcc, 0, v20, vcc
	v_add_co_u32_e32 v20, vcc, 0x1000, v21
	s_waitcnt lgkmcnt(1)
	global_store_dwordx2 v17, v[4:5], s[0:1]
	global_store_dwordx2 v17, v[6:7], s[0:1] offset:2048
	v_addc_co_u32_e32 v21, vcc, 0, v22, vcc
	s_mov_b64 s[6:7], -1
	s_waitcnt lgkmcnt(0)
	global_store_dwordx2 v[20:21], v[0:1], off
	s_cbranch_execz .LBB112_38
	s_branch .LBB112_51
.LBB112_37:
	s_mov_b64 s[6:7], 0
.LBB112_38:
	v_cmp_gt_u32_e64 s[0:1], s33, v16
	s_and_saveexec_b64 s[2:3], s[0:1]
	s_cbranch_execz .LBB112_40
; %bb.39:
	global_store_dwordx2 v[18:19], v[12:13], off
.LBB112_40:
	s_or_b64 exec, exec, s[2:3]
	v_add_u32_e32 v12, 0x100, v16
	v_cmp_gt_u32_e64 s[2:3], s33, v12
	s_and_saveexec_b64 s[4:5], s[2:3]
	s_cbranch_execz .LBB112_42
; %bb.41:
	global_store_dwordx2 v[18:19], v[14:15], off offset:2048
.LBB112_42:
	s_or_b64 exec, exec, s[4:5]
	v_add_u32_e32 v12, 0x200, v16
	v_cmp_gt_u32_e64 s[4:5], s33, v12
	s_and_saveexec_b64 s[6:7], s[4:5]
	s_cbranch_execz .LBB112_44
; %bb.43:
	v_add_co_u32_e32 v12, vcc, 0x1000, v18
	v_addc_co_u32_e32 v13, vcc, 0, v19, vcc
	global_store_dwordx2 v[12:13], v[8:9], off
.LBB112_44:
	s_or_b64 exec, exec, s[6:7]
	v_add_u32_e32 v8, 0x300, v16
	v_cmp_gt_u32_e64 s[6:7], s33, v8
	s_and_saveexec_b64 s[8:9], s[6:7]
	s_cbranch_execz .LBB112_46
; %bb.45:
	v_add_co_u32_e32 v8, vcc, 0x1000, v18
	v_addc_co_u32_e32 v9, vcc, 0, v19, vcc
	global_store_dwordx2 v[8:9], v[10:11], off offset:2048
.LBB112_46:
	s_or_b64 exec, exec, s[8:9]
	s_add_u32 s8, s42, s28
	s_addc_u32 s9, s43, s29
	v_mov_b32_e32 v9, s9
	v_add_co_u32_e32 v8, vcc, s8, v17
	v_addc_co_u32_e32 v9, vcc, 0, v9, vcc
	s_and_saveexec_b64 s[8:9], s[0:1]
	s_cbranch_execnz .LBB112_57
; %bb.47:
	s_or_b64 exec, exec, s[8:9]
	s_and_saveexec_b64 s[0:1], s[2:3]
	s_cbranch_execnz .LBB112_58
.LBB112_48:
	s_or_b64 exec, exec, s[0:1]
	s_and_saveexec_b64 s[0:1], s[4:5]
	s_cbranch_execz .LBB112_50
.LBB112_49:
	s_waitcnt lgkmcnt(1)
	v_add_co_u32_e32 v4, vcc, 0x1000, v8
	v_addc_co_u32_e32 v5, vcc, 0, v9, vcc
	s_waitcnt lgkmcnt(0)
	global_store_dwordx2 v[4:5], v[0:1], off
.LBB112_50:
	s_or_b64 exec, exec, s[0:1]
.LBB112_51:
	s_and_saveexec_b64 s[0:1], s[6:7]
	s_cbranch_execnz .LBB112_53
; %bb.52:
	s_endpgm
.LBB112_53:
	s_add_u32 s0, s42, s28
	s_addc_u32 s1, s43, s29
	s_waitcnt lgkmcnt(0)
	v_mov_b32_e32 v0, s1
	v_add_co_u32_e32 v1, vcc, s0, v17
	v_addc_co_u32_e32 v4, vcc, 0, v0, vcc
	v_add_co_u32_e32 v0, vcc, 0x1000, v1
	v_addc_co_u32_e32 v1, vcc, 0, v4, vcc
	global_store_dwordx2 v[0:1], v[2:3], off offset:2048
	s_endpgm
.LBB112_54:
	global_load_dwordx2 v[34:35], v[10:11], off
	s_or_b64 exec, exec, s[8:9]
                                        ; implicit-def: $vgpr36_vgpr37
	s_and_saveexec_b64 s[8:9], s[0:1]
	s_cbranch_execz .LBB112_13
.LBB112_55:
	global_load_dwordx2 v[36:37], v[10:11], off offset:512
	s_or_b64 exec, exec, s[8:9]
                                        ; implicit-def: $vgpr38_vgpr39
	s_and_saveexec_b64 s[0:1], s[2:3]
	s_cbranch_execz .LBB112_14
.LBB112_56:
	global_load_dwordx2 v[38:39], v[10:11], off offset:1024
	s_or_b64 exec, exec, s[0:1]
                                        ; implicit-def: $vgpr40_vgpr41
	s_and_saveexec_b64 s[0:1], s[6:7]
	s_cbranch_execnz .LBB112_15
	s_branch .LBB112_16
.LBB112_57:
	s_waitcnt lgkmcnt(1)
	global_store_dwordx2 v[8:9], v[4:5], off
	s_or_b64 exec, exec, s[8:9]
	s_and_saveexec_b64 s[0:1], s[2:3]
	s_cbranch_execz .LBB112_48
.LBB112_58:
	s_waitcnt lgkmcnt(1)
	global_store_dwordx2 v[8:9], v[6:7], off offset:2048
	s_or_b64 exec, exec, s[0:1]
	s_and_saveexec_b64 s[0:1], s[4:5]
	s_cbranch_execnz .LBB112_49
	s_branch .LBB112_50
	.section	.rodata,"a",@progbits
	.p2align	6, 0x0
	.amdhsa_kernel _ZN7rocprim17ROCPRIM_304000_NS6detail28radix_sort_block_sort_kernelINS1_36wrapped_radix_sort_block_sort_configINS0_13kernel_configILj256ELj4ELj4294967295EEElN2at4cuda3cub6detail10OpaqueTypeILi8EEEEELb0EPKlPlPKSB_PSB_NS0_19identity_decomposerEEEvT1_T2_T3_T4_jT5_jj
		.amdhsa_group_segment_fixed_size 8192
		.amdhsa_private_segment_fixed_size 0
		.amdhsa_kernarg_size 304
		.amdhsa_user_sgpr_count 6
		.amdhsa_user_sgpr_private_segment_buffer 1
		.amdhsa_user_sgpr_dispatch_ptr 0
		.amdhsa_user_sgpr_queue_ptr 0
		.amdhsa_user_sgpr_kernarg_segment_ptr 1
		.amdhsa_user_sgpr_dispatch_id 0
		.amdhsa_user_sgpr_flat_scratch_init 0
		.amdhsa_user_sgpr_kernarg_preload_length 0
		.amdhsa_user_sgpr_kernarg_preload_offset 0
		.amdhsa_user_sgpr_private_segment_size 0
		.amdhsa_uses_dynamic_stack 0
		.amdhsa_system_sgpr_private_segment_wavefront_offset 0
		.amdhsa_system_sgpr_workgroup_id_x 1
		.amdhsa_system_sgpr_workgroup_id_y 0
		.amdhsa_system_sgpr_workgroup_id_z 0
		.amdhsa_system_sgpr_workgroup_info 0
		.amdhsa_system_vgpr_workitem_id 2
		.amdhsa_next_free_vgpr 53
		.amdhsa_next_free_sgpr 44
		.amdhsa_accum_offset 56
		.amdhsa_reserve_vcc 1
		.amdhsa_reserve_flat_scratch 0
		.amdhsa_float_round_mode_32 0
		.amdhsa_float_round_mode_16_64 0
		.amdhsa_float_denorm_mode_32 3
		.amdhsa_float_denorm_mode_16_64 3
		.amdhsa_dx10_clamp 1
		.amdhsa_ieee_mode 1
		.amdhsa_fp16_overflow 0
		.amdhsa_tg_split 0
		.amdhsa_exception_fp_ieee_invalid_op 0
		.amdhsa_exception_fp_denorm_src 0
		.amdhsa_exception_fp_ieee_div_zero 0
		.amdhsa_exception_fp_ieee_overflow 0
		.amdhsa_exception_fp_ieee_underflow 0
		.amdhsa_exception_fp_ieee_inexact 0
		.amdhsa_exception_int_div_zero 0
	.end_amdhsa_kernel
	.section	.text._ZN7rocprim17ROCPRIM_304000_NS6detail28radix_sort_block_sort_kernelINS1_36wrapped_radix_sort_block_sort_configINS0_13kernel_configILj256ELj4ELj4294967295EEElN2at4cuda3cub6detail10OpaqueTypeILi8EEEEELb0EPKlPlPKSB_PSB_NS0_19identity_decomposerEEEvT1_T2_T3_T4_jT5_jj,"axG",@progbits,_ZN7rocprim17ROCPRIM_304000_NS6detail28radix_sort_block_sort_kernelINS1_36wrapped_radix_sort_block_sort_configINS0_13kernel_configILj256ELj4ELj4294967295EEElN2at4cuda3cub6detail10OpaqueTypeILi8EEEEELb0EPKlPlPKSB_PSB_NS0_19identity_decomposerEEEvT1_T2_T3_T4_jT5_jj,comdat
.Lfunc_end112:
	.size	_ZN7rocprim17ROCPRIM_304000_NS6detail28radix_sort_block_sort_kernelINS1_36wrapped_radix_sort_block_sort_configINS0_13kernel_configILj256ELj4ELj4294967295EEElN2at4cuda3cub6detail10OpaqueTypeILi8EEEEELb0EPKlPlPKSB_PSB_NS0_19identity_decomposerEEEvT1_T2_T3_T4_jT5_jj, .Lfunc_end112-_ZN7rocprim17ROCPRIM_304000_NS6detail28radix_sort_block_sort_kernelINS1_36wrapped_radix_sort_block_sort_configINS0_13kernel_configILj256ELj4ELj4294967295EEElN2at4cuda3cub6detail10OpaqueTypeILi8EEEEELb0EPKlPlPKSB_PSB_NS0_19identity_decomposerEEEvT1_T2_T3_T4_jT5_jj
                                        ; -- End function
	.section	.AMDGPU.csdata,"",@progbits
; Kernel info:
; codeLenInByte = 3920
; NumSgprs: 48
; NumVgprs: 53
; NumAgprs: 0
; TotalNumVgprs: 53
; ScratchSize: 0
; MemoryBound: 1
; FloatMode: 240
; IeeeMode: 1
; LDSByteSize: 8192 bytes/workgroup (compile time only)
; SGPRBlocks: 5
; VGPRBlocks: 6
; NumSGPRsForWavesPerEU: 48
; NumVGPRsForWavesPerEU: 53
; AccumOffset: 56
; Occupancy: 8
; WaveLimiterHint : 1
; COMPUTE_PGM_RSRC2:SCRATCH_EN: 0
; COMPUTE_PGM_RSRC2:USER_SGPR: 6
; COMPUTE_PGM_RSRC2:TRAP_HANDLER: 0
; COMPUTE_PGM_RSRC2:TGID_X_EN: 1
; COMPUTE_PGM_RSRC2:TGID_Y_EN: 0
; COMPUTE_PGM_RSRC2:TGID_Z_EN: 0
; COMPUTE_PGM_RSRC2:TIDIG_COMP_CNT: 2
; COMPUTE_PGM_RSRC3_GFX90A:ACCUM_OFFSET: 13
; COMPUTE_PGM_RSRC3_GFX90A:TG_SPLIT: 0
	.section	.text._ZN7rocprim17ROCPRIM_304000_NS6detail45device_block_merge_mergepath_partition_kernelINS1_37wrapped_merge_sort_block_merge_configINS0_14default_configElN2at4cuda3cub6detail10OpaqueTypeILi8EEEEEPljNS1_19radix_merge_compareILb0ELb0ElNS0_19identity_decomposerEEEEEvT0_T1_jPSH_T2_SH_,"axG",@progbits,_ZN7rocprim17ROCPRIM_304000_NS6detail45device_block_merge_mergepath_partition_kernelINS1_37wrapped_merge_sort_block_merge_configINS0_14default_configElN2at4cuda3cub6detail10OpaqueTypeILi8EEEEEPljNS1_19radix_merge_compareILb0ELb0ElNS0_19identity_decomposerEEEEEvT0_T1_jPSH_T2_SH_,comdat
	.protected	_ZN7rocprim17ROCPRIM_304000_NS6detail45device_block_merge_mergepath_partition_kernelINS1_37wrapped_merge_sort_block_merge_configINS0_14default_configElN2at4cuda3cub6detail10OpaqueTypeILi8EEEEEPljNS1_19radix_merge_compareILb0ELb0ElNS0_19identity_decomposerEEEEEvT0_T1_jPSH_T2_SH_ ; -- Begin function _ZN7rocprim17ROCPRIM_304000_NS6detail45device_block_merge_mergepath_partition_kernelINS1_37wrapped_merge_sort_block_merge_configINS0_14default_configElN2at4cuda3cub6detail10OpaqueTypeILi8EEEEEPljNS1_19radix_merge_compareILb0ELb0ElNS0_19identity_decomposerEEEEEvT0_T1_jPSH_T2_SH_
	.globl	_ZN7rocprim17ROCPRIM_304000_NS6detail45device_block_merge_mergepath_partition_kernelINS1_37wrapped_merge_sort_block_merge_configINS0_14default_configElN2at4cuda3cub6detail10OpaqueTypeILi8EEEEEPljNS1_19radix_merge_compareILb0ELb0ElNS0_19identity_decomposerEEEEEvT0_T1_jPSH_T2_SH_
	.p2align	8
	.type	_ZN7rocprim17ROCPRIM_304000_NS6detail45device_block_merge_mergepath_partition_kernelINS1_37wrapped_merge_sort_block_merge_configINS0_14default_configElN2at4cuda3cub6detail10OpaqueTypeILi8EEEEEPljNS1_19radix_merge_compareILb0ELb0ElNS0_19identity_decomposerEEEEEvT0_T1_jPSH_T2_SH_,@function
_ZN7rocprim17ROCPRIM_304000_NS6detail45device_block_merge_mergepath_partition_kernelINS1_37wrapped_merge_sort_block_merge_configINS0_14default_configElN2at4cuda3cub6detail10OpaqueTypeILi8EEEEEPljNS1_19radix_merge_compareILb0ELb0ElNS0_19identity_decomposerEEEEEvT0_T1_jPSH_T2_SH_: ; @_ZN7rocprim17ROCPRIM_304000_NS6detail45device_block_merge_mergepath_partition_kernelINS1_37wrapped_merge_sort_block_merge_configINS0_14default_configElN2at4cuda3cub6detail10OpaqueTypeILi8EEEEEPljNS1_19radix_merge_compareILb0ELb0ElNS0_19identity_decomposerEEEEEvT0_T1_jPSH_T2_SH_
; %bb.0:
	s_load_dwordx2 s[0:1], s[4:5], 0x8
	v_lshl_or_b32 v0, s6, 7, v0
	s_waitcnt lgkmcnt(0)
	v_cmp_gt_u32_e32 vcc, s1, v0
	s_and_saveexec_b64 s[2:3], vcc
	s_cbranch_execz .LBB113_6
; %bb.1:
	s_load_dword s1, s[4:5], 0x1c
	s_waitcnt lgkmcnt(0)
	s_lshr_b32 s2, s1, 9
	s_and_b32 s2, s2, 0x7ffffe
	s_add_i32 s3, s2, -1
	s_sub_i32 s2, 0, s2
	v_and_b32_e32 v1, s2, v0
	v_and_b32_e32 v2, s3, v0
	v_lshlrev_b32_e32 v1, 10, v1
	v_lshlrev_b32_e32 v3, 10, v2
	v_min_u32_e32 v2, s0, v1
	v_add_u32_e32 v1, s1, v1
	v_min_u32_e32 v4, s0, v1
	v_add_u32_e32 v1, s1, v4
	v_min_u32_e32 v1, s0, v1
	v_sub_u32_e32 v5, v1, v2
	v_min_u32_e32 v6, v5, v3
	v_sub_u32_e32 v3, v4, v2
	v_sub_u32_e32 v1, v1, v4
	v_sub_u32_e64 v1, v6, v1 clamp
	v_min_u32_e32 v7, v6, v3
	v_cmp_lt_u32_e32 vcc, v1, v7
	s_and_saveexec_b64 s[0:1], vcc
	s_cbranch_execz .LBB113_5
; %bb.2:
	s_load_dwordx2 s[2:3], s[4:5], 0x0
	v_mov_b32_e32 v5, 0
	v_mov_b32_e32 v3, v5
	v_lshlrev_b64 v[8:9], 3, v[2:3]
	v_lshlrev_b64 v[10:11], 3, v[4:5]
	s_waitcnt lgkmcnt(0)
	v_mov_b32_e32 v12, s3
	v_add_co_u32_e32 v3, vcc, s2, v8
	v_addc_co_u32_e32 v8, vcc, v12, v9, vcc
	v_add_co_u32_e32 v9, vcc, s2, v10
	v_addc_co_u32_e32 v10, vcc, v12, v11, vcc
	s_mov_b64 s[2:3], 0
.LBB113_3:                              ; =>This Inner Loop Header: Depth=1
	v_add_u32_e32 v4, v7, v1
	v_lshrrev_b32_e32 v4, 1, v4
	v_lshlrev_b64 v[14:15], 3, v[4:5]
	v_mov_b32_e32 v13, v5
	v_xad_u32 v12, v4, -1, v6
	v_add_co_u32_e32 v14, vcc, v3, v14
	v_addc_co_u32_e32 v15, vcc, v8, v15, vcc
	v_lshlrev_b64 v[12:13], 3, v[12:13]
	v_add_co_u32_e32 v12, vcc, v9, v12
	v_addc_co_u32_e32 v13, vcc, v10, v13, vcc
	global_load_dwordx2 v[16:17], v[14:15], off
	global_load_dwordx2 v[18:19], v[12:13], off
	v_add_u32_e32 v11, 1, v4
	s_waitcnt vmcnt(0)
	v_cmp_gt_i64_e32 vcc, v[16:17], v[18:19]
	v_cndmask_b32_e32 v7, v7, v4, vcc
	v_cndmask_b32_e32 v1, v11, v1, vcc
	v_cmp_ge_u32_e32 vcc, v1, v7
	s_or_b64 s[2:3], vcc, s[2:3]
	s_andn2_b64 exec, exec, s[2:3]
	s_cbranch_execnz .LBB113_3
; %bb.4:
	s_or_b64 exec, exec, s[2:3]
.LBB113_5:
	s_or_b64 exec, exec, s[0:1]
	s_load_dwordx2 s[0:1], s[4:5], 0x10
	v_add_u32_e32 v2, v1, v2
	v_mov_b32_e32 v1, 0
	v_lshlrev_b64 v[0:1], 2, v[0:1]
	s_waitcnt lgkmcnt(0)
	v_mov_b32_e32 v3, s1
	v_add_co_u32_e32 v0, vcc, s0, v0
	v_addc_co_u32_e32 v1, vcc, v3, v1, vcc
	global_store_dword v[0:1], v2, off
.LBB113_6:
	s_endpgm
	.section	.rodata,"a",@progbits
	.p2align	6, 0x0
	.amdhsa_kernel _ZN7rocprim17ROCPRIM_304000_NS6detail45device_block_merge_mergepath_partition_kernelINS1_37wrapped_merge_sort_block_merge_configINS0_14default_configElN2at4cuda3cub6detail10OpaqueTypeILi8EEEEEPljNS1_19radix_merge_compareILb0ELb0ElNS0_19identity_decomposerEEEEEvT0_T1_jPSH_T2_SH_
		.amdhsa_group_segment_fixed_size 0
		.amdhsa_private_segment_fixed_size 0
		.amdhsa_kernarg_size 32
		.amdhsa_user_sgpr_count 6
		.amdhsa_user_sgpr_private_segment_buffer 1
		.amdhsa_user_sgpr_dispatch_ptr 0
		.amdhsa_user_sgpr_queue_ptr 0
		.amdhsa_user_sgpr_kernarg_segment_ptr 1
		.amdhsa_user_sgpr_dispatch_id 0
		.amdhsa_user_sgpr_flat_scratch_init 0
		.amdhsa_user_sgpr_kernarg_preload_length 0
		.amdhsa_user_sgpr_kernarg_preload_offset 0
		.amdhsa_user_sgpr_private_segment_size 0
		.amdhsa_uses_dynamic_stack 0
		.amdhsa_system_sgpr_private_segment_wavefront_offset 0
		.amdhsa_system_sgpr_workgroup_id_x 1
		.amdhsa_system_sgpr_workgroup_id_y 0
		.amdhsa_system_sgpr_workgroup_id_z 0
		.amdhsa_system_sgpr_workgroup_info 0
		.amdhsa_system_vgpr_workitem_id 0
		.amdhsa_next_free_vgpr 20
		.amdhsa_next_free_sgpr 7
		.amdhsa_accum_offset 20
		.amdhsa_reserve_vcc 1
		.amdhsa_reserve_flat_scratch 0
		.amdhsa_float_round_mode_32 0
		.amdhsa_float_round_mode_16_64 0
		.amdhsa_float_denorm_mode_32 3
		.amdhsa_float_denorm_mode_16_64 3
		.amdhsa_dx10_clamp 1
		.amdhsa_ieee_mode 1
		.amdhsa_fp16_overflow 0
		.amdhsa_tg_split 0
		.amdhsa_exception_fp_ieee_invalid_op 0
		.amdhsa_exception_fp_denorm_src 0
		.amdhsa_exception_fp_ieee_div_zero 0
		.amdhsa_exception_fp_ieee_overflow 0
		.amdhsa_exception_fp_ieee_underflow 0
		.amdhsa_exception_fp_ieee_inexact 0
		.amdhsa_exception_int_div_zero 0
	.end_amdhsa_kernel
	.section	.text._ZN7rocprim17ROCPRIM_304000_NS6detail45device_block_merge_mergepath_partition_kernelINS1_37wrapped_merge_sort_block_merge_configINS0_14default_configElN2at4cuda3cub6detail10OpaqueTypeILi8EEEEEPljNS1_19radix_merge_compareILb0ELb0ElNS0_19identity_decomposerEEEEEvT0_T1_jPSH_T2_SH_,"axG",@progbits,_ZN7rocprim17ROCPRIM_304000_NS6detail45device_block_merge_mergepath_partition_kernelINS1_37wrapped_merge_sort_block_merge_configINS0_14default_configElN2at4cuda3cub6detail10OpaqueTypeILi8EEEEEPljNS1_19radix_merge_compareILb0ELb0ElNS0_19identity_decomposerEEEEEvT0_T1_jPSH_T2_SH_,comdat
.Lfunc_end113:
	.size	_ZN7rocprim17ROCPRIM_304000_NS6detail45device_block_merge_mergepath_partition_kernelINS1_37wrapped_merge_sort_block_merge_configINS0_14default_configElN2at4cuda3cub6detail10OpaqueTypeILi8EEEEEPljNS1_19radix_merge_compareILb0ELb0ElNS0_19identity_decomposerEEEEEvT0_T1_jPSH_T2_SH_, .Lfunc_end113-_ZN7rocprim17ROCPRIM_304000_NS6detail45device_block_merge_mergepath_partition_kernelINS1_37wrapped_merge_sort_block_merge_configINS0_14default_configElN2at4cuda3cub6detail10OpaqueTypeILi8EEEEEPljNS1_19radix_merge_compareILb0ELb0ElNS0_19identity_decomposerEEEEEvT0_T1_jPSH_T2_SH_
                                        ; -- End function
	.section	.AMDGPU.csdata,"",@progbits
; Kernel info:
; codeLenInByte = 364
; NumSgprs: 11
; NumVgprs: 20
; NumAgprs: 0
; TotalNumVgprs: 20
; ScratchSize: 0
; MemoryBound: 0
; FloatMode: 240
; IeeeMode: 1
; LDSByteSize: 0 bytes/workgroup (compile time only)
; SGPRBlocks: 1
; VGPRBlocks: 2
; NumSGPRsForWavesPerEU: 11
; NumVGPRsForWavesPerEU: 20
; AccumOffset: 20
; Occupancy: 8
; WaveLimiterHint : 0
; COMPUTE_PGM_RSRC2:SCRATCH_EN: 0
; COMPUTE_PGM_RSRC2:USER_SGPR: 6
; COMPUTE_PGM_RSRC2:TRAP_HANDLER: 0
; COMPUTE_PGM_RSRC2:TGID_X_EN: 1
; COMPUTE_PGM_RSRC2:TGID_Y_EN: 0
; COMPUTE_PGM_RSRC2:TGID_Z_EN: 0
; COMPUTE_PGM_RSRC2:TIDIG_COMP_CNT: 0
; COMPUTE_PGM_RSRC3_GFX90A:ACCUM_OFFSET: 4
; COMPUTE_PGM_RSRC3_GFX90A:TG_SPLIT: 0
	.section	.text._ZN7rocprim17ROCPRIM_304000_NS6detail35device_block_merge_mergepath_kernelINS1_37wrapped_merge_sort_block_merge_configINS0_14default_configElN2at4cuda3cub6detail10OpaqueTypeILi8EEEEEPlSC_PSA_SD_jNS1_19radix_merge_compareILb0ELb0ElNS0_19identity_decomposerEEEEEvT0_T1_T2_T3_T4_SL_jT5_PKSL_NS1_7vsmem_tE,"axG",@progbits,_ZN7rocprim17ROCPRIM_304000_NS6detail35device_block_merge_mergepath_kernelINS1_37wrapped_merge_sort_block_merge_configINS0_14default_configElN2at4cuda3cub6detail10OpaqueTypeILi8EEEEEPlSC_PSA_SD_jNS1_19radix_merge_compareILb0ELb0ElNS0_19identity_decomposerEEEEEvT0_T1_T2_T3_T4_SL_jT5_PKSL_NS1_7vsmem_tE,comdat
	.protected	_ZN7rocprim17ROCPRIM_304000_NS6detail35device_block_merge_mergepath_kernelINS1_37wrapped_merge_sort_block_merge_configINS0_14default_configElN2at4cuda3cub6detail10OpaqueTypeILi8EEEEEPlSC_PSA_SD_jNS1_19radix_merge_compareILb0ELb0ElNS0_19identity_decomposerEEEEEvT0_T1_T2_T3_T4_SL_jT5_PKSL_NS1_7vsmem_tE ; -- Begin function _ZN7rocprim17ROCPRIM_304000_NS6detail35device_block_merge_mergepath_kernelINS1_37wrapped_merge_sort_block_merge_configINS0_14default_configElN2at4cuda3cub6detail10OpaqueTypeILi8EEEEEPlSC_PSA_SD_jNS1_19radix_merge_compareILb0ELb0ElNS0_19identity_decomposerEEEEEvT0_T1_T2_T3_T4_SL_jT5_PKSL_NS1_7vsmem_tE
	.globl	_ZN7rocprim17ROCPRIM_304000_NS6detail35device_block_merge_mergepath_kernelINS1_37wrapped_merge_sort_block_merge_configINS0_14default_configElN2at4cuda3cub6detail10OpaqueTypeILi8EEEEEPlSC_PSA_SD_jNS1_19radix_merge_compareILb0ELb0ElNS0_19identity_decomposerEEEEEvT0_T1_T2_T3_T4_SL_jT5_PKSL_NS1_7vsmem_tE
	.p2align	8
	.type	_ZN7rocprim17ROCPRIM_304000_NS6detail35device_block_merge_mergepath_kernelINS1_37wrapped_merge_sort_block_merge_configINS0_14default_configElN2at4cuda3cub6detail10OpaqueTypeILi8EEEEEPlSC_PSA_SD_jNS1_19radix_merge_compareILb0ELb0ElNS0_19identity_decomposerEEEEEvT0_T1_T2_T3_T4_SL_jT5_PKSL_NS1_7vsmem_tE,@function
_ZN7rocprim17ROCPRIM_304000_NS6detail35device_block_merge_mergepath_kernelINS1_37wrapped_merge_sort_block_merge_configINS0_14default_configElN2at4cuda3cub6detail10OpaqueTypeILi8EEEEEPlSC_PSA_SD_jNS1_19radix_merge_compareILb0ELb0ElNS0_19identity_decomposerEEEEEvT0_T1_T2_T3_T4_SL_jT5_PKSL_NS1_7vsmem_tE: ; @_ZN7rocprim17ROCPRIM_304000_NS6detail35device_block_merge_mergepath_kernelINS1_37wrapped_merge_sort_block_merge_configINS0_14default_configElN2at4cuda3cub6detail10OpaqueTypeILi8EEEEEPlSC_PSA_SD_jNS1_19radix_merge_compareILb0ELb0ElNS0_19identity_decomposerEEEEEvT0_T1_T2_T3_T4_SL_jT5_PKSL_NS1_7vsmem_tE
; %bb.0:
	s_load_dwordx2 s[24:25], s[4:5], 0x40
	s_load_dwordx4 s[16:19], s[4:5], 0x20
	s_add_u32 s2, s4, 64
	s_addc_u32 s3, s5, 0
	s_waitcnt lgkmcnt(0)
	s_mul_i32 s0, s25, s8
	s_add_i32 s0, s0, s7
	s_mul_i32 s0, s0, s24
	s_add_i32 s0, s0, s6
	s_cmp_ge_u32 s0, s18
	s_cbranch_scc1 .LBB114_53
; %bb.1:
	s_load_dwordx8 s[8:15], s[4:5], 0x0
	s_load_dwordx2 s[18:19], s[4:5], 0x30
	s_lshr_b32 s28, s16, 10
	s_cmp_lg_u32 s0, s28
	s_mov_b32 s1, 0
	s_cselect_b64 s[20:21], -1, 0
	s_lshl_b64 s[4:5], s[0:1], 2
	s_waitcnt lgkmcnt(0)
	s_add_u32 s4, s18, s4
	s_addc_u32 s5, s19, s5
	s_lshr_b32 s7, s17, 9
	s_and_b32 s7, s7, 0x7ffffe
	s_load_dwordx2 s[4:5], s[4:5], 0x0
	s_sub_i32 s7, 0, s7
	s_and_b32 s19, s0, s7
	s_lshl_b32 s23, s19, 10
	s_lshl_b32 s18, s0, 10
	;; [unrolled: 1-line block ×3, first 2 shown]
	s_sub_i32 s22, s18, s23
	s_add_i32 s19, s19, s17
	s_add_i32 s25, s19, s22
	s_waitcnt lgkmcnt(0)
	s_sub_i32 s22, s25, s4
	s_sub_i32 s25, s25, s5
	;; [unrolled: 1-line block ×3, first 2 shown]
	s_min_u32 s22, s16, s22
	s_addk_i32 s25, 0x400
	s_or_b32 s7, s0, s7
	s_min_u32 s23, s16, s19
	s_add_i32 s19, s19, s17
	s_cmp_eq_u32 s7, -1
	s_cselect_b32 s7, s19, s25
	s_cselect_b32 s5, s23, s5
	s_min_u32 s7, s7, s16
	s_sub_i32 s19, s5, s4
	s_mov_b32 s5, s1
	s_sub_i32 s25, s7, s22
	s_lshl_b64 s[4:5], s[4:5], 3
	s_add_u32 s26, s8, s4
	s_mov_b32 s23, s1
	s_addc_u32 s27, s9, s5
	s_lshl_b64 s[22:23], s[22:23], 3
	s_add_u32 s7, s8, s22
	s_addc_u32 s8, s9, s23
	s_cmp_lt_u32 s6, s24
	v_mov_b32_e32 v5, 0
	s_cselect_b32 s1, 12, 18
	global_load_dword v1, v5, s[2:3] offset:14
	s_add_u32 s2, s2, s1
	s_addc_u32 s3, s3, 0
	global_load_ushort v2, v5, s[2:3]
	v_cmp_gt_u32_e32 vcc, s19, v0
	s_cmp_eq_u32 s0, s28
	s_waitcnt vmcnt(1)
	v_lshrrev_b32_e32 v3, 16, v1
	v_and_b32_e32 v1, 0xffff, v1
	v_mul_lo_u32 v1, v1, v3
	s_waitcnt vmcnt(0)
	v_mul_lo_u32 v1, v1, v2
	v_add_u32_e32 v8, v1, v0
	v_lshlrev_b32_e32 v1, 3, v0
	s_cbranch_scc1 .LBB114_3
; %bb.2:
	v_mov_b32_e32 v2, s27
	v_add_co_u32_e64 v6, s[0:1], s26, v1
	v_subrev_u32_e32 v4, s19, v0
	v_addc_co_u32_e64 v7, s[0:1], 0, v2, s[0:1]
	v_lshlrev_b64 v[2:3], 3, v[4:5]
	v_mov_b32_e32 v4, s8
	v_add_co_u32_e64 v2, s[0:1], s7, v2
	v_addc_co_u32_e64 v3, s[0:1], v4, v3, s[0:1]
	v_mov_b32_e32 v9, v5
	v_cndmask_b32_e32 v3, v3, v7, vcc
	v_cndmask_b32_e32 v2, v2, v6, vcc
	v_lshlrev_b64 v[6:7], 3, v[8:9]
	v_mov_b32_e32 v4, s27
	v_add_co_u32_e32 v6, vcc, s26, v6
	v_addc_co_u32_e32 v7, vcc, v4, v7, vcc
	v_subrev_u32_e32 v4, s19, v8
	v_lshlrev_b64 v[4:5], 3, v[4:5]
	v_mov_b32_e32 v9, s8
	v_add_co_u32_e32 v4, vcc, s7, v4
	v_addc_co_u32_e32 v5, vcc, v9, v5, vcc
	v_cmp_gt_u32_e32 vcc, s19, v8
	v_cndmask_b32_e32 v5, v5, v7, vcc
	v_cndmask_b32_e32 v4, v4, v6, vcc
	global_load_dwordx2 v[2:3], v[2:3], off
	s_add_i32 s17, s25, s19
	global_load_dwordx2 v[6:7], v[4:5], off
	s_cbranch_execz .LBB114_4
	s_branch .LBB114_9
.LBB114_3:
                                        ; implicit-def: $vgpr6_vgpr7
                                        ; implicit-def: $sgpr17
                                        ; implicit-def: $vgpr2_vgpr3_vgpr4_vgpr5
.LBB114_4:
	s_add_i32 s17, s25, s19
	v_cmp_gt_u32_e32 vcc, s17, v0
                                        ; implicit-def: $vgpr2_vgpr3
	s_and_saveexec_b64 s[0:1], vcc
	s_cbranch_execz .LBB114_6
; %bb.5:
	s_waitcnt vmcnt(1)
	v_mov_b32_e32 v2, s27
	v_add_co_u32_e32 v4, vcc, s26, v1
	v_mov_b32_e32 v3, 0
	v_addc_co_u32_e32 v5, vcc, 0, v2, vcc
	v_subrev_u32_e32 v2, s19, v0
	v_lshlrev_b64 v[2:3], 3, v[2:3]
	s_waitcnt vmcnt(0)
	v_mov_b32_e32 v6, s8
	v_add_co_u32_e32 v2, vcc, s7, v2
	v_addc_co_u32_e32 v3, vcc, v6, v3, vcc
	v_cmp_gt_u32_e32 vcc, s19, v0
	v_cndmask_b32_e32 v3, v3, v5, vcc
	v_cndmask_b32_e32 v2, v2, v4, vcc
	global_load_dwordx2 v[2:3], v[2:3], off
.LBB114_6:
	s_or_b64 exec, exec, s[0:1]
	v_cmp_gt_u32_e32 vcc, s17, v8
	s_and_saveexec_b64 s[2:3], vcc
                                        ; implicit-def: $vgpr4_vgpr5_vgpr6_vgpr7
	s_cbranch_execz .LBB114_8
; %bb.7:
	v_mov_b32_e32 v9, 0
	v_lshlrev_b64 v[4:5], 3, v[8:9]
	s_waitcnt vmcnt(0)
	v_mov_b32_e32 v6, s27
	v_add_co_u32_e32 v7, vcc, s26, v4
	v_addc_co_u32_e32 v6, vcc, v6, v5, vcc
	v_cmp_gt_u32_e32 vcc, s19, v8
	v_subrev_u32_e32 v8, s19, v8
	v_lshlrev_b64 v[4:5], 3, v[8:9]
	v_mov_b32_e32 v8, s8
	v_add_co_u32_e64 v4, s[0:1], s7, v4
	v_addc_co_u32_e64 v5, s[0:1], v8, v5, s[0:1]
	v_cndmask_b32_e32 v5, v5, v6, vcc
	v_cndmask_b32_e32 v4, v4, v7, vcc
	global_load_dwordx2 v[6:7], v[4:5], off
.LBB114_8:
	s_or_b64 exec, exec, s[2:3]
.LBB114_9:
	v_lshlrev_b32_e32 v10, 1, v0
	v_min_u32_e32 v4, s17, v10
	v_sub_u32_e64 v8, v4, s25 clamp
	v_min_u32_e32 v5, s19, v4
	v_cmp_lt_u32_e32 vcc, v8, v5
	s_waitcnt vmcnt(0)
	ds_write2st64_b64 v1, v[2:3], v[6:7] offset1:8
	s_waitcnt lgkmcnt(0)
	s_barrier
	s_and_saveexec_b64 s[0:1], vcc
	s_cbranch_execz .LBB114_13
; %bb.10:
	v_lshlrev_b32_e32 v9, 3, v4
	v_lshl_add_u32 v9, s19, 3, v9
	s_mov_b64 s[2:3], 0
.LBB114_11:                             ; =>This Inner Loop Header: Depth=1
	v_add_u32_e32 v11, v5, v8
	v_lshrrev_b32_e32 v11, 1, v11
	v_not_b32_e32 v12, v11
	v_lshlrev_b32_e32 v13, 3, v11
	v_lshl_add_u32 v14, v12, 3, v9
	ds_read_b64 v[12:13], v13
	ds_read_b64 v[14:15], v14
	v_add_u32_e32 v16, 1, v11
	s_waitcnt lgkmcnt(0)
	v_cmp_gt_i64_e32 vcc, v[12:13], v[14:15]
	v_cndmask_b32_e32 v5, v5, v11, vcc
	v_cndmask_b32_e32 v8, v16, v8, vcc
	v_cmp_ge_u32_e32 vcc, v8, v5
	s_or_b64 s[2:3], vcc, s[2:3]
	s_andn2_b64 exec, exec, s[2:3]
	s_cbranch_execnz .LBB114_11
; %bb.12:
	s_or_b64 exec, exec, s[2:3]
.LBB114_13:
	s_or_b64 exec, exec, s[0:1]
	v_sub_u32_e32 v4, v4, v8
	v_add_u32_e32 v9, s19, v4
	v_cmp_ge_u32_e32 vcc, s19, v8
	v_cmp_ge_u32_e64 s[0:1], s17, v9
	s_or_b64 s[0:1], vcc, s[0:1]
                                        ; implicit-def: $vgpr11
                                        ; implicit-def: $vgpr12
	s_and_saveexec_b64 s[6:7], s[0:1]
	s_cbranch_execz .LBB114_19
; %bb.14:
	v_cmp_gt_u32_e32 vcc, s19, v8
                                        ; implicit-def: $vgpr4_vgpr5
	s_and_saveexec_b64 s[0:1], vcc
	s_cbranch_execz .LBB114_16
; %bb.15:
	v_lshlrev_b32_e32 v2, 3, v8
	ds_read_b64 v[4:5], v2
.LBB114_16:
	s_or_b64 exec, exec, s[0:1]
	v_cmp_le_u32_e64 s[0:1], s17, v9
	v_cmp_gt_u32_e64 s[2:3], s17, v9
                                        ; implicit-def: $vgpr6_vgpr7
	s_and_saveexec_b64 s[8:9], s[2:3]
	s_cbranch_execz .LBB114_18
; %bb.17:
	v_lshlrev_b32_e32 v2, 3, v9
	ds_read_b64 v[6:7], v2
.LBB114_18:
	s_or_b64 exec, exec, s[8:9]
	s_waitcnt lgkmcnt(0)
	v_cmp_le_i64_e64 s[2:3], v[4:5], v[6:7]
	s_and_b64 s[2:3], vcc, s[2:3]
	s_or_b64 vcc, s[0:1], s[2:3]
	v_mov_b32_e32 v2, s17
	v_mov_b32_e32 v3, s19
	v_cndmask_b32_e32 v12, v9, v8, vcc
	v_cndmask_b32_e32 v2, v2, v3, vcc
	v_add_u32_e32 v11, 1, v12
	v_add_u32_e32 v2, -1, v2
	v_min_u32_e32 v2, v11, v2
	v_lshlrev_b32_e32 v2, 3, v2
	ds_read_b64 v[14:15], v2
	v_cndmask_b32_e32 v3, v7, v5, vcc
	v_cndmask_b32_e32 v2, v6, v4, vcc
	;; [unrolled: 1-line block ×4, first 2 shown]
	s_waitcnt lgkmcnt(0)
	v_cndmask_b32_e32 v7, v15, v7, vcc
	v_cndmask_b32_e32 v6, v14, v6, vcc
	;; [unrolled: 1-line block ×4, first 2 shown]
	v_cmp_gt_u32_e64 s[0:1], s19, v8
	v_cmp_le_i64_e64 s[2:3], v[4:5], v[6:7]
	v_cmp_le_u32_e32 vcc, s17, v9
	s_and_b64 s[0:1], s[0:1], s[2:3]
	s_or_b64 vcc, vcc, s[0:1]
	v_cndmask_b32_e32 v11, v9, v8, vcc
	v_cndmask_b32_e32 v7, v7, v5, vcc
	;; [unrolled: 1-line block ×3, first 2 shown]
.LBB114_19:
	s_or_b64 exec, exec, s[6:7]
	s_add_u32 s24, s12, s4
	s_addc_u32 s26, s13, s5
	s_add_u32 s12, s12, s22
	v_cndmask_b32_e64 v4, 0, 1, s[20:21]
	s_addc_u32 s13, s13, s23
	v_cmp_gt_u32_e64 s[4:5], s19, v0
	v_cmp_ne_u32_e64 s[0:1], 1, v4
	s_andn2_b64 vcc, exec, s[20:21]
	v_cmp_le_u32_e64 s[2:3], s19, v0
	s_barrier
	s_cbranch_vccnz .LBB114_21
; %bb.20:
	v_subrev_u32_e32 v4, s19, v0
	v_mov_b32_e32 v5, 0
	v_lshlrev_b64 v[8:9], 3, v[4:5]
	v_mov_b32_e32 v4, s13
	v_add_co_u32_e32 v8, vcc, s12, v8
	v_addc_co_u32_e32 v4, vcc, v4, v9, vcc
	v_mov_b32_e32 v9, s26
	v_add_co_u32_e32 v13, vcc, s24, v1
	v_addc_co_u32_e32 v14, vcc, 0, v9, vcc
	v_cndmask_b32_e64 v9, v4, v14, s[4:5]
	v_cndmask_b32_e64 v8, v8, v13, s[4:5]
	global_load_dwordx2 v[8:9], v[8:9], off
	v_or_b32_e32 v15, 0x200, v0
	s_movk_i32 s4, 0x1000
	v_add_co_u32_e32 v13, vcc, s4, v13
	v_subrev_u32_e32 v4, s19, v15
	v_addc_co_u32_e32 v14, vcc, 0, v14, vcc
	v_lshlrev_b64 v[4:5], 3, v[4:5]
	v_mov_b32_e32 v16, s13
	v_add_co_u32_e32 v4, vcc, s12, v4
	v_addc_co_u32_e32 v5, vcc, v16, v5, vcc
	v_cmp_gt_u32_e32 vcc, s19, v15
	v_cndmask_b32_e32 v5, v5, v14, vcc
	v_cndmask_b32_e32 v4, v4, v13, vcc
	s_mov_b64 s[4:5], -1
	s_waitcnt vmcnt(0)
	ds_write_b64 v1, v[8:9]
	s_cbranch_execz .LBB114_22
	s_branch .LBB114_33
.LBB114_21:
	s_mov_b64 s[4:5], 0
                                        ; implicit-def: $vgpr4_vgpr5
.LBB114_22:
	s_mov_b64 s[6:7], 0
                                        ; implicit-def: $vgpr4_vgpr5
	s_and_saveexec_b64 s[8:9], s[2:3]
	s_xor_b64 s[2:3], exec, s[8:9]
	s_cbranch_execnz .LBB114_54
; %bb.23:
	s_andn2_saveexec_b64 s[2:3], s[2:3]
	s_cbranch_execnz .LBB114_57
.LBB114_24:
	s_or_b64 exec, exec, s[2:3]
	s_and_saveexec_b64 s[2:3], s[6:7]
	s_cbranch_execz .LBB114_26
.LBB114_25:
	global_load_dwordx2 v[4:5], v[4:5], off
	s_waitcnt vmcnt(0)
	ds_write_b64 v1, v[4:5]
.LBB114_26:
	s_or_b64 exec, exec, s[2:3]
	v_or_b32_e32 v8, 0x200, v0
	v_cmp_le_u32_e32 vcc, s19, v8
                                        ; implicit-def: $vgpr4_vgpr5
	s_and_saveexec_b64 s[2:3], vcc
	s_xor_b64 s[2:3], exec, s[2:3]
	s_cbranch_execz .LBB114_30
; %bb.27:
	v_subrev_u32_e32 v8, s19, v8
	v_cmp_gt_u32_e32 vcc, s25, v8
	s_mov_b64 s[8:9], s[4:5]
                                        ; implicit-def: $vgpr4_vgpr5
	s_and_saveexec_b64 s[6:7], vcc
; %bb.28:
	v_mov_b32_e32 v9, 0
	v_lshlrev_b64 v[4:5], 3, v[8:9]
	v_mov_b32_e32 v8, s13
	v_add_co_u32_e32 v4, vcc, s12, v4
	v_addc_co_u32_e32 v5, vcc, v8, v5, vcc
	s_or_b64 s[8:9], s[4:5], exec
; %bb.29:
	s_or_b64 exec, exec, s[6:7]
	s_andn2_b64 s[4:5], s[4:5], exec
	s_and_b64 s[6:7], s[8:9], exec
	s_or_b64 s[4:5], s[4:5], s[6:7]
                                        ; implicit-def: $vgpr8
.LBB114_30:
	s_andn2_saveexec_b64 s[2:3], s[2:3]
; %bb.31:
	v_lshlrev_b32_e32 v4, 3, v8
	v_mov_b32_e32 v5, s26
	v_add_co_u32_e32 v4, vcc, s24, v4
	v_addc_co_u32_e32 v5, vcc, 0, v5, vcc
	s_or_b64 s[4:5], s[4:5], exec
; %bb.32:
	s_or_b64 exec, exec, s[2:3]
.LBB114_33:
	s_and_saveexec_b64 s[2:3], s[4:5]
	s_cbranch_execz .LBB114_35
; %bb.34:
	global_load_dwordx2 v[4:5], v[4:5], off
	s_waitcnt vmcnt(0)
	ds_write_b64 v1, v[4:5] offset:4096
.LBB114_35:
	s_or_b64 exec, exec, s[2:3]
	s_and_b64 vcc, exec, s[0:1]
	v_add_u32_e32 v4, s18, v10
	s_waitcnt lgkmcnt(0)
	s_barrier
	s_cbranch_vccnz .LBB114_37
; %bb.36:
	v_lshlrev_b32_e32 v13, 3, v12
	ds_read_b64 v[14:15], v13
	v_mov_b32_e32 v5, 0
	v_lshlrev_b64 v[8:9], 3, v[4:5]
	v_mov_b32_e32 v16, s15
	v_add_co_u32_e32 v8, vcc, s14, v8
	v_addc_co_u32_e32 v9, vcc, v16, v9, vcc
	s_mov_b64 s[0:1], -1
	s_waitcnt lgkmcnt(0)
	global_store_dwordx2 v[8:9], v[14:15], off
	s_cbranch_execz .LBB114_38
	s_branch .LBB114_43
.LBB114_37:
	s_mov_b64 s[0:1], 0
.LBB114_38:
	v_cmp_gt_u32_e32 vcc, s17, v10
	s_and_saveexec_b64 s[2:3], vcc
	s_cbranch_execz .LBB114_40
; %bb.39:
	v_lshlrev_b32_e32 v12, 3, v12
	ds_read_b64 v[12:13], v12
	v_mov_b32_e32 v5, 0
	v_lshlrev_b64 v[8:9], 3, v[4:5]
	v_mov_b32_e32 v5, s15
	v_add_co_u32_e32 v8, vcc, s14, v8
	v_addc_co_u32_e32 v9, vcc, v5, v9, vcc
	s_waitcnt lgkmcnt(0)
	global_store_dwordx2 v[8:9], v[12:13], off
.LBB114_40:
	s_or_b64 exec, exec, s[2:3]
	v_or_b32_e32 v5, 1, v10
	v_cmp_gt_u32_e32 vcc, s17, v5
	s_and_saveexec_b64 s[2:3], vcc
; %bb.41:
	v_mov_b32_e32 v5, 0
	s_or_b64 s[0:1], s[0:1], exec
; %bb.42:
	s_or_b64 exec, exec, s[2:3]
.LBB114_43:
	s_and_saveexec_b64 s[2:3], s[0:1]
	s_cbranch_execz .LBB114_45
; %bb.44:
	v_lshlrev_b32_e32 v8, 3, v11
	ds_read_b64 v[8:9], v8
	v_lshlrev_b64 v[4:5], 3, v[4:5]
	v_mov_b32_e32 v12, s15
	v_add_co_u32_e32 v4, vcc, s14, v4
	v_addc_co_u32_e32 v5, vcc, v12, v5, vcc
	s_waitcnt lgkmcnt(0)
	global_store_dwordx2 v[4:5], v[8:9], off offset:8
.LBB114_45:
	s_or_b64 exec, exec, s[2:3]
	v_lshrrev_b32_e32 v4, 1, v0
	v_and_b32_e32 v4, 0xf8, v4
	v_lshl_add_u32 v4, v10, 3, v4
	s_barrier
	s_barrier
	s_mov_b32 s19, 0
	ds_write2_b64 v4, v[2:3], v[6:7] offset1:1
	v_lshrrev_b32_e32 v2, 2, v0
	s_lshl_b64 s[0:1], s[18:19], 3
	v_and_b32_e32 v2, 0x78, v2
	v_or_b32_e32 v6, 0x200, v0
	s_add_u32 s0, s10, s0
	v_add_u32_e32 v7, v1, v2
	v_lshrrev_b32_e32 v2, 2, v6
	s_addc_u32 s1, s11, s1
	v_and_b32_e32 v2, 0xf8, v2
	v_add_u32_e32 v8, v1, v2
	v_mov_b32_e32 v3, s1
	v_add_co_u32_e32 v2, vcc, s0, v1
	v_addc_co_u32_e32 v3, vcc, 0, v3, vcc
	s_and_b64 vcc, exec, s[20:21]
	s_waitcnt lgkmcnt(0)
	s_cbranch_vccz .LBB114_47
; %bb.46:
	s_barrier
	ds_read_b64 v[10:11], v7
	ds_read_b64 v[4:5], v8 offset:4096
	s_mov_b64 s[0:1], -1
	s_waitcnt lgkmcnt(1)
	global_store_dwordx2 v[2:3], v[10:11], off
	s_cbranch_execz .LBB114_48
	s_branch .LBB114_51
.LBB114_47:
	s_mov_b64 s[0:1], 0
                                        ; implicit-def: $vgpr4_vgpr5
.LBB114_48:
	s_barrier
	s_waitcnt lgkmcnt(0)
	ds_read_b64 v[4:5], v8 offset:4096
	s_sub_i32 s2, s16, s18
	v_cmp_gt_u32_e32 vcc, s2, v0
	s_and_saveexec_b64 s[0:1], vcc
	s_cbranch_execz .LBB114_50
; %bb.49:
	ds_read_b64 v[0:1], v7
	s_waitcnt lgkmcnt(0)
	global_store_dwordx2 v[2:3], v[0:1], off
.LBB114_50:
	s_or_b64 exec, exec, s[0:1]
	v_cmp_gt_u32_e64 s[0:1], s2, v6
.LBB114_51:
	s_and_saveexec_b64 s[2:3], s[0:1]
	s_cbranch_execz .LBB114_53
; %bb.52:
	v_add_co_u32_e32 v0, vcc, 0x1000, v2
	v_addc_co_u32_e32 v1, vcc, 0, v3, vcc
	s_waitcnt lgkmcnt(0)
	global_store_dwordx2 v[0:1], v[4:5], off
.LBB114_53:
	s_endpgm
.LBB114_54:
	v_subrev_u32_e32 v8, s19, v0
	v_cmp_gt_u32_e32 vcc, s25, v8
                                        ; implicit-def: $vgpr4_vgpr5
	s_and_saveexec_b64 s[8:9], vcc
	s_xor_b64 s[8:9], exec, s[8:9]
; %bb.55:
	v_mov_b32_e32 v9, 0
	v_lshlrev_b64 v[4:5], 3, v[8:9]
	v_mov_b32_e32 v8, s13
	v_add_co_u32_e32 v4, vcc, s12, v4
	s_mov_b64 s[6:7], exec
	v_addc_co_u32_e32 v5, vcc, v8, v5, vcc
; %bb.56:
	s_or_b64 exec, exec, s[8:9]
	s_and_b64 s[6:7], s[6:7], exec
	s_andn2_saveexec_b64 s[2:3], s[2:3]
	s_cbranch_execz .LBB114_24
.LBB114_57:
	v_mov_b32_e32 v5, s26
	v_add_co_u32_e32 v4, vcc, s24, v1
	v_addc_co_u32_e32 v5, vcc, 0, v5, vcc
	s_or_b64 s[6:7], s[6:7], exec
	s_or_b64 exec, exec, s[2:3]
	s_and_saveexec_b64 s[2:3], s[6:7]
	s_cbranch_execnz .LBB114_25
	s_branch .LBB114_26
	.section	.rodata,"a",@progbits
	.p2align	6, 0x0
	.amdhsa_kernel _ZN7rocprim17ROCPRIM_304000_NS6detail35device_block_merge_mergepath_kernelINS1_37wrapped_merge_sort_block_merge_configINS0_14default_configElN2at4cuda3cub6detail10OpaqueTypeILi8EEEEEPlSC_PSA_SD_jNS1_19radix_merge_compareILb0ELb0ElNS0_19identity_decomposerEEEEEvT0_T1_T2_T3_T4_SL_jT5_PKSL_NS1_7vsmem_tE
		.amdhsa_group_segment_fixed_size 8448
		.amdhsa_private_segment_fixed_size 0
		.amdhsa_kernarg_size 320
		.amdhsa_user_sgpr_count 6
		.amdhsa_user_sgpr_private_segment_buffer 1
		.amdhsa_user_sgpr_dispatch_ptr 0
		.amdhsa_user_sgpr_queue_ptr 0
		.amdhsa_user_sgpr_kernarg_segment_ptr 1
		.amdhsa_user_sgpr_dispatch_id 0
		.amdhsa_user_sgpr_flat_scratch_init 0
		.amdhsa_user_sgpr_kernarg_preload_length 0
		.amdhsa_user_sgpr_kernarg_preload_offset 0
		.amdhsa_user_sgpr_private_segment_size 0
		.amdhsa_uses_dynamic_stack 0
		.amdhsa_system_sgpr_private_segment_wavefront_offset 0
		.amdhsa_system_sgpr_workgroup_id_x 1
		.amdhsa_system_sgpr_workgroup_id_y 1
		.amdhsa_system_sgpr_workgroup_id_z 1
		.amdhsa_system_sgpr_workgroup_info 0
		.amdhsa_system_vgpr_workitem_id 0
		.amdhsa_next_free_vgpr 17
		.amdhsa_next_free_sgpr 29
		.amdhsa_accum_offset 20
		.amdhsa_reserve_vcc 1
		.amdhsa_reserve_flat_scratch 0
		.amdhsa_float_round_mode_32 0
		.amdhsa_float_round_mode_16_64 0
		.amdhsa_float_denorm_mode_32 3
		.amdhsa_float_denorm_mode_16_64 3
		.amdhsa_dx10_clamp 1
		.amdhsa_ieee_mode 1
		.amdhsa_fp16_overflow 0
		.amdhsa_tg_split 0
		.amdhsa_exception_fp_ieee_invalid_op 0
		.amdhsa_exception_fp_denorm_src 0
		.amdhsa_exception_fp_ieee_div_zero 0
		.amdhsa_exception_fp_ieee_overflow 0
		.amdhsa_exception_fp_ieee_underflow 0
		.amdhsa_exception_fp_ieee_inexact 0
		.amdhsa_exception_int_div_zero 0
	.end_amdhsa_kernel
	.section	.text._ZN7rocprim17ROCPRIM_304000_NS6detail35device_block_merge_mergepath_kernelINS1_37wrapped_merge_sort_block_merge_configINS0_14default_configElN2at4cuda3cub6detail10OpaqueTypeILi8EEEEEPlSC_PSA_SD_jNS1_19radix_merge_compareILb0ELb0ElNS0_19identity_decomposerEEEEEvT0_T1_T2_T3_T4_SL_jT5_PKSL_NS1_7vsmem_tE,"axG",@progbits,_ZN7rocprim17ROCPRIM_304000_NS6detail35device_block_merge_mergepath_kernelINS1_37wrapped_merge_sort_block_merge_configINS0_14default_configElN2at4cuda3cub6detail10OpaqueTypeILi8EEEEEPlSC_PSA_SD_jNS1_19radix_merge_compareILb0ELb0ElNS0_19identity_decomposerEEEEEvT0_T1_T2_T3_T4_SL_jT5_PKSL_NS1_7vsmem_tE,comdat
.Lfunc_end114:
	.size	_ZN7rocprim17ROCPRIM_304000_NS6detail35device_block_merge_mergepath_kernelINS1_37wrapped_merge_sort_block_merge_configINS0_14default_configElN2at4cuda3cub6detail10OpaqueTypeILi8EEEEEPlSC_PSA_SD_jNS1_19radix_merge_compareILb0ELb0ElNS0_19identity_decomposerEEEEEvT0_T1_T2_T3_T4_SL_jT5_PKSL_NS1_7vsmem_tE, .Lfunc_end114-_ZN7rocprim17ROCPRIM_304000_NS6detail35device_block_merge_mergepath_kernelINS1_37wrapped_merge_sort_block_merge_configINS0_14default_configElN2at4cuda3cub6detail10OpaqueTypeILi8EEEEEPlSC_PSA_SD_jNS1_19radix_merge_compareILb0ELb0ElNS0_19identity_decomposerEEEEEvT0_T1_T2_T3_T4_SL_jT5_PKSL_NS1_7vsmem_tE
                                        ; -- End function
	.section	.AMDGPU.csdata,"",@progbits
; Kernel info:
; codeLenInByte = 2056
; NumSgprs: 33
; NumVgprs: 17
; NumAgprs: 0
; TotalNumVgprs: 17
; ScratchSize: 0
; MemoryBound: 1
; FloatMode: 240
; IeeeMode: 1
; LDSByteSize: 8448 bytes/workgroup (compile time only)
; SGPRBlocks: 4
; VGPRBlocks: 2
; NumSGPRsForWavesPerEU: 33
; NumVGPRsForWavesPerEU: 17
; AccumOffset: 20
; Occupancy: 8
; WaveLimiterHint : 1
; COMPUTE_PGM_RSRC2:SCRATCH_EN: 0
; COMPUTE_PGM_RSRC2:USER_SGPR: 6
; COMPUTE_PGM_RSRC2:TRAP_HANDLER: 0
; COMPUTE_PGM_RSRC2:TGID_X_EN: 1
; COMPUTE_PGM_RSRC2:TGID_Y_EN: 1
; COMPUTE_PGM_RSRC2:TGID_Z_EN: 1
; COMPUTE_PGM_RSRC2:TIDIG_COMP_CNT: 0
; COMPUTE_PGM_RSRC3_GFX90A:ACCUM_OFFSET: 4
; COMPUTE_PGM_RSRC3_GFX90A:TG_SPLIT: 0
	.section	.text._ZN7rocprim17ROCPRIM_304000_NS6detail33device_block_merge_oddeven_kernelINS1_37wrapped_merge_sort_block_merge_configINS0_14default_configElN2at4cuda3cub6detail10OpaqueTypeILi8EEEEEPlSC_PSA_SD_jNS1_19radix_merge_compareILb0ELb0ElNS0_19identity_decomposerEEEEEvT0_T1_T2_T3_T4_SL_T5_,"axG",@progbits,_ZN7rocprim17ROCPRIM_304000_NS6detail33device_block_merge_oddeven_kernelINS1_37wrapped_merge_sort_block_merge_configINS0_14default_configElN2at4cuda3cub6detail10OpaqueTypeILi8EEEEEPlSC_PSA_SD_jNS1_19radix_merge_compareILb0ELb0ElNS0_19identity_decomposerEEEEEvT0_T1_T2_T3_T4_SL_T5_,comdat
	.protected	_ZN7rocprim17ROCPRIM_304000_NS6detail33device_block_merge_oddeven_kernelINS1_37wrapped_merge_sort_block_merge_configINS0_14default_configElN2at4cuda3cub6detail10OpaqueTypeILi8EEEEEPlSC_PSA_SD_jNS1_19radix_merge_compareILb0ELb0ElNS0_19identity_decomposerEEEEEvT0_T1_T2_T3_T4_SL_T5_ ; -- Begin function _ZN7rocprim17ROCPRIM_304000_NS6detail33device_block_merge_oddeven_kernelINS1_37wrapped_merge_sort_block_merge_configINS0_14default_configElN2at4cuda3cub6detail10OpaqueTypeILi8EEEEEPlSC_PSA_SD_jNS1_19radix_merge_compareILb0ELb0ElNS0_19identity_decomposerEEEEEvT0_T1_T2_T3_T4_SL_T5_
	.globl	_ZN7rocprim17ROCPRIM_304000_NS6detail33device_block_merge_oddeven_kernelINS1_37wrapped_merge_sort_block_merge_configINS0_14default_configElN2at4cuda3cub6detail10OpaqueTypeILi8EEEEEPlSC_PSA_SD_jNS1_19radix_merge_compareILb0ELb0ElNS0_19identity_decomposerEEEEEvT0_T1_T2_T3_T4_SL_T5_
	.p2align	8
	.type	_ZN7rocprim17ROCPRIM_304000_NS6detail33device_block_merge_oddeven_kernelINS1_37wrapped_merge_sort_block_merge_configINS0_14default_configElN2at4cuda3cub6detail10OpaqueTypeILi8EEEEEPlSC_PSA_SD_jNS1_19radix_merge_compareILb0ELb0ElNS0_19identity_decomposerEEEEEvT0_T1_T2_T3_T4_SL_T5_,@function
_ZN7rocprim17ROCPRIM_304000_NS6detail33device_block_merge_oddeven_kernelINS1_37wrapped_merge_sort_block_merge_configINS0_14default_configElN2at4cuda3cub6detail10OpaqueTypeILi8EEEEEPlSC_PSA_SD_jNS1_19radix_merge_compareILb0ELb0ElNS0_19identity_decomposerEEEEEvT0_T1_T2_T3_T4_SL_T5_: ; @_ZN7rocprim17ROCPRIM_304000_NS6detail33device_block_merge_oddeven_kernelINS1_37wrapped_merge_sort_block_merge_configINS0_14default_configElN2at4cuda3cub6detail10OpaqueTypeILi8EEEEEPlSC_PSA_SD_jNS1_19radix_merge_compareILb0ELb0ElNS0_19identity_decomposerEEEEEvT0_T1_T2_T3_T4_SL_T5_
; %bb.0:
	s_load_dwordx2 s[16:17], s[4:5], 0x20
	s_waitcnt lgkmcnt(0)
	s_lshr_b32 s2, s16, 8
	s_cmp_lg_u32 s6, s2
	s_cselect_b64 s[0:1], -1, 0
	s_cmp_eq_u32 s6, s2
	s_cselect_b64 s[18:19], -1, 0
	s_lshl_b32 s20, s6, 8
	s_sub_i32 s2, s16, s20
	v_cmp_gt_u32_e64 s[2:3], s2, v0
	s_or_b64 s[0:1], s[0:1], s[2:3]
	s_and_saveexec_b64 s[8:9], s[0:1]
	s_cbranch_execz .LBB115_26
; %bb.1:
	s_load_dwordx8 s[8:15], s[4:5], 0x0
	s_mov_b32 s21, 0
	s_lshl_b64 s[0:1], s[20:21], 3
	v_lshlrev_b32_e32 v1, 3, v0
	v_add_u32_e32 v6, s20, v0
	s_waitcnt lgkmcnt(0)
	s_add_u32 s4, s8, s0
	s_addc_u32 s5, s9, s1
	s_add_u32 s0, s12, s0
	s_addc_u32 s1, s13, s1
	global_load_dwordx2 v[2:3], v1, s[0:1]
	global_load_dwordx2 v[4:5], v1, s[4:5]
	s_lshr_b32 s0, s17, 8
	s_sub_i32 s1, 0, s0
	s_and_b32 s1, s6, s1
	s_and_b32 s0, s1, s0
	s_lshl_b32 s22, s1, 8
	s_sub_i32 s6, 0, s17
	s_cmp_eq_u32 s0, 0
	s_cselect_b64 s[0:1], -1, 0
	s_and_b64 s[4:5], s[0:1], exec
	s_cselect_b32 s21, s17, s6
	s_add_i32 s21, s21, s22
	s_cmp_lt_u32 s21, s16
	s_cbranch_scc1 .LBB115_6
; %bb.2:
	s_and_b64 vcc, exec, s[18:19]
	s_cbranch_vccz .LBB115_7
; %bb.3:
	v_cmp_gt_u32_e32 vcc, s16, v6
	s_mov_b64 s[6:7], 0
	s_mov_b64 s[4:5], 0
                                        ; implicit-def: $vgpr0_vgpr1
	s_and_saveexec_b64 s[12:13], vcc
	s_cbranch_execz .LBB115_5
; %bb.4:
	v_mov_b32_e32 v7, 0
	v_lshlrev_b64 v[8:9], 3, v[6:7]
	v_mov_b32_e32 v1, s15
	v_add_co_u32_e32 v0, vcc, s14, v8
	v_addc_co_u32_e32 v1, vcc, v1, v9, vcc
	v_mov_b32_e32 v7, s11
	v_add_co_u32_e32 v8, vcc, s10, v8
	s_mov_b64 s[4:5], exec
	v_addc_co_u32_e32 v9, vcc, v7, v9, vcc
	s_waitcnt vmcnt(0)
	global_store_dwordx2 v[8:9], v[4:5], off
.LBB115_5:
	s_or_b64 exec, exec, s[12:13]
	s_and_b64 vcc, exec, s[6:7]
	s_cbranch_vccnz .LBB115_8
	s_branch .LBB115_9
.LBB115_6:
	s_mov_b64 s[4:5], 0
                                        ; implicit-def: $vgpr0_vgpr1
	s_cbranch_execnz .LBB115_10
	s_branch .LBB115_24
.LBB115_7:
	s_mov_b64 s[4:5], 0
                                        ; implicit-def: $vgpr0_vgpr1
	s_cbranch_execz .LBB115_9
.LBB115_8:
	v_mov_b32_e32 v7, 0
	v_lshlrev_b64 v[0:1], 3, v[6:7]
	v_mov_b32_e32 v7, s11
	v_add_co_u32_e32 v8, vcc, s10, v0
	v_addc_co_u32_e32 v9, vcc, v7, v1, vcc
	v_mov_b32_e32 v7, s15
	v_add_co_u32_e32 v0, vcc, s14, v0
	v_addc_co_u32_e32 v1, vcc, v7, v1, vcc
	s_or_b64 s[4:5], s[4:5], exec
	s_waitcnt vmcnt(0)
	global_store_dwordx2 v[8:9], v[4:5], off
.LBB115_9:
	s_branch .LBB115_24
.LBB115_10:
	s_min_u32 s12, s21, s16
	s_add_i32 s6, s12, s17
	s_min_u32 s13, s6, s16
	s_min_u32 s6, s22, s12
	s_add_i32 s22, s22, s12
	v_subrev_u32_e32 v0, s22, v6
	v_add_u32_e32 v6, s6, v0
	s_and_b64 vcc, exec, s[18:19]
	s_cbranch_vccz .LBB115_18
; %bb.11:
                                        ; implicit-def: $vgpr0_vgpr1
	s_and_saveexec_b64 s[6:7], s[2:3]
	s_cbranch_execz .LBB115_17
; %bb.12:
	s_cmp_ge_u32 s21, s13
	v_mov_b32_e32 v7, s12
	s_cbranch_scc1 .LBB115_16
; %bb.13:
	s_mov_b64 s[2:3], 0
	v_mov_b32_e32 v8, s13
	v_mov_b32_e32 v7, s12
	v_mov_b32_e32 v1, 0
	v_mov_b32_e32 v9, s9
.LBB115_14:                             ; =>This Inner Loop Header: Depth=1
	v_add_u32_e32 v0, v7, v8
	v_lshrrev_b32_e32 v0, 1, v0
	v_lshlrev_b64 v[10:11], 3, v[0:1]
	v_add_co_u32_e32 v10, vcc, s8, v10
	v_addc_co_u32_e32 v11, vcc, v9, v11, vcc
	global_load_dwordx2 v[10:11], v[10:11], off
	v_add_u32_e32 v12, 1, v0
	s_waitcnt vmcnt(0)
	v_cmp_gt_i64_e32 vcc, v[4:5], v[10:11]
	v_cndmask_b32_e64 v13, 0, 1, vcc
	v_cmp_le_i64_e32 vcc, v[10:11], v[4:5]
	v_cndmask_b32_e64 v10, 0, 1, vcc
	v_cndmask_b32_e64 v10, v10, v13, s[0:1]
	v_and_b32_e32 v10, 1, v10
	v_cmp_eq_u32_e32 vcc, 1, v10
	v_cndmask_b32_e32 v8, v0, v8, vcc
	v_cndmask_b32_e32 v7, v7, v12, vcc
	v_cmp_ge_u32_e32 vcc, v7, v8
	s_or_b64 s[2:3], vcc, s[2:3]
	s_andn2_b64 exec, exec, s[2:3]
	s_cbranch_execnz .LBB115_14
; %bb.15:
	s_or_b64 exec, exec, s[2:3]
.LBB115_16:
	v_add_u32_e32 v0, v7, v6
	v_mov_b32_e32 v1, 0
	v_lshlrev_b64 v[0:1], 3, v[0:1]
	v_mov_b32_e32 v7, s11
	v_add_co_u32_e32 v8, vcc, s10, v0
	v_addc_co_u32_e32 v9, vcc, v7, v1, vcc
	v_mov_b32_e32 v7, s15
	v_add_co_u32_e32 v0, vcc, s14, v0
	s_waitcnt vmcnt(0)
	global_store_dwordx2 v[8:9], v[4:5], off
	v_addc_co_u32_e32 v1, vcc, v7, v1, vcc
	s_or_b64 s[4:5], s[4:5], exec
.LBB115_17:
	s_or_b64 exec, exec, s[6:7]
	s_branch .LBB115_24
.LBB115_18:
                                        ; implicit-def: $vgpr0_vgpr1
	s_cbranch_execz .LBB115_24
; %bb.19:
	s_cmp_ge_u32 s21, s13
	v_mov_b32_e32 v7, s12
	s_cbranch_scc1 .LBB115_23
; %bb.20:
	s_mov_b64 s[2:3], 0
	v_mov_b32_e32 v8, s13
	v_mov_b32_e32 v7, s12
	;; [unrolled: 1-line block ×4, first 2 shown]
.LBB115_21:                             ; =>This Inner Loop Header: Depth=1
	v_add_u32_e32 v0, v7, v8
	v_lshrrev_b32_e32 v0, 1, v0
	v_lshlrev_b64 v[10:11], 3, v[0:1]
	v_add_co_u32_e32 v10, vcc, s8, v10
	v_addc_co_u32_e32 v11, vcc, v9, v11, vcc
	global_load_dwordx2 v[10:11], v[10:11], off
	v_add_u32_e32 v12, 1, v0
	s_waitcnt vmcnt(0)
	v_cmp_gt_i64_e32 vcc, v[4:5], v[10:11]
	v_cndmask_b32_e64 v13, 0, 1, vcc
	v_cmp_le_i64_e32 vcc, v[10:11], v[4:5]
	v_cndmask_b32_e64 v10, 0, 1, vcc
	v_cndmask_b32_e64 v10, v10, v13, s[0:1]
	v_and_b32_e32 v10, 1, v10
	v_cmp_eq_u32_e32 vcc, 1, v10
	v_cndmask_b32_e32 v8, v0, v8, vcc
	v_cndmask_b32_e32 v7, v7, v12, vcc
	v_cmp_ge_u32_e32 vcc, v7, v8
	s_or_b64 s[2:3], vcc, s[2:3]
	s_andn2_b64 exec, exec, s[2:3]
	s_cbranch_execnz .LBB115_21
; %bb.22:
	s_or_b64 exec, exec, s[2:3]
.LBB115_23:
	v_add_u32_e32 v0, v7, v6
	v_mov_b32_e32 v1, 0
	v_lshlrev_b64 v[0:1], 3, v[0:1]
	v_mov_b32_e32 v7, s11
	v_add_co_u32_e32 v6, vcc, s10, v0
	v_addc_co_u32_e32 v7, vcc, v7, v1, vcc
	s_waitcnt vmcnt(0)
	global_store_dwordx2 v[6:7], v[4:5], off
	v_mov_b32_e32 v4, s15
	v_add_co_u32_e32 v0, vcc, s14, v0
	v_addc_co_u32_e32 v1, vcc, v4, v1, vcc
	s_mov_b64 s[4:5], -1
.LBB115_24:
	s_and_b64 exec, exec, s[4:5]
	s_cbranch_execz .LBB115_26
; %bb.25:
	s_waitcnt vmcnt(1)
	global_store_dwordx2 v[0:1], v[2:3], off
.LBB115_26:
	s_endpgm
	.section	.rodata,"a",@progbits
	.p2align	6, 0x0
	.amdhsa_kernel _ZN7rocprim17ROCPRIM_304000_NS6detail33device_block_merge_oddeven_kernelINS1_37wrapped_merge_sort_block_merge_configINS0_14default_configElN2at4cuda3cub6detail10OpaqueTypeILi8EEEEEPlSC_PSA_SD_jNS1_19radix_merge_compareILb0ELb0ElNS0_19identity_decomposerEEEEEvT0_T1_T2_T3_T4_SL_T5_
		.amdhsa_group_segment_fixed_size 0
		.amdhsa_private_segment_fixed_size 0
		.amdhsa_kernarg_size 44
		.amdhsa_user_sgpr_count 6
		.amdhsa_user_sgpr_private_segment_buffer 1
		.amdhsa_user_sgpr_dispatch_ptr 0
		.amdhsa_user_sgpr_queue_ptr 0
		.amdhsa_user_sgpr_kernarg_segment_ptr 1
		.amdhsa_user_sgpr_dispatch_id 0
		.amdhsa_user_sgpr_flat_scratch_init 0
		.amdhsa_user_sgpr_kernarg_preload_length 0
		.amdhsa_user_sgpr_kernarg_preload_offset 0
		.amdhsa_user_sgpr_private_segment_size 0
		.amdhsa_uses_dynamic_stack 0
		.amdhsa_system_sgpr_private_segment_wavefront_offset 0
		.amdhsa_system_sgpr_workgroup_id_x 1
		.amdhsa_system_sgpr_workgroup_id_y 0
		.amdhsa_system_sgpr_workgroup_id_z 0
		.amdhsa_system_sgpr_workgroup_info 0
		.amdhsa_system_vgpr_workitem_id 0
		.amdhsa_next_free_vgpr 14
		.amdhsa_next_free_sgpr 23
		.amdhsa_accum_offset 16
		.amdhsa_reserve_vcc 1
		.amdhsa_reserve_flat_scratch 0
		.amdhsa_float_round_mode_32 0
		.amdhsa_float_round_mode_16_64 0
		.amdhsa_float_denorm_mode_32 3
		.amdhsa_float_denorm_mode_16_64 3
		.amdhsa_dx10_clamp 1
		.amdhsa_ieee_mode 1
		.amdhsa_fp16_overflow 0
		.amdhsa_tg_split 0
		.amdhsa_exception_fp_ieee_invalid_op 0
		.amdhsa_exception_fp_denorm_src 0
		.amdhsa_exception_fp_ieee_div_zero 0
		.amdhsa_exception_fp_ieee_overflow 0
		.amdhsa_exception_fp_ieee_underflow 0
		.amdhsa_exception_fp_ieee_inexact 0
		.amdhsa_exception_int_div_zero 0
	.end_amdhsa_kernel
	.section	.text._ZN7rocprim17ROCPRIM_304000_NS6detail33device_block_merge_oddeven_kernelINS1_37wrapped_merge_sort_block_merge_configINS0_14default_configElN2at4cuda3cub6detail10OpaqueTypeILi8EEEEEPlSC_PSA_SD_jNS1_19radix_merge_compareILb0ELb0ElNS0_19identity_decomposerEEEEEvT0_T1_T2_T3_T4_SL_T5_,"axG",@progbits,_ZN7rocprim17ROCPRIM_304000_NS6detail33device_block_merge_oddeven_kernelINS1_37wrapped_merge_sort_block_merge_configINS0_14default_configElN2at4cuda3cub6detail10OpaqueTypeILi8EEEEEPlSC_PSA_SD_jNS1_19radix_merge_compareILb0ELb0ElNS0_19identity_decomposerEEEEEvT0_T1_T2_T3_T4_SL_T5_,comdat
.Lfunc_end115:
	.size	_ZN7rocprim17ROCPRIM_304000_NS6detail33device_block_merge_oddeven_kernelINS1_37wrapped_merge_sort_block_merge_configINS0_14default_configElN2at4cuda3cub6detail10OpaqueTypeILi8EEEEEPlSC_PSA_SD_jNS1_19radix_merge_compareILb0ELb0ElNS0_19identity_decomposerEEEEEvT0_T1_T2_T3_T4_SL_T5_, .Lfunc_end115-_ZN7rocprim17ROCPRIM_304000_NS6detail33device_block_merge_oddeven_kernelINS1_37wrapped_merge_sort_block_merge_configINS0_14default_configElN2at4cuda3cub6detail10OpaqueTypeILi8EEEEEPlSC_PSA_SD_jNS1_19radix_merge_compareILb0ELb0ElNS0_19identity_decomposerEEEEEvT0_T1_T2_T3_T4_SL_T5_
                                        ; -- End function
	.section	.AMDGPU.csdata,"",@progbits
; Kernel info:
; codeLenInByte = 816
; NumSgprs: 27
; NumVgprs: 14
; NumAgprs: 0
; TotalNumVgprs: 14
; ScratchSize: 0
; MemoryBound: 0
; FloatMode: 240
; IeeeMode: 1
; LDSByteSize: 0 bytes/workgroup (compile time only)
; SGPRBlocks: 3
; VGPRBlocks: 1
; NumSGPRsForWavesPerEU: 27
; NumVGPRsForWavesPerEU: 14
; AccumOffset: 16
; Occupancy: 8
; WaveLimiterHint : 0
; COMPUTE_PGM_RSRC2:SCRATCH_EN: 0
; COMPUTE_PGM_RSRC2:USER_SGPR: 6
; COMPUTE_PGM_RSRC2:TRAP_HANDLER: 0
; COMPUTE_PGM_RSRC2:TGID_X_EN: 1
; COMPUTE_PGM_RSRC2:TGID_Y_EN: 0
; COMPUTE_PGM_RSRC2:TGID_Z_EN: 0
; COMPUTE_PGM_RSRC2:TIDIG_COMP_CNT: 0
; COMPUTE_PGM_RSRC3_GFX90A:ACCUM_OFFSET: 3
; COMPUTE_PGM_RSRC3_GFX90A:TG_SPLIT: 0
	.section	.text._ZN7rocprim17ROCPRIM_304000_NS6detail45device_block_merge_mergepath_partition_kernelINS1_37wrapped_merge_sort_block_merge_configINS0_14default_configElN2at4cuda3cub6detail10OpaqueTypeILi8EEEEEPljNS1_19radix_merge_compareILb0ELb1ElNS0_19identity_decomposerEEEEEvT0_T1_jPSH_T2_SH_,"axG",@progbits,_ZN7rocprim17ROCPRIM_304000_NS6detail45device_block_merge_mergepath_partition_kernelINS1_37wrapped_merge_sort_block_merge_configINS0_14default_configElN2at4cuda3cub6detail10OpaqueTypeILi8EEEEEPljNS1_19radix_merge_compareILb0ELb1ElNS0_19identity_decomposerEEEEEvT0_T1_jPSH_T2_SH_,comdat
	.protected	_ZN7rocprim17ROCPRIM_304000_NS6detail45device_block_merge_mergepath_partition_kernelINS1_37wrapped_merge_sort_block_merge_configINS0_14default_configElN2at4cuda3cub6detail10OpaqueTypeILi8EEEEEPljNS1_19radix_merge_compareILb0ELb1ElNS0_19identity_decomposerEEEEEvT0_T1_jPSH_T2_SH_ ; -- Begin function _ZN7rocprim17ROCPRIM_304000_NS6detail45device_block_merge_mergepath_partition_kernelINS1_37wrapped_merge_sort_block_merge_configINS0_14default_configElN2at4cuda3cub6detail10OpaqueTypeILi8EEEEEPljNS1_19radix_merge_compareILb0ELb1ElNS0_19identity_decomposerEEEEEvT0_T1_jPSH_T2_SH_
	.globl	_ZN7rocprim17ROCPRIM_304000_NS6detail45device_block_merge_mergepath_partition_kernelINS1_37wrapped_merge_sort_block_merge_configINS0_14default_configElN2at4cuda3cub6detail10OpaqueTypeILi8EEEEEPljNS1_19radix_merge_compareILb0ELb1ElNS0_19identity_decomposerEEEEEvT0_T1_jPSH_T2_SH_
	.p2align	8
	.type	_ZN7rocprim17ROCPRIM_304000_NS6detail45device_block_merge_mergepath_partition_kernelINS1_37wrapped_merge_sort_block_merge_configINS0_14default_configElN2at4cuda3cub6detail10OpaqueTypeILi8EEEEEPljNS1_19radix_merge_compareILb0ELb1ElNS0_19identity_decomposerEEEEEvT0_T1_jPSH_T2_SH_,@function
_ZN7rocprim17ROCPRIM_304000_NS6detail45device_block_merge_mergepath_partition_kernelINS1_37wrapped_merge_sort_block_merge_configINS0_14default_configElN2at4cuda3cub6detail10OpaqueTypeILi8EEEEEPljNS1_19radix_merge_compareILb0ELb1ElNS0_19identity_decomposerEEEEEvT0_T1_jPSH_T2_SH_: ; @_ZN7rocprim17ROCPRIM_304000_NS6detail45device_block_merge_mergepath_partition_kernelINS1_37wrapped_merge_sort_block_merge_configINS0_14default_configElN2at4cuda3cub6detail10OpaqueTypeILi8EEEEEPljNS1_19radix_merge_compareILb0ELb1ElNS0_19identity_decomposerEEEEEvT0_T1_jPSH_T2_SH_
; %bb.0:
	s_load_dwordx2 s[8:9], s[4:5], 0x8
	v_lshl_or_b32 v0, s6, 7, v0
	s_waitcnt lgkmcnt(0)
	v_cmp_gt_u32_e32 vcc, s9, v0
	s_and_saveexec_b64 s[0:1], vcc
	s_cbranch_execz .LBB116_6
; %bb.1:
	s_load_dword s6, s[4:5], 0x20
	s_load_dwordx4 s[0:3], s[4:5], 0x10
	s_waitcnt lgkmcnt(0)
	s_lshr_b32 s7, s6, 9
	s_and_b32 s7, s7, 0x7ffffe
	s_add_i32 s9, s7, -1
	s_sub_i32 s7, 0, s7
	v_and_b32_e32 v1, s7, v0
	v_lshlrev_b32_e32 v1, 10, v1
	v_min_u32_e32 v2, s8, v1
	v_add_u32_e32 v1, s6, v1
	v_min_u32_e32 v4, s8, v1
	v_add_u32_e32 v1, s6, v4
	v_and_b32_e32 v3, s9, v0
	v_min_u32_e32 v1, s8, v1
	v_sub_u32_e32 v5, v1, v2
	v_lshlrev_b32_e32 v3, 10, v3
	v_min_u32_e32 v6, v5, v3
	v_sub_u32_e32 v3, v4, v2
	v_sub_u32_e32 v1, v1, v4
	v_sub_u32_e64 v1, v6, v1 clamp
	v_min_u32_e32 v7, v6, v3
	v_cmp_lt_u32_e32 vcc, v1, v7
	s_and_saveexec_b64 s[6:7], vcc
	s_cbranch_execz .LBB116_5
; %bb.2:
	s_load_dwordx2 s[4:5], s[4:5], 0x0
	v_mov_b32_e32 v5, 0
	v_mov_b32_e32 v3, v5
	v_lshlrev_b64 v[8:9], 3, v[2:3]
	v_lshlrev_b64 v[10:11], 3, v[4:5]
	s_waitcnt lgkmcnt(0)
	v_mov_b32_e32 v12, s5
	v_add_co_u32_e32 v3, vcc, s4, v8
	v_addc_co_u32_e32 v8, vcc, v12, v9, vcc
	v_add_co_u32_e32 v9, vcc, s4, v10
	v_addc_co_u32_e32 v10, vcc, v12, v11, vcc
	s_mov_b64 s[4:5], 0
.LBB116_3:                              ; =>This Inner Loop Header: Depth=1
	v_add_u32_e32 v4, v7, v1
	v_lshrrev_b32_e32 v4, 1, v4
	v_lshlrev_b64 v[14:15], 3, v[4:5]
	v_mov_b32_e32 v13, v5
	v_xad_u32 v12, v4, -1, v6
	v_add_co_u32_e32 v14, vcc, v3, v14
	v_addc_co_u32_e32 v15, vcc, v8, v15, vcc
	v_lshlrev_b64 v[12:13], 3, v[12:13]
	v_add_co_u32_e32 v12, vcc, v9, v12
	v_addc_co_u32_e32 v13, vcc, v10, v13, vcc
	global_load_dwordx2 v[14:15], v[14:15], off
	v_add_u32_e32 v11, 1, v4
	global_load_dwordx2 v[12:13], v[12:13], off
	s_waitcnt vmcnt(1)
	v_and_b32_e32 v15, s3, v15
	v_and_b32_e32 v14, s2, v14
	s_waitcnt vmcnt(0)
	v_and_b32_e32 v13, s3, v13
	v_and_b32_e32 v12, s2, v12
	v_cmp_gt_i64_e32 vcc, v[14:15], v[12:13]
	v_cndmask_b32_e32 v7, v7, v4, vcc
	v_cndmask_b32_e32 v1, v11, v1, vcc
	v_cmp_ge_u32_e32 vcc, v1, v7
	s_or_b64 s[4:5], vcc, s[4:5]
	s_andn2_b64 exec, exec, s[4:5]
	s_cbranch_execnz .LBB116_3
; %bb.4:
	s_or_b64 exec, exec, s[4:5]
.LBB116_5:
	s_or_b64 exec, exec, s[6:7]
	v_add_u32_e32 v2, v1, v2
	v_mov_b32_e32 v1, 0
	v_lshlrev_b64 v[0:1], 2, v[0:1]
	v_mov_b32_e32 v3, s1
	v_add_co_u32_e32 v0, vcc, s0, v0
	v_addc_co_u32_e32 v1, vcc, v3, v1, vcc
	global_store_dword v[0:1], v2, off
.LBB116_6:
	s_endpgm
	.section	.rodata,"a",@progbits
	.p2align	6, 0x0
	.amdhsa_kernel _ZN7rocprim17ROCPRIM_304000_NS6detail45device_block_merge_mergepath_partition_kernelINS1_37wrapped_merge_sort_block_merge_configINS0_14default_configElN2at4cuda3cub6detail10OpaqueTypeILi8EEEEEPljNS1_19radix_merge_compareILb0ELb1ElNS0_19identity_decomposerEEEEEvT0_T1_jPSH_T2_SH_
		.amdhsa_group_segment_fixed_size 0
		.amdhsa_private_segment_fixed_size 0
		.amdhsa_kernarg_size 36
		.amdhsa_user_sgpr_count 6
		.amdhsa_user_sgpr_private_segment_buffer 1
		.amdhsa_user_sgpr_dispatch_ptr 0
		.amdhsa_user_sgpr_queue_ptr 0
		.amdhsa_user_sgpr_kernarg_segment_ptr 1
		.amdhsa_user_sgpr_dispatch_id 0
		.amdhsa_user_sgpr_flat_scratch_init 0
		.amdhsa_user_sgpr_kernarg_preload_length 0
		.amdhsa_user_sgpr_kernarg_preload_offset 0
		.amdhsa_user_sgpr_private_segment_size 0
		.amdhsa_uses_dynamic_stack 0
		.amdhsa_system_sgpr_private_segment_wavefront_offset 0
		.amdhsa_system_sgpr_workgroup_id_x 1
		.amdhsa_system_sgpr_workgroup_id_y 0
		.amdhsa_system_sgpr_workgroup_id_z 0
		.amdhsa_system_sgpr_workgroup_info 0
		.amdhsa_system_vgpr_workitem_id 0
		.amdhsa_next_free_vgpr 16
		.amdhsa_next_free_sgpr 10
		.amdhsa_accum_offset 16
		.amdhsa_reserve_vcc 1
		.amdhsa_reserve_flat_scratch 0
		.amdhsa_float_round_mode_32 0
		.amdhsa_float_round_mode_16_64 0
		.amdhsa_float_denorm_mode_32 3
		.amdhsa_float_denorm_mode_16_64 3
		.amdhsa_dx10_clamp 1
		.amdhsa_ieee_mode 1
		.amdhsa_fp16_overflow 0
		.amdhsa_tg_split 0
		.amdhsa_exception_fp_ieee_invalid_op 0
		.amdhsa_exception_fp_denorm_src 0
		.amdhsa_exception_fp_ieee_div_zero 0
		.amdhsa_exception_fp_ieee_overflow 0
		.amdhsa_exception_fp_ieee_underflow 0
		.amdhsa_exception_fp_ieee_inexact 0
		.amdhsa_exception_int_div_zero 0
	.end_amdhsa_kernel
	.section	.text._ZN7rocprim17ROCPRIM_304000_NS6detail45device_block_merge_mergepath_partition_kernelINS1_37wrapped_merge_sort_block_merge_configINS0_14default_configElN2at4cuda3cub6detail10OpaqueTypeILi8EEEEEPljNS1_19radix_merge_compareILb0ELb1ElNS0_19identity_decomposerEEEEEvT0_T1_jPSH_T2_SH_,"axG",@progbits,_ZN7rocprim17ROCPRIM_304000_NS6detail45device_block_merge_mergepath_partition_kernelINS1_37wrapped_merge_sort_block_merge_configINS0_14default_configElN2at4cuda3cub6detail10OpaqueTypeILi8EEEEEPljNS1_19radix_merge_compareILb0ELb1ElNS0_19identity_decomposerEEEEEvT0_T1_jPSH_T2_SH_,comdat
.Lfunc_end116:
	.size	_ZN7rocprim17ROCPRIM_304000_NS6detail45device_block_merge_mergepath_partition_kernelINS1_37wrapped_merge_sort_block_merge_configINS0_14default_configElN2at4cuda3cub6detail10OpaqueTypeILi8EEEEEPljNS1_19radix_merge_compareILb0ELb1ElNS0_19identity_decomposerEEEEEvT0_T1_jPSH_T2_SH_, .Lfunc_end116-_ZN7rocprim17ROCPRIM_304000_NS6detail45device_block_merge_mergepath_partition_kernelINS1_37wrapped_merge_sort_block_merge_configINS0_14default_configElN2at4cuda3cub6detail10OpaqueTypeILi8EEEEEPljNS1_19radix_merge_compareILb0ELb1ElNS0_19identity_decomposerEEEEEvT0_T1_jPSH_T2_SH_
                                        ; -- End function
	.section	.AMDGPU.csdata,"",@progbits
; Kernel info:
; codeLenInByte = 380
; NumSgprs: 14
; NumVgprs: 16
; NumAgprs: 0
; TotalNumVgprs: 16
; ScratchSize: 0
; MemoryBound: 0
; FloatMode: 240
; IeeeMode: 1
; LDSByteSize: 0 bytes/workgroup (compile time only)
; SGPRBlocks: 1
; VGPRBlocks: 1
; NumSGPRsForWavesPerEU: 14
; NumVGPRsForWavesPerEU: 16
; AccumOffset: 16
; Occupancy: 8
; WaveLimiterHint : 0
; COMPUTE_PGM_RSRC2:SCRATCH_EN: 0
; COMPUTE_PGM_RSRC2:USER_SGPR: 6
; COMPUTE_PGM_RSRC2:TRAP_HANDLER: 0
; COMPUTE_PGM_RSRC2:TGID_X_EN: 1
; COMPUTE_PGM_RSRC2:TGID_Y_EN: 0
; COMPUTE_PGM_RSRC2:TGID_Z_EN: 0
; COMPUTE_PGM_RSRC2:TIDIG_COMP_CNT: 0
; COMPUTE_PGM_RSRC3_GFX90A:ACCUM_OFFSET: 3
; COMPUTE_PGM_RSRC3_GFX90A:TG_SPLIT: 0
	.section	.text._ZN7rocprim17ROCPRIM_304000_NS6detail35device_block_merge_mergepath_kernelINS1_37wrapped_merge_sort_block_merge_configINS0_14default_configElN2at4cuda3cub6detail10OpaqueTypeILi8EEEEEPlSC_PSA_SD_jNS1_19radix_merge_compareILb0ELb1ElNS0_19identity_decomposerEEEEEvT0_T1_T2_T3_T4_SL_jT5_PKSL_NS1_7vsmem_tE,"axG",@progbits,_ZN7rocprim17ROCPRIM_304000_NS6detail35device_block_merge_mergepath_kernelINS1_37wrapped_merge_sort_block_merge_configINS0_14default_configElN2at4cuda3cub6detail10OpaqueTypeILi8EEEEEPlSC_PSA_SD_jNS1_19radix_merge_compareILb0ELb1ElNS0_19identity_decomposerEEEEEvT0_T1_T2_T3_T4_SL_jT5_PKSL_NS1_7vsmem_tE,comdat
	.protected	_ZN7rocprim17ROCPRIM_304000_NS6detail35device_block_merge_mergepath_kernelINS1_37wrapped_merge_sort_block_merge_configINS0_14default_configElN2at4cuda3cub6detail10OpaqueTypeILi8EEEEEPlSC_PSA_SD_jNS1_19radix_merge_compareILb0ELb1ElNS0_19identity_decomposerEEEEEvT0_T1_T2_T3_T4_SL_jT5_PKSL_NS1_7vsmem_tE ; -- Begin function _ZN7rocprim17ROCPRIM_304000_NS6detail35device_block_merge_mergepath_kernelINS1_37wrapped_merge_sort_block_merge_configINS0_14default_configElN2at4cuda3cub6detail10OpaqueTypeILi8EEEEEPlSC_PSA_SD_jNS1_19radix_merge_compareILb0ELb1ElNS0_19identity_decomposerEEEEEvT0_T1_T2_T3_T4_SL_jT5_PKSL_NS1_7vsmem_tE
	.globl	_ZN7rocprim17ROCPRIM_304000_NS6detail35device_block_merge_mergepath_kernelINS1_37wrapped_merge_sort_block_merge_configINS0_14default_configElN2at4cuda3cub6detail10OpaqueTypeILi8EEEEEPlSC_PSA_SD_jNS1_19radix_merge_compareILb0ELb1ElNS0_19identity_decomposerEEEEEvT0_T1_T2_T3_T4_SL_jT5_PKSL_NS1_7vsmem_tE
	.p2align	8
	.type	_ZN7rocprim17ROCPRIM_304000_NS6detail35device_block_merge_mergepath_kernelINS1_37wrapped_merge_sort_block_merge_configINS0_14default_configElN2at4cuda3cub6detail10OpaqueTypeILi8EEEEEPlSC_PSA_SD_jNS1_19radix_merge_compareILb0ELb1ElNS0_19identity_decomposerEEEEEvT0_T1_T2_T3_T4_SL_jT5_PKSL_NS1_7vsmem_tE,@function
_ZN7rocprim17ROCPRIM_304000_NS6detail35device_block_merge_mergepath_kernelINS1_37wrapped_merge_sort_block_merge_configINS0_14default_configElN2at4cuda3cub6detail10OpaqueTypeILi8EEEEEPlSC_PSA_SD_jNS1_19radix_merge_compareILb0ELb1ElNS0_19identity_decomposerEEEEEvT0_T1_T2_T3_T4_SL_jT5_PKSL_NS1_7vsmem_tE: ; @_ZN7rocprim17ROCPRIM_304000_NS6detail35device_block_merge_mergepath_kernelINS1_37wrapped_merge_sort_block_merge_configINS0_14default_configElN2at4cuda3cub6detail10OpaqueTypeILi8EEEEEPlSC_PSA_SD_jNS1_19radix_merge_compareILb0ELb1ElNS0_19identity_decomposerEEEEEvT0_T1_T2_T3_T4_SL_jT5_PKSL_NS1_7vsmem_tE
; %bb.0:
	s_load_dwordx2 s[26:27], s[4:5], 0x48
	s_load_dwordx4 s[16:19], s[4:5], 0x20
	s_add_u32 s2, s4, 0x48
	s_addc_u32 s3, s5, 0
	s_waitcnt lgkmcnt(0)
	s_mul_i32 s0, s27, s8
	s_add_i32 s0, s0, s7
	s_mul_i32 s0, s0, s26
	s_add_i32 s0, s0, s6
	s_cmp_ge_u32 s0, s18
	s_cbranch_scc1 .LBB117_53
; %bb.1:
	s_load_dwordx8 s[8:15], s[4:5], 0x0
	s_load_dwordx4 s[20:23], s[4:5], 0x30
	s_lshr_b32 s30, s16, 10
	s_cmp_lg_u32 s0, s30
	s_mov_b32 s1, 0
	s_cselect_b64 s[24:25], -1, 0
	s_lshl_b64 s[4:5], s[0:1], 2
	s_waitcnt lgkmcnt(0)
	s_add_u32 s4, s22, s4
	s_addc_u32 s5, s23, s5
	s_lshr_b32 s7, s17, 9
	s_and_b32 s7, s7, 0x7ffffe
	s_load_dwordx2 s[4:5], s[4:5], 0x0
	s_sub_i32 s7, 0, s7
	s_and_b32 s19, s0, s7
	s_lshl_b32 s23, s19, 10
	s_lshl_b32 s18, s0, 10
	;; [unrolled: 1-line block ×3, first 2 shown]
	s_sub_i32 s22, s18, s23
	s_add_i32 s19, s19, s17
	s_add_i32 s27, s19, s22
	s_waitcnt lgkmcnt(0)
	s_sub_i32 s22, s27, s4
	s_sub_i32 s27, s27, s5
	;; [unrolled: 1-line block ×3, first 2 shown]
	s_min_u32 s22, s16, s22
	s_addk_i32 s27, 0x400
	s_or_b32 s7, s0, s7
	s_min_u32 s23, s16, s19
	s_add_i32 s19, s19, s17
	s_cmp_eq_u32 s7, -1
	s_cselect_b32 s7, s19, s27
	s_cselect_b32 s5, s23, s5
	s_min_u32 s7, s7, s16
	s_sub_i32 s19, s5, s4
	s_mov_b32 s5, s1
	s_sub_i32 s27, s7, s22
	s_lshl_b64 s[4:5], s[4:5], 3
	s_add_u32 s28, s8, s4
	s_mov_b32 s23, s1
	s_addc_u32 s29, s9, s5
	s_lshl_b64 s[22:23], s[22:23], 3
	s_add_u32 s7, s8, s22
	s_addc_u32 s8, s9, s23
	s_cmp_lt_u32 s6, s26
	v_mov_b32_e32 v5, 0
	s_cselect_b32 s1, 12, 18
	global_load_dword v1, v5, s[2:3] offset:14
	s_add_u32 s2, s2, s1
	s_addc_u32 s3, s3, 0
	global_load_ushort v2, v5, s[2:3]
	v_cmp_gt_u32_e32 vcc, s19, v0
	s_cmp_eq_u32 s0, s30
	s_waitcnt vmcnt(1)
	v_lshrrev_b32_e32 v3, 16, v1
	v_and_b32_e32 v1, 0xffff, v1
	v_mul_lo_u32 v1, v1, v3
	s_waitcnt vmcnt(0)
	v_mul_lo_u32 v1, v1, v2
	v_add_u32_e32 v8, v1, v0
	v_lshlrev_b32_e32 v1, 3, v0
	s_cbranch_scc1 .LBB117_3
; %bb.2:
	v_mov_b32_e32 v2, s29
	v_add_co_u32_e64 v6, s[0:1], s28, v1
	v_subrev_u32_e32 v4, s19, v0
	v_addc_co_u32_e64 v7, s[0:1], 0, v2, s[0:1]
	v_lshlrev_b64 v[2:3], 3, v[4:5]
	v_mov_b32_e32 v4, s8
	v_add_co_u32_e64 v2, s[0:1], s7, v2
	v_addc_co_u32_e64 v3, s[0:1], v4, v3, s[0:1]
	v_mov_b32_e32 v9, v5
	v_cndmask_b32_e32 v3, v3, v7, vcc
	v_cndmask_b32_e32 v2, v2, v6, vcc
	v_lshlrev_b64 v[6:7], 3, v[8:9]
	v_mov_b32_e32 v4, s29
	v_add_co_u32_e32 v6, vcc, s28, v6
	v_addc_co_u32_e32 v7, vcc, v4, v7, vcc
	v_subrev_u32_e32 v4, s19, v8
	v_lshlrev_b64 v[4:5], 3, v[4:5]
	v_mov_b32_e32 v9, s8
	v_add_co_u32_e32 v4, vcc, s7, v4
	v_addc_co_u32_e32 v5, vcc, v9, v5, vcc
	v_cmp_gt_u32_e32 vcc, s19, v8
	v_cndmask_b32_e32 v5, v5, v7, vcc
	v_cndmask_b32_e32 v4, v4, v6, vcc
	global_load_dwordx2 v[2:3], v[2:3], off
	s_add_i32 s17, s27, s19
	global_load_dwordx2 v[6:7], v[4:5], off
	s_cbranch_execz .LBB117_4
	s_branch .LBB117_9
.LBB117_3:
                                        ; implicit-def: $vgpr6_vgpr7
                                        ; implicit-def: $sgpr17
                                        ; implicit-def: $vgpr2_vgpr3_vgpr4_vgpr5
.LBB117_4:
	s_add_i32 s17, s27, s19
	v_cmp_gt_u32_e32 vcc, s17, v0
                                        ; implicit-def: $vgpr2_vgpr3
	s_and_saveexec_b64 s[0:1], vcc
	s_cbranch_execz .LBB117_6
; %bb.5:
	s_waitcnt vmcnt(1)
	v_mov_b32_e32 v2, s29
	v_add_co_u32_e32 v4, vcc, s28, v1
	v_mov_b32_e32 v3, 0
	v_addc_co_u32_e32 v5, vcc, 0, v2, vcc
	v_subrev_u32_e32 v2, s19, v0
	v_lshlrev_b64 v[2:3], 3, v[2:3]
	s_waitcnt vmcnt(0)
	v_mov_b32_e32 v6, s8
	v_add_co_u32_e32 v2, vcc, s7, v2
	v_addc_co_u32_e32 v3, vcc, v6, v3, vcc
	v_cmp_gt_u32_e32 vcc, s19, v0
	v_cndmask_b32_e32 v3, v3, v5, vcc
	v_cndmask_b32_e32 v2, v2, v4, vcc
	global_load_dwordx2 v[2:3], v[2:3], off
.LBB117_6:
	s_or_b64 exec, exec, s[0:1]
	v_cmp_gt_u32_e32 vcc, s17, v8
	s_and_saveexec_b64 s[2:3], vcc
                                        ; implicit-def: $vgpr4_vgpr5_vgpr6_vgpr7
	s_cbranch_execz .LBB117_8
; %bb.7:
	v_mov_b32_e32 v9, 0
	v_lshlrev_b64 v[4:5], 3, v[8:9]
	s_waitcnt vmcnt(0)
	v_mov_b32_e32 v6, s29
	v_add_co_u32_e32 v7, vcc, s28, v4
	v_addc_co_u32_e32 v6, vcc, v6, v5, vcc
	v_cmp_gt_u32_e32 vcc, s19, v8
	v_subrev_u32_e32 v8, s19, v8
	v_lshlrev_b64 v[4:5], 3, v[8:9]
	v_mov_b32_e32 v8, s8
	v_add_co_u32_e64 v4, s[0:1], s7, v4
	v_addc_co_u32_e64 v5, s[0:1], v8, v5, s[0:1]
	v_cndmask_b32_e32 v5, v5, v6, vcc
	v_cndmask_b32_e32 v4, v4, v7, vcc
	global_load_dwordx2 v[6:7], v[4:5], off
.LBB117_8:
	s_or_b64 exec, exec, s[2:3]
.LBB117_9:
	v_lshlrev_b32_e32 v10, 1, v0
	v_min_u32_e32 v4, s17, v10
	v_sub_u32_e64 v8, v4, s27 clamp
	v_min_u32_e32 v5, s19, v4
	v_cmp_lt_u32_e32 vcc, v8, v5
	s_waitcnt vmcnt(0)
	ds_write2st64_b64 v1, v[2:3], v[6:7] offset1:8
	s_waitcnt lgkmcnt(0)
	s_barrier
	s_and_saveexec_b64 s[0:1], vcc
	s_cbranch_execz .LBB117_13
; %bb.10:
	v_lshlrev_b32_e32 v9, 3, v4
	v_lshl_add_u32 v9, s19, 3, v9
	s_mov_b64 s[2:3], 0
.LBB117_11:                             ; =>This Inner Loop Header: Depth=1
	v_add_u32_e32 v11, v5, v8
	v_lshrrev_b32_e32 v11, 1, v11
	v_not_b32_e32 v14, v11
	v_lshlrev_b32_e32 v12, 3, v11
	v_lshl_add_u32 v14, v14, 3, v9
	ds_read_b64 v[12:13], v12
	ds_read_b64 v[14:15], v14
	v_add_u32_e32 v16, 1, v11
	s_waitcnt lgkmcnt(1)
	v_and_b32_e32 v13, s21, v13
	v_and_b32_e32 v12, s20, v12
	s_waitcnt lgkmcnt(0)
	v_and_b32_e32 v15, s21, v15
	v_and_b32_e32 v14, s20, v14
	v_cmp_gt_i64_e32 vcc, v[12:13], v[14:15]
	v_cndmask_b32_e32 v5, v5, v11, vcc
	v_cndmask_b32_e32 v8, v16, v8, vcc
	v_cmp_ge_u32_e32 vcc, v8, v5
	s_or_b64 s[2:3], vcc, s[2:3]
	s_andn2_b64 exec, exec, s[2:3]
	s_cbranch_execnz .LBB117_11
; %bb.12:
	s_or_b64 exec, exec, s[2:3]
.LBB117_13:
	s_or_b64 exec, exec, s[0:1]
	v_sub_u32_e32 v4, v4, v8
	v_add_u32_e32 v9, s19, v4
	v_cmp_ge_u32_e32 vcc, s19, v8
	v_cmp_ge_u32_e64 s[0:1], s17, v9
	s_or_b64 s[0:1], vcc, s[0:1]
                                        ; implicit-def: $vgpr11
                                        ; implicit-def: $vgpr12
	s_and_saveexec_b64 s[6:7], s[0:1]
	s_cbranch_execz .LBB117_19
; %bb.14:
	v_cmp_gt_u32_e32 vcc, s19, v8
                                        ; implicit-def: $vgpr4_vgpr5
	s_and_saveexec_b64 s[0:1], vcc
	s_cbranch_execz .LBB117_16
; %bb.15:
	v_lshlrev_b32_e32 v2, 3, v8
	ds_read_b64 v[4:5], v2
.LBB117_16:
	s_or_b64 exec, exec, s[0:1]
	v_cmp_le_u32_e64 s[0:1], s17, v9
	v_cmp_gt_u32_e64 s[2:3], s17, v9
                                        ; implicit-def: $vgpr6_vgpr7
	s_and_saveexec_b64 s[8:9], s[2:3]
	s_cbranch_execz .LBB117_18
; %bb.17:
	v_lshlrev_b32_e32 v2, 3, v9
	ds_read_b64 v[6:7], v2
.LBB117_18:
	s_or_b64 exec, exec, s[8:9]
	s_waitcnt lgkmcnt(0)
	v_and_b32_e32 v3, s21, v7
	v_and_b32_e32 v2, s20, v6
	;; [unrolled: 1-line block ×4, first 2 shown]
	v_cmp_le_i64_e64 s[2:3], v[12:13], v[2:3]
	s_and_b64 s[2:3], vcc, s[2:3]
	s_or_b64 vcc, s[0:1], s[2:3]
	v_mov_b32_e32 v2, s17
	v_mov_b32_e32 v3, s19
	v_cndmask_b32_e32 v12, v9, v8, vcc
	v_cndmask_b32_e32 v2, v2, v3, vcc
	v_add_u32_e32 v11, 1, v12
	v_add_u32_e32 v2, -1, v2
	v_min_u32_e32 v2, v11, v2
	v_lshlrev_b32_e32 v2, 3, v2
	ds_read_b64 v[14:15], v2
	v_cndmask_b32_e32 v3, v7, v5, vcc
	v_cndmask_b32_e32 v2, v6, v4, vcc
	;; [unrolled: 1-line block ×4, first 2 shown]
	s_waitcnt lgkmcnt(0)
	v_cndmask_b32_e32 v13, v15, v7, vcc
	v_cndmask_b32_e32 v16, v14, v6, vcc
	;; [unrolled: 1-line block ×4, first 2 shown]
	v_and_b32_e32 v5, s21, v13
	v_and_b32_e32 v4, s20, v16
	v_and_b32_e32 v7, s21, v15
	v_and_b32_e32 v6, s20, v14
	v_cmp_gt_u32_e64 s[0:1], s19, v8
	v_cmp_le_i64_e64 s[2:3], v[6:7], v[4:5]
	v_cmp_le_u32_e32 vcc, s17, v9
	s_and_b64 s[0:1], s[0:1], s[2:3]
	s_or_b64 vcc, vcc, s[0:1]
	v_cndmask_b32_e32 v11, v9, v8, vcc
	v_cndmask_b32_e32 v7, v13, v15, vcc
	;; [unrolled: 1-line block ×3, first 2 shown]
.LBB117_19:
	s_or_b64 exec, exec, s[6:7]
	s_add_u32 s20, s12, s4
	s_addc_u32 s21, s13, s5
	s_add_u32 s12, s12, s22
	v_cndmask_b32_e64 v4, 0, 1, s[24:25]
	s_addc_u32 s13, s13, s23
	v_cmp_gt_u32_e64 s[4:5], s19, v0
	v_cmp_ne_u32_e64 s[0:1], 1, v4
	s_andn2_b64 vcc, exec, s[24:25]
	v_cmp_le_u32_e64 s[2:3], s19, v0
	s_barrier
	s_cbranch_vccnz .LBB117_21
; %bb.20:
	v_subrev_u32_e32 v4, s19, v0
	v_mov_b32_e32 v5, 0
	v_lshlrev_b64 v[8:9], 3, v[4:5]
	v_mov_b32_e32 v4, s13
	v_add_co_u32_e32 v8, vcc, s12, v8
	v_addc_co_u32_e32 v4, vcc, v4, v9, vcc
	v_mov_b32_e32 v9, s21
	v_add_co_u32_e32 v13, vcc, s20, v1
	v_addc_co_u32_e32 v14, vcc, 0, v9, vcc
	v_cndmask_b32_e64 v9, v4, v14, s[4:5]
	v_cndmask_b32_e64 v8, v8, v13, s[4:5]
	global_load_dwordx2 v[8:9], v[8:9], off
	v_or_b32_e32 v15, 0x200, v0
	s_movk_i32 s4, 0x1000
	v_add_co_u32_e32 v13, vcc, s4, v13
	v_subrev_u32_e32 v4, s19, v15
	v_addc_co_u32_e32 v14, vcc, 0, v14, vcc
	v_lshlrev_b64 v[4:5], 3, v[4:5]
	v_mov_b32_e32 v16, s13
	v_add_co_u32_e32 v4, vcc, s12, v4
	v_addc_co_u32_e32 v5, vcc, v16, v5, vcc
	v_cmp_gt_u32_e32 vcc, s19, v15
	v_cndmask_b32_e32 v5, v5, v14, vcc
	v_cndmask_b32_e32 v4, v4, v13, vcc
	s_mov_b64 s[4:5], -1
	s_waitcnt vmcnt(0)
	ds_write_b64 v1, v[8:9]
	s_cbranch_execz .LBB117_22
	s_branch .LBB117_33
.LBB117_21:
	s_mov_b64 s[4:5], 0
                                        ; implicit-def: $vgpr4_vgpr5
.LBB117_22:
	s_mov_b64 s[6:7], 0
                                        ; implicit-def: $vgpr4_vgpr5
	s_and_saveexec_b64 s[8:9], s[2:3]
	s_xor_b64 s[2:3], exec, s[8:9]
	s_cbranch_execnz .LBB117_54
; %bb.23:
	s_andn2_saveexec_b64 s[2:3], s[2:3]
	s_cbranch_execnz .LBB117_57
.LBB117_24:
	s_or_b64 exec, exec, s[2:3]
	s_and_saveexec_b64 s[2:3], s[6:7]
	s_cbranch_execz .LBB117_26
.LBB117_25:
	global_load_dwordx2 v[4:5], v[4:5], off
	s_waitcnt vmcnt(0)
	ds_write_b64 v1, v[4:5]
.LBB117_26:
	s_or_b64 exec, exec, s[2:3]
	v_or_b32_e32 v8, 0x200, v0
	v_cmp_le_u32_e32 vcc, s19, v8
                                        ; implicit-def: $vgpr4_vgpr5
	s_and_saveexec_b64 s[2:3], vcc
	s_xor_b64 s[2:3], exec, s[2:3]
	s_cbranch_execz .LBB117_30
; %bb.27:
	v_subrev_u32_e32 v8, s19, v8
	v_cmp_gt_u32_e32 vcc, s27, v8
	s_mov_b64 s[8:9], s[4:5]
                                        ; implicit-def: $vgpr4_vgpr5
	s_and_saveexec_b64 s[6:7], vcc
; %bb.28:
	v_mov_b32_e32 v9, 0
	v_lshlrev_b64 v[4:5], 3, v[8:9]
	v_mov_b32_e32 v8, s13
	v_add_co_u32_e32 v4, vcc, s12, v4
	v_addc_co_u32_e32 v5, vcc, v8, v5, vcc
	s_or_b64 s[8:9], s[4:5], exec
; %bb.29:
	s_or_b64 exec, exec, s[6:7]
	s_andn2_b64 s[4:5], s[4:5], exec
	s_and_b64 s[6:7], s[8:9], exec
	s_or_b64 s[4:5], s[4:5], s[6:7]
                                        ; implicit-def: $vgpr8
.LBB117_30:
	s_andn2_saveexec_b64 s[2:3], s[2:3]
; %bb.31:
	v_lshlrev_b32_e32 v4, 3, v8
	v_mov_b32_e32 v5, s21
	v_add_co_u32_e32 v4, vcc, s20, v4
	v_addc_co_u32_e32 v5, vcc, 0, v5, vcc
	s_or_b64 s[4:5], s[4:5], exec
; %bb.32:
	s_or_b64 exec, exec, s[2:3]
.LBB117_33:
	s_and_saveexec_b64 s[2:3], s[4:5]
	s_cbranch_execz .LBB117_35
; %bb.34:
	global_load_dwordx2 v[4:5], v[4:5], off
	s_waitcnt vmcnt(0)
	ds_write_b64 v1, v[4:5] offset:4096
.LBB117_35:
	s_or_b64 exec, exec, s[2:3]
	s_and_b64 vcc, exec, s[0:1]
	v_add_u32_e32 v4, s18, v10
	s_waitcnt lgkmcnt(0)
	s_barrier
	s_cbranch_vccnz .LBB117_37
; %bb.36:
	v_lshlrev_b32_e32 v13, 3, v12
	ds_read_b64 v[14:15], v13
	v_mov_b32_e32 v5, 0
	v_lshlrev_b64 v[8:9], 3, v[4:5]
	v_mov_b32_e32 v16, s15
	v_add_co_u32_e32 v8, vcc, s14, v8
	v_addc_co_u32_e32 v9, vcc, v16, v9, vcc
	s_mov_b64 s[0:1], -1
	s_waitcnt lgkmcnt(0)
	global_store_dwordx2 v[8:9], v[14:15], off
	s_cbranch_execz .LBB117_38
	s_branch .LBB117_43
.LBB117_37:
	s_mov_b64 s[0:1], 0
.LBB117_38:
	v_cmp_gt_u32_e32 vcc, s17, v10
	s_and_saveexec_b64 s[2:3], vcc
	s_cbranch_execz .LBB117_40
; %bb.39:
	v_lshlrev_b32_e32 v12, 3, v12
	ds_read_b64 v[12:13], v12
	v_mov_b32_e32 v5, 0
	v_lshlrev_b64 v[8:9], 3, v[4:5]
	v_mov_b32_e32 v5, s15
	v_add_co_u32_e32 v8, vcc, s14, v8
	v_addc_co_u32_e32 v9, vcc, v5, v9, vcc
	s_waitcnt lgkmcnt(0)
	global_store_dwordx2 v[8:9], v[12:13], off
.LBB117_40:
	s_or_b64 exec, exec, s[2:3]
	v_or_b32_e32 v5, 1, v10
	v_cmp_gt_u32_e32 vcc, s17, v5
	s_and_saveexec_b64 s[2:3], vcc
; %bb.41:
	v_mov_b32_e32 v5, 0
	s_or_b64 s[0:1], s[0:1], exec
; %bb.42:
	s_or_b64 exec, exec, s[2:3]
.LBB117_43:
	s_and_saveexec_b64 s[2:3], s[0:1]
	s_cbranch_execz .LBB117_45
; %bb.44:
	v_lshlrev_b32_e32 v8, 3, v11
	ds_read_b64 v[8:9], v8
	v_lshlrev_b64 v[4:5], 3, v[4:5]
	v_mov_b32_e32 v12, s15
	v_add_co_u32_e32 v4, vcc, s14, v4
	v_addc_co_u32_e32 v5, vcc, v12, v5, vcc
	s_waitcnt lgkmcnt(0)
	global_store_dwordx2 v[4:5], v[8:9], off offset:8
.LBB117_45:
	s_or_b64 exec, exec, s[2:3]
	v_lshrrev_b32_e32 v4, 1, v0
	v_and_b32_e32 v4, 0xf8, v4
	v_lshl_add_u32 v4, v10, 3, v4
	s_barrier
	s_barrier
	s_mov_b32 s19, 0
	ds_write2_b64 v4, v[2:3], v[6:7] offset1:1
	v_lshrrev_b32_e32 v2, 2, v0
	s_lshl_b64 s[0:1], s[18:19], 3
	v_and_b32_e32 v2, 0x78, v2
	v_or_b32_e32 v6, 0x200, v0
	s_add_u32 s0, s10, s0
	v_add_u32_e32 v7, v1, v2
	v_lshrrev_b32_e32 v2, 2, v6
	s_addc_u32 s1, s11, s1
	v_and_b32_e32 v2, 0xf8, v2
	v_add_u32_e32 v8, v1, v2
	v_mov_b32_e32 v3, s1
	v_add_co_u32_e32 v2, vcc, s0, v1
	v_addc_co_u32_e32 v3, vcc, 0, v3, vcc
	s_and_b64 vcc, exec, s[24:25]
	s_waitcnt lgkmcnt(0)
	s_cbranch_vccz .LBB117_47
; %bb.46:
	s_barrier
	ds_read_b64 v[10:11], v7
	ds_read_b64 v[4:5], v8 offset:4096
	s_mov_b64 s[0:1], -1
	s_waitcnt lgkmcnt(1)
	global_store_dwordx2 v[2:3], v[10:11], off
	s_cbranch_execz .LBB117_48
	s_branch .LBB117_51
.LBB117_47:
	s_mov_b64 s[0:1], 0
                                        ; implicit-def: $vgpr4_vgpr5
.LBB117_48:
	s_barrier
	s_waitcnt lgkmcnt(0)
	ds_read_b64 v[4:5], v8 offset:4096
	s_sub_i32 s2, s16, s18
	v_cmp_gt_u32_e32 vcc, s2, v0
	s_and_saveexec_b64 s[0:1], vcc
	s_cbranch_execz .LBB117_50
; %bb.49:
	ds_read_b64 v[0:1], v7
	s_waitcnt lgkmcnt(0)
	global_store_dwordx2 v[2:3], v[0:1], off
.LBB117_50:
	s_or_b64 exec, exec, s[0:1]
	v_cmp_gt_u32_e64 s[0:1], s2, v6
.LBB117_51:
	s_and_saveexec_b64 s[2:3], s[0:1]
	s_cbranch_execz .LBB117_53
; %bb.52:
	v_add_co_u32_e32 v0, vcc, 0x1000, v2
	v_addc_co_u32_e32 v1, vcc, 0, v3, vcc
	s_waitcnt lgkmcnt(0)
	global_store_dwordx2 v[0:1], v[4:5], off
.LBB117_53:
	s_endpgm
.LBB117_54:
	v_subrev_u32_e32 v8, s19, v0
	v_cmp_gt_u32_e32 vcc, s27, v8
                                        ; implicit-def: $vgpr4_vgpr5
	s_and_saveexec_b64 s[8:9], vcc
	s_xor_b64 s[8:9], exec, s[8:9]
; %bb.55:
	v_mov_b32_e32 v9, 0
	v_lshlrev_b64 v[4:5], 3, v[8:9]
	v_mov_b32_e32 v8, s13
	v_add_co_u32_e32 v4, vcc, s12, v4
	s_mov_b64 s[6:7], exec
	v_addc_co_u32_e32 v5, vcc, v8, v5, vcc
; %bb.56:
	s_or_b64 exec, exec, s[8:9]
	s_and_b64 s[6:7], s[6:7], exec
	s_andn2_saveexec_b64 s[2:3], s[2:3]
	s_cbranch_execz .LBB117_24
.LBB117_57:
	v_mov_b32_e32 v5, s21
	v_add_co_u32_e32 v4, vcc, s20, v1
	v_addc_co_u32_e32 v5, vcc, 0, v5, vcc
	s_or_b64 s[6:7], s[6:7], exec
	s_or_b64 exec, exec, s[2:3]
	s_and_saveexec_b64 s[2:3], s[6:7]
	s_cbranch_execnz .LBB117_25
	s_branch .LBB117_26
	.section	.rodata,"a",@progbits
	.p2align	6, 0x0
	.amdhsa_kernel _ZN7rocprim17ROCPRIM_304000_NS6detail35device_block_merge_mergepath_kernelINS1_37wrapped_merge_sort_block_merge_configINS0_14default_configElN2at4cuda3cub6detail10OpaqueTypeILi8EEEEEPlSC_PSA_SD_jNS1_19radix_merge_compareILb0ELb1ElNS0_19identity_decomposerEEEEEvT0_T1_T2_T3_T4_SL_jT5_PKSL_NS1_7vsmem_tE
		.amdhsa_group_segment_fixed_size 8448
		.amdhsa_private_segment_fixed_size 0
		.amdhsa_kernarg_size 328
		.amdhsa_user_sgpr_count 6
		.amdhsa_user_sgpr_private_segment_buffer 1
		.amdhsa_user_sgpr_dispatch_ptr 0
		.amdhsa_user_sgpr_queue_ptr 0
		.amdhsa_user_sgpr_kernarg_segment_ptr 1
		.amdhsa_user_sgpr_dispatch_id 0
		.amdhsa_user_sgpr_flat_scratch_init 0
		.amdhsa_user_sgpr_kernarg_preload_length 0
		.amdhsa_user_sgpr_kernarg_preload_offset 0
		.amdhsa_user_sgpr_private_segment_size 0
		.amdhsa_uses_dynamic_stack 0
		.amdhsa_system_sgpr_private_segment_wavefront_offset 0
		.amdhsa_system_sgpr_workgroup_id_x 1
		.amdhsa_system_sgpr_workgroup_id_y 1
		.amdhsa_system_sgpr_workgroup_id_z 1
		.amdhsa_system_sgpr_workgroup_info 0
		.amdhsa_system_vgpr_workitem_id 0
		.amdhsa_next_free_vgpr 17
		.amdhsa_next_free_sgpr 31
		.amdhsa_accum_offset 20
		.amdhsa_reserve_vcc 1
		.amdhsa_reserve_flat_scratch 0
		.amdhsa_float_round_mode_32 0
		.amdhsa_float_round_mode_16_64 0
		.amdhsa_float_denorm_mode_32 3
		.amdhsa_float_denorm_mode_16_64 3
		.amdhsa_dx10_clamp 1
		.amdhsa_ieee_mode 1
		.amdhsa_fp16_overflow 0
		.amdhsa_tg_split 0
		.amdhsa_exception_fp_ieee_invalid_op 0
		.amdhsa_exception_fp_denorm_src 0
		.amdhsa_exception_fp_ieee_div_zero 0
		.amdhsa_exception_fp_ieee_overflow 0
		.amdhsa_exception_fp_ieee_underflow 0
		.amdhsa_exception_fp_ieee_inexact 0
		.amdhsa_exception_int_div_zero 0
	.end_amdhsa_kernel
	.section	.text._ZN7rocprim17ROCPRIM_304000_NS6detail35device_block_merge_mergepath_kernelINS1_37wrapped_merge_sort_block_merge_configINS0_14default_configElN2at4cuda3cub6detail10OpaqueTypeILi8EEEEEPlSC_PSA_SD_jNS1_19radix_merge_compareILb0ELb1ElNS0_19identity_decomposerEEEEEvT0_T1_T2_T3_T4_SL_jT5_PKSL_NS1_7vsmem_tE,"axG",@progbits,_ZN7rocprim17ROCPRIM_304000_NS6detail35device_block_merge_mergepath_kernelINS1_37wrapped_merge_sort_block_merge_configINS0_14default_configElN2at4cuda3cub6detail10OpaqueTypeILi8EEEEEPlSC_PSA_SD_jNS1_19radix_merge_compareILb0ELb1ElNS0_19identity_decomposerEEEEEvT0_T1_T2_T3_T4_SL_jT5_PKSL_NS1_7vsmem_tE,comdat
.Lfunc_end117:
	.size	_ZN7rocprim17ROCPRIM_304000_NS6detail35device_block_merge_mergepath_kernelINS1_37wrapped_merge_sort_block_merge_configINS0_14default_configElN2at4cuda3cub6detail10OpaqueTypeILi8EEEEEPlSC_PSA_SD_jNS1_19radix_merge_compareILb0ELb1ElNS0_19identity_decomposerEEEEEvT0_T1_T2_T3_T4_SL_jT5_PKSL_NS1_7vsmem_tE, .Lfunc_end117-_ZN7rocprim17ROCPRIM_304000_NS6detail35device_block_merge_mergepath_kernelINS1_37wrapped_merge_sort_block_merge_configINS0_14default_configElN2at4cuda3cub6detail10OpaqueTypeILi8EEEEEPlSC_PSA_SD_jNS1_19radix_merge_compareILb0ELb1ElNS0_19identity_decomposerEEEEEvT0_T1_T2_T3_T4_SL_jT5_PKSL_NS1_7vsmem_tE
                                        ; -- End function
	.section	.AMDGPU.csdata,"",@progbits
; Kernel info:
; codeLenInByte = 2112
; NumSgprs: 35
; NumVgprs: 17
; NumAgprs: 0
; TotalNumVgprs: 17
; ScratchSize: 0
; MemoryBound: 1
; FloatMode: 240
; IeeeMode: 1
; LDSByteSize: 8448 bytes/workgroup (compile time only)
; SGPRBlocks: 4
; VGPRBlocks: 2
; NumSGPRsForWavesPerEU: 35
; NumVGPRsForWavesPerEU: 17
; AccumOffset: 20
; Occupancy: 8
; WaveLimiterHint : 1
; COMPUTE_PGM_RSRC2:SCRATCH_EN: 0
; COMPUTE_PGM_RSRC2:USER_SGPR: 6
; COMPUTE_PGM_RSRC2:TRAP_HANDLER: 0
; COMPUTE_PGM_RSRC2:TGID_X_EN: 1
; COMPUTE_PGM_RSRC2:TGID_Y_EN: 1
; COMPUTE_PGM_RSRC2:TGID_Z_EN: 1
; COMPUTE_PGM_RSRC2:TIDIG_COMP_CNT: 0
; COMPUTE_PGM_RSRC3_GFX90A:ACCUM_OFFSET: 4
; COMPUTE_PGM_RSRC3_GFX90A:TG_SPLIT: 0
	.section	.text._ZN7rocprim17ROCPRIM_304000_NS6detail33device_block_merge_oddeven_kernelINS1_37wrapped_merge_sort_block_merge_configINS0_14default_configElN2at4cuda3cub6detail10OpaqueTypeILi8EEEEEPlSC_PSA_SD_jNS1_19radix_merge_compareILb0ELb1ElNS0_19identity_decomposerEEEEEvT0_T1_T2_T3_T4_SL_T5_,"axG",@progbits,_ZN7rocprim17ROCPRIM_304000_NS6detail33device_block_merge_oddeven_kernelINS1_37wrapped_merge_sort_block_merge_configINS0_14default_configElN2at4cuda3cub6detail10OpaqueTypeILi8EEEEEPlSC_PSA_SD_jNS1_19radix_merge_compareILb0ELb1ElNS0_19identity_decomposerEEEEEvT0_T1_T2_T3_T4_SL_T5_,comdat
	.protected	_ZN7rocprim17ROCPRIM_304000_NS6detail33device_block_merge_oddeven_kernelINS1_37wrapped_merge_sort_block_merge_configINS0_14default_configElN2at4cuda3cub6detail10OpaqueTypeILi8EEEEEPlSC_PSA_SD_jNS1_19radix_merge_compareILb0ELb1ElNS0_19identity_decomposerEEEEEvT0_T1_T2_T3_T4_SL_T5_ ; -- Begin function _ZN7rocprim17ROCPRIM_304000_NS6detail33device_block_merge_oddeven_kernelINS1_37wrapped_merge_sort_block_merge_configINS0_14default_configElN2at4cuda3cub6detail10OpaqueTypeILi8EEEEEPlSC_PSA_SD_jNS1_19radix_merge_compareILb0ELb1ElNS0_19identity_decomposerEEEEEvT0_T1_T2_T3_T4_SL_T5_
	.globl	_ZN7rocprim17ROCPRIM_304000_NS6detail33device_block_merge_oddeven_kernelINS1_37wrapped_merge_sort_block_merge_configINS0_14default_configElN2at4cuda3cub6detail10OpaqueTypeILi8EEEEEPlSC_PSA_SD_jNS1_19radix_merge_compareILb0ELb1ElNS0_19identity_decomposerEEEEEvT0_T1_T2_T3_T4_SL_T5_
	.p2align	8
	.type	_ZN7rocprim17ROCPRIM_304000_NS6detail33device_block_merge_oddeven_kernelINS1_37wrapped_merge_sort_block_merge_configINS0_14default_configElN2at4cuda3cub6detail10OpaqueTypeILi8EEEEEPlSC_PSA_SD_jNS1_19radix_merge_compareILb0ELb1ElNS0_19identity_decomposerEEEEEvT0_T1_T2_T3_T4_SL_T5_,@function
_ZN7rocprim17ROCPRIM_304000_NS6detail33device_block_merge_oddeven_kernelINS1_37wrapped_merge_sort_block_merge_configINS0_14default_configElN2at4cuda3cub6detail10OpaqueTypeILi8EEEEEPlSC_PSA_SD_jNS1_19radix_merge_compareILb0ELb1ElNS0_19identity_decomposerEEEEEvT0_T1_T2_T3_T4_SL_T5_: ; @_ZN7rocprim17ROCPRIM_304000_NS6detail33device_block_merge_oddeven_kernelINS1_37wrapped_merge_sort_block_merge_configINS0_14default_configElN2at4cuda3cub6detail10OpaqueTypeILi8EEEEEPlSC_PSA_SD_jNS1_19radix_merge_compareILb0ELb1ElNS0_19identity_decomposerEEEEEvT0_T1_T2_T3_T4_SL_T5_
; %bb.0:
	s_load_dwordx2 s[18:19], s[4:5], 0x20
	s_waitcnt lgkmcnt(0)
	s_lshr_b32 s2, s18, 8
	s_cmp_lg_u32 s6, s2
	s_cselect_b64 s[0:1], -1, 0
	s_cmp_eq_u32 s6, s2
	s_cselect_b64 s[16:17], -1, 0
	s_lshl_b32 s20, s6, 8
	s_sub_i32 s2, s18, s20
	v_cmp_gt_u32_e64 s[2:3], s2, v0
	s_or_b64 s[0:1], s[0:1], s[2:3]
	s_and_saveexec_b64 s[8:9], s[0:1]
	s_cbranch_execz .LBB118_26
; %bb.1:
	s_load_dwordx8 s[8:15], s[4:5], 0x0
	s_mov_b32 s21, 0
	s_lshl_b64 s[0:1], s[20:21], 3
	v_lshlrev_b32_e32 v1, 3, v0
	v_add_u32_e32 v6, s20, v0
	s_waitcnt lgkmcnt(0)
	s_add_u32 s22, s8, s0
	s_addc_u32 s23, s9, s1
	s_add_u32 s0, s12, s0
	s_addc_u32 s1, s13, s1
	global_load_dwordx2 v[2:3], v1, s[0:1]
	global_load_dwordx2 v[4:5], v1, s[22:23]
	s_lshr_b32 s0, s19, 8
	s_sub_i32 s1, 0, s0
	s_and_b32 s1, s6, s1
	s_and_b32 s0, s1, s0
	s_lshl_b32 s23, s1, 8
	s_sub_i32 s12, 0, s19
	s_cmp_eq_u32 s0, 0
	s_cselect_b64 s[0:1], -1, 0
	s_and_b64 s[6:7], s[0:1], exec
	s_cselect_b32 s22, s19, s12
	s_add_i32 s22, s22, s23
	s_cmp_lt_u32 s22, s18
	s_cbranch_scc1 .LBB118_6
; %bb.2:
	s_and_b64 vcc, exec, s[16:17]
	s_cbranch_vccz .LBB118_7
; %bb.3:
	v_cmp_gt_u32_e32 vcc, s18, v6
	s_mov_b64 s[12:13], 0
	s_mov_b64 s[6:7], 0
                                        ; implicit-def: $vgpr0_vgpr1
	s_and_saveexec_b64 s[20:21], vcc
	s_cbranch_execz .LBB118_5
; %bb.4:
	v_mov_b32_e32 v7, 0
	v_lshlrev_b64 v[8:9], 3, v[6:7]
	v_mov_b32_e32 v1, s15
	v_add_co_u32_e32 v0, vcc, s14, v8
	v_addc_co_u32_e32 v1, vcc, v1, v9, vcc
	v_mov_b32_e32 v7, s11
	v_add_co_u32_e32 v8, vcc, s10, v8
	s_mov_b64 s[6:7], exec
	v_addc_co_u32_e32 v9, vcc, v7, v9, vcc
	s_waitcnt vmcnt(0)
	global_store_dwordx2 v[8:9], v[4:5], off
.LBB118_5:
	s_or_b64 exec, exec, s[20:21]
	s_and_b64 vcc, exec, s[12:13]
	s_cbranch_vccnz .LBB118_8
	s_branch .LBB118_9
.LBB118_6:
	s_mov_b64 s[6:7], 0
                                        ; implicit-def: $vgpr0_vgpr1
	s_cbranch_execnz .LBB118_10
	s_branch .LBB118_24
.LBB118_7:
	s_mov_b64 s[6:7], 0
                                        ; implicit-def: $vgpr0_vgpr1
	s_cbranch_execz .LBB118_9
.LBB118_8:
	v_mov_b32_e32 v7, 0
	v_lshlrev_b64 v[0:1], 3, v[6:7]
	v_mov_b32_e32 v7, s11
	v_add_co_u32_e32 v8, vcc, s10, v0
	v_addc_co_u32_e32 v9, vcc, v7, v1, vcc
	v_mov_b32_e32 v7, s15
	v_add_co_u32_e32 v0, vcc, s14, v0
	v_addc_co_u32_e32 v1, vcc, v7, v1, vcc
	s_or_b64 s[6:7], s[6:7], exec
	s_waitcnt vmcnt(0)
	global_store_dwordx2 v[8:9], v[4:5], off
.LBB118_9:
	s_branch .LBB118_24
.LBB118_10:
	s_min_u32 s20, s22, s18
	s_load_dwordx2 s[4:5], s[4:5], 0x28
	s_add_i32 s12, s20, s19
	s_min_u32 s18, s12, s18
	s_min_u32 s12, s23, s20
	s_add_i32 s23, s23, s20
	v_subrev_u32_e32 v0, s23, v6
	v_add_u32_e32 v8, s12, v0
	s_and_b64 vcc, exec, s[16:17]
	s_cbranch_vccz .LBB118_18
; %bb.11:
                                        ; implicit-def: $vgpr0_vgpr1
	s_and_saveexec_b64 s[12:13], s[2:3]
	s_cbranch_execz .LBB118_17
; %bb.12:
	s_cmp_ge_u32 s22, s18
	v_mov_b32_e32 v9, s20
	s_cbranch_scc1 .LBB118_16
; %bb.13:
	s_waitcnt vmcnt(0) lgkmcnt(0)
	v_and_b32_e32 v1, s5, v5
	v_and_b32_e32 v0, s4, v4
	s_mov_b64 s[2:3], 0
	v_mov_b32_e32 v10, s18
	v_mov_b32_e32 v9, s20
	;; [unrolled: 1-line block ×4, first 2 shown]
.LBB118_14:                             ; =>This Inner Loop Header: Depth=1
	v_add_u32_e32 v6, v9, v10
	v_lshrrev_b32_e32 v6, 1, v6
	v_lshlrev_b64 v[12:13], 3, v[6:7]
	v_add_co_u32_e32 v12, vcc, s8, v12
	v_addc_co_u32_e32 v13, vcc, v11, v13, vcc
	global_load_dwordx2 v[12:13], v[12:13], off
	v_add_u32_e32 v14, 1, v6
	s_waitcnt vmcnt(0)
	v_and_b32_e32 v13, s5, v13
	v_and_b32_e32 v12, s4, v12
	v_cmp_gt_i64_e32 vcc, v[0:1], v[12:13]
	v_cndmask_b32_e64 v15, 0, 1, vcc
	v_cmp_le_i64_e32 vcc, v[12:13], v[0:1]
	v_cndmask_b32_e64 v12, 0, 1, vcc
	v_cndmask_b32_e64 v12, v12, v15, s[0:1]
	v_and_b32_e32 v12, 1, v12
	v_cmp_eq_u32_e32 vcc, 1, v12
	v_cndmask_b32_e32 v10, v6, v10, vcc
	v_cndmask_b32_e32 v9, v9, v14, vcc
	v_cmp_ge_u32_e32 vcc, v9, v10
	s_or_b64 s[2:3], vcc, s[2:3]
	s_andn2_b64 exec, exec, s[2:3]
	s_cbranch_execnz .LBB118_14
; %bb.15:
	s_or_b64 exec, exec, s[2:3]
.LBB118_16:
	v_add_u32_e32 v0, v9, v8
	v_mov_b32_e32 v1, 0
	v_lshlrev_b64 v[0:1], 3, v[0:1]
	v_mov_b32_e32 v7, s11
	v_add_co_u32_e32 v6, vcc, s10, v0
	v_addc_co_u32_e32 v7, vcc, v7, v1, vcc
	s_waitcnt vmcnt(0)
	global_store_dwordx2 v[6:7], v[4:5], off
	v_mov_b32_e32 v6, s15
	v_add_co_u32_e32 v0, vcc, s14, v0
	v_addc_co_u32_e32 v1, vcc, v6, v1, vcc
	s_or_b64 s[6:7], s[6:7], exec
.LBB118_17:
	s_or_b64 exec, exec, s[12:13]
	s_branch .LBB118_24
.LBB118_18:
                                        ; implicit-def: $vgpr0_vgpr1
	s_cbranch_execz .LBB118_24
; %bb.19:
	s_cmp_ge_u32 s22, s18
	v_mov_b32_e32 v9, s20
	s_cbranch_scc1 .LBB118_23
; %bb.20:
	s_waitcnt vmcnt(0) lgkmcnt(0)
	v_and_b32_e32 v1, s5, v5
	v_and_b32_e32 v0, s4, v4
	s_mov_b64 s[2:3], 0
	v_mov_b32_e32 v10, s18
	v_mov_b32_e32 v9, s20
	;; [unrolled: 1-line block ×4, first 2 shown]
.LBB118_21:                             ; =>This Inner Loop Header: Depth=1
	v_add_u32_e32 v6, v9, v10
	v_lshrrev_b32_e32 v6, 1, v6
	v_lshlrev_b64 v[12:13], 3, v[6:7]
	v_add_co_u32_e32 v12, vcc, s8, v12
	v_addc_co_u32_e32 v13, vcc, v11, v13, vcc
	global_load_dwordx2 v[12:13], v[12:13], off
	v_add_u32_e32 v14, 1, v6
	s_waitcnt vmcnt(0)
	v_and_b32_e32 v13, s5, v13
	v_and_b32_e32 v12, s4, v12
	v_cmp_gt_i64_e32 vcc, v[0:1], v[12:13]
	v_cndmask_b32_e64 v15, 0, 1, vcc
	v_cmp_le_i64_e32 vcc, v[12:13], v[0:1]
	v_cndmask_b32_e64 v12, 0, 1, vcc
	v_cndmask_b32_e64 v12, v12, v15, s[0:1]
	v_and_b32_e32 v12, 1, v12
	v_cmp_eq_u32_e32 vcc, 1, v12
	v_cndmask_b32_e32 v10, v6, v10, vcc
	v_cndmask_b32_e32 v9, v9, v14, vcc
	v_cmp_ge_u32_e32 vcc, v9, v10
	s_or_b64 s[2:3], vcc, s[2:3]
	s_andn2_b64 exec, exec, s[2:3]
	s_cbranch_execnz .LBB118_21
; %bb.22:
	s_or_b64 exec, exec, s[2:3]
.LBB118_23:
	v_add_u32_e32 v0, v9, v8
	v_mov_b32_e32 v1, 0
	v_lshlrev_b64 v[0:1], 3, v[0:1]
	v_mov_b32_e32 v7, s11
	v_add_co_u32_e32 v6, vcc, s10, v0
	v_addc_co_u32_e32 v7, vcc, v7, v1, vcc
	s_waitcnt vmcnt(0)
	global_store_dwordx2 v[6:7], v[4:5], off
	v_mov_b32_e32 v4, s15
	v_add_co_u32_e32 v0, vcc, s14, v0
	v_addc_co_u32_e32 v1, vcc, v4, v1, vcc
	s_mov_b64 s[6:7], -1
.LBB118_24:
	s_and_b64 exec, exec, s[6:7]
	s_cbranch_execz .LBB118_26
; %bb.25:
	s_waitcnt vmcnt(1)
	global_store_dwordx2 v[0:1], v[2:3], off
.LBB118_26:
	s_endpgm
	.section	.rodata,"a",@progbits
	.p2align	6, 0x0
	.amdhsa_kernel _ZN7rocprim17ROCPRIM_304000_NS6detail33device_block_merge_oddeven_kernelINS1_37wrapped_merge_sort_block_merge_configINS0_14default_configElN2at4cuda3cub6detail10OpaqueTypeILi8EEEEEPlSC_PSA_SD_jNS1_19radix_merge_compareILb0ELb1ElNS0_19identity_decomposerEEEEEvT0_T1_T2_T3_T4_SL_T5_
		.amdhsa_group_segment_fixed_size 0
		.amdhsa_private_segment_fixed_size 0
		.amdhsa_kernarg_size 48
		.amdhsa_user_sgpr_count 6
		.amdhsa_user_sgpr_private_segment_buffer 1
		.amdhsa_user_sgpr_dispatch_ptr 0
		.amdhsa_user_sgpr_queue_ptr 0
		.amdhsa_user_sgpr_kernarg_segment_ptr 1
		.amdhsa_user_sgpr_dispatch_id 0
		.amdhsa_user_sgpr_flat_scratch_init 0
		.amdhsa_user_sgpr_kernarg_preload_length 0
		.amdhsa_user_sgpr_kernarg_preload_offset 0
		.amdhsa_user_sgpr_private_segment_size 0
		.amdhsa_uses_dynamic_stack 0
		.amdhsa_system_sgpr_private_segment_wavefront_offset 0
		.amdhsa_system_sgpr_workgroup_id_x 1
		.amdhsa_system_sgpr_workgroup_id_y 0
		.amdhsa_system_sgpr_workgroup_id_z 0
		.amdhsa_system_sgpr_workgroup_info 0
		.amdhsa_system_vgpr_workitem_id 0
		.amdhsa_next_free_vgpr 16
		.amdhsa_next_free_sgpr 24
		.amdhsa_accum_offset 16
		.amdhsa_reserve_vcc 1
		.amdhsa_reserve_flat_scratch 0
		.amdhsa_float_round_mode_32 0
		.amdhsa_float_round_mode_16_64 0
		.amdhsa_float_denorm_mode_32 3
		.amdhsa_float_denorm_mode_16_64 3
		.amdhsa_dx10_clamp 1
		.amdhsa_ieee_mode 1
		.amdhsa_fp16_overflow 0
		.amdhsa_tg_split 0
		.amdhsa_exception_fp_ieee_invalid_op 0
		.amdhsa_exception_fp_denorm_src 0
		.amdhsa_exception_fp_ieee_div_zero 0
		.amdhsa_exception_fp_ieee_overflow 0
		.amdhsa_exception_fp_ieee_underflow 0
		.amdhsa_exception_fp_ieee_inexact 0
		.amdhsa_exception_int_div_zero 0
	.end_amdhsa_kernel
	.section	.text._ZN7rocprim17ROCPRIM_304000_NS6detail33device_block_merge_oddeven_kernelINS1_37wrapped_merge_sort_block_merge_configINS0_14default_configElN2at4cuda3cub6detail10OpaqueTypeILi8EEEEEPlSC_PSA_SD_jNS1_19radix_merge_compareILb0ELb1ElNS0_19identity_decomposerEEEEEvT0_T1_T2_T3_T4_SL_T5_,"axG",@progbits,_ZN7rocprim17ROCPRIM_304000_NS6detail33device_block_merge_oddeven_kernelINS1_37wrapped_merge_sort_block_merge_configINS0_14default_configElN2at4cuda3cub6detail10OpaqueTypeILi8EEEEEPlSC_PSA_SD_jNS1_19radix_merge_compareILb0ELb1ElNS0_19identity_decomposerEEEEEvT0_T1_T2_T3_T4_SL_T5_,comdat
.Lfunc_end118:
	.size	_ZN7rocprim17ROCPRIM_304000_NS6detail33device_block_merge_oddeven_kernelINS1_37wrapped_merge_sort_block_merge_configINS0_14default_configElN2at4cuda3cub6detail10OpaqueTypeILi8EEEEEPlSC_PSA_SD_jNS1_19radix_merge_compareILb0ELb1ElNS0_19identity_decomposerEEEEEvT0_T1_T2_T3_T4_SL_T5_, .Lfunc_end118-_ZN7rocprim17ROCPRIM_304000_NS6detail33device_block_merge_oddeven_kernelINS1_37wrapped_merge_sort_block_merge_configINS0_14default_configElN2at4cuda3cub6detail10OpaqueTypeILi8EEEEEPlSC_PSA_SD_jNS1_19radix_merge_compareILb0ELb1ElNS0_19identity_decomposerEEEEEvT0_T1_T2_T3_T4_SL_T5_
                                        ; -- End function
	.section	.AMDGPU.csdata,"",@progbits
; Kernel info:
; codeLenInByte = 864
; NumSgprs: 28
; NumVgprs: 16
; NumAgprs: 0
; TotalNumVgprs: 16
; ScratchSize: 0
; MemoryBound: 0
; FloatMode: 240
; IeeeMode: 1
; LDSByteSize: 0 bytes/workgroup (compile time only)
; SGPRBlocks: 3
; VGPRBlocks: 1
; NumSGPRsForWavesPerEU: 28
; NumVGPRsForWavesPerEU: 16
; AccumOffset: 16
; Occupancy: 8
; WaveLimiterHint : 0
; COMPUTE_PGM_RSRC2:SCRATCH_EN: 0
; COMPUTE_PGM_RSRC2:USER_SGPR: 6
; COMPUTE_PGM_RSRC2:TRAP_HANDLER: 0
; COMPUTE_PGM_RSRC2:TGID_X_EN: 1
; COMPUTE_PGM_RSRC2:TGID_Y_EN: 0
; COMPUTE_PGM_RSRC2:TGID_Z_EN: 0
; COMPUTE_PGM_RSRC2:TIDIG_COMP_CNT: 0
; COMPUTE_PGM_RSRC3_GFX90A:ACCUM_OFFSET: 3
; COMPUTE_PGM_RSRC3_GFX90A:TG_SPLIT: 0
	.section	.text._ZN7rocprim17ROCPRIM_304000_NS6detail26onesweep_histograms_kernelINS1_34wrapped_radix_sort_onesweep_configINS0_14default_configElN2at4cuda3cub6detail10OpaqueTypeILi8EEEEELb0EPKlmNS0_19identity_decomposerEEEvT1_PT2_SG_SG_T3_jj,"axG",@progbits,_ZN7rocprim17ROCPRIM_304000_NS6detail26onesweep_histograms_kernelINS1_34wrapped_radix_sort_onesweep_configINS0_14default_configElN2at4cuda3cub6detail10OpaqueTypeILi8EEEEELb0EPKlmNS0_19identity_decomposerEEEvT1_PT2_SG_SG_T3_jj,comdat
	.protected	_ZN7rocprim17ROCPRIM_304000_NS6detail26onesweep_histograms_kernelINS1_34wrapped_radix_sort_onesweep_configINS0_14default_configElN2at4cuda3cub6detail10OpaqueTypeILi8EEEEELb0EPKlmNS0_19identity_decomposerEEEvT1_PT2_SG_SG_T3_jj ; -- Begin function _ZN7rocprim17ROCPRIM_304000_NS6detail26onesweep_histograms_kernelINS1_34wrapped_radix_sort_onesweep_configINS0_14default_configElN2at4cuda3cub6detail10OpaqueTypeILi8EEEEELb0EPKlmNS0_19identity_decomposerEEEvT1_PT2_SG_SG_T3_jj
	.globl	_ZN7rocprim17ROCPRIM_304000_NS6detail26onesweep_histograms_kernelINS1_34wrapped_radix_sort_onesweep_configINS0_14default_configElN2at4cuda3cub6detail10OpaqueTypeILi8EEEEELb0EPKlmNS0_19identity_decomposerEEEvT1_PT2_SG_SG_T3_jj
	.p2align	8
	.type	_ZN7rocprim17ROCPRIM_304000_NS6detail26onesweep_histograms_kernelINS1_34wrapped_radix_sort_onesweep_configINS0_14default_configElN2at4cuda3cub6detail10OpaqueTypeILi8EEEEELb0EPKlmNS0_19identity_decomposerEEEvT1_PT2_SG_SG_T3_jj,@function
_ZN7rocprim17ROCPRIM_304000_NS6detail26onesweep_histograms_kernelINS1_34wrapped_radix_sort_onesweep_configINS0_14default_configElN2at4cuda3cub6detail10OpaqueTypeILi8EEEEELb0EPKlmNS0_19identity_decomposerEEEvT1_PT2_SG_SG_T3_jj: ; @_ZN7rocprim17ROCPRIM_304000_NS6detail26onesweep_histograms_kernelINS1_34wrapped_radix_sort_onesweep_configINS0_14default_configElN2at4cuda3cub6detail10OpaqueTypeILi8EEEEELb0EPKlmNS0_19identity_decomposerEEEvT1_PT2_SG_SG_T3_jj
; %bb.0:
	s_load_dwordx8 s[12:19], s[4:5], 0x0
	s_load_dwordx2 s[20:21], s[4:5], 0x24
	s_mov_b32 s7, 0
	s_mul_i32 s1, s6, 0xc000
	s_mul_hi_u32 s0, s6, 0xc000
	s_waitcnt lgkmcnt(0)
	v_pk_mov_b32 v[2:3], s[18:19], s[18:19] op_sel:[0,1]
	v_cmp_ge_u64_e32 vcc, s[6:7], v[2:3]
	s_add_u32 s12, s12, s1
	s_addc_u32 s13, s13, s0
	s_mov_b64 s[0:1], -1
	v_lshlrev_b32_e32 v16, 3, v0
	s_cbranch_vccz .LBB119_44
; %bb.1:
	s_mul_i32 s0, s18, 0xffffe800
	s_add_i32 s16, s0, s16
	v_mov_b32_e32 v1, s13
	v_add_co_u32_e32 v14, vcc, s12, v16
	v_addc_co_u32_e32 v15, vcc, 0, v1, vcc
	v_cmp_gt_u32_e64 s[10:11], s16, v0
                                        ; implicit-def: $vgpr12_vgpr13
	s_and_saveexec_b64 s[0:1], s[10:11]
	s_cbranch_execz .LBB119_3
; %bb.2:
	global_load_dwordx2 v[12:13], v[14:15], off
	s_waitcnt vmcnt(0)
	v_xor_b32_e32 v13, 0x80000000, v13
.LBB119_3:
	s_or_b64 exec, exec, s[0:1]
	v_or_b32_e32 v1, 0x400, v0
	v_cmp_gt_u32_e64 s[8:9], s16, v1
                                        ; implicit-def: $vgpr10_vgpr11
	s_and_saveexec_b64 s[0:1], s[8:9]
	s_cbranch_execz .LBB119_5
; %bb.4:
	v_add_co_u32_e32 v2, vcc, 0x2000, v14
	v_addc_co_u32_e32 v3, vcc, 0, v15, vcc
	global_load_dwordx2 v[10:11], v[2:3], off
	s_waitcnt vmcnt(0)
	v_xor_b32_e32 v11, 0x80000000, v11
.LBB119_5:
	s_or_b64 exec, exec, s[0:1]
	v_or_b32_e32 v1, 0x800, v0
	v_cmp_gt_u32_e64 s[6:7], s16, v1
                                        ; implicit-def: $vgpr8_vgpr9
	s_and_saveexec_b64 s[0:1], s[6:7]
	s_cbranch_execz .LBB119_7
; %bb.6:
	v_add_co_u32_e32 v2, vcc, 0x4000, v14
	v_addc_co_u32_e32 v3, vcc, 0, v15, vcc
	global_load_dwordx2 v[8:9], v[2:3], off
	s_waitcnt vmcnt(0)
	v_xor_b32_e32 v9, 0x80000000, v9
.LBB119_7:
	s_or_b64 exec, exec, s[0:1]
	v_or_b32_e32 v1, 0xc00, v0
	v_cmp_gt_u32_e64 s[4:5], s16, v1
                                        ; implicit-def: $vgpr6_vgpr7
	s_and_saveexec_b64 s[0:1], s[4:5]
	s_cbranch_execz .LBB119_9
; %bb.8:
	v_add_co_u32_e32 v2, vcc, 0x6000, v14
	v_addc_co_u32_e32 v3, vcc, 0, v15, vcc
	global_load_dwordx2 v[6:7], v[2:3], off
	s_waitcnt vmcnt(0)
	v_xor_b32_e32 v7, 0x80000000, v7
.LBB119_9:
	s_or_b64 exec, exec, s[0:1]
	v_or_b32_e32 v1, 0x1000, v0
	v_cmp_gt_u32_e64 s[2:3], s16, v1
                                        ; implicit-def: $vgpr4_vgpr5
	s_and_saveexec_b64 s[0:1], s[2:3]
	s_cbranch_execz .LBB119_11
; %bb.10:
	v_add_co_u32_e32 v2, vcc, 0x8000, v14
	v_addc_co_u32_e32 v3, vcc, 0, v15, vcc
	global_load_dwordx2 v[4:5], v[2:3], off
	s_waitcnt vmcnt(0)
	v_xor_b32_e32 v5, 0x80000000, v5
.LBB119_11:
	s_or_b64 exec, exec, s[0:1]
	v_or_b32_e32 v1, 0x1400, v0
	v_cmp_gt_u32_e64 s[0:1], s16, v1
                                        ; implicit-def: $vgpr2_vgpr3
	s_and_saveexec_b64 s[16:17], s[0:1]
	s_cbranch_execz .LBB119_13
; %bb.12:
	v_add_co_u32_e32 v2, vcc, 0xa000, v14
	v_addc_co_u32_e32 v3, vcc, 0, v15, vcc
	global_load_dwordx2 v[2:3], v[2:3], off
	s_waitcnt vmcnt(0)
	v_xor_b32_e32 v3, 0x80000000, v3
.LBB119_13:
	s_or_b64 exec, exec, s[16:17]
	s_cmp_gt_u32 s21, s20
	v_lshlrev_b32_e32 v1, 2, v0
	v_mov_b32_e32 v14, 0
	s_cselect_b64 s[16:17], -1, 0
	s_cmp_le_u32 s21, s20
	ds_write2st64_b32 v1, v14, v14 offset1:16
	ds_write2st64_b32 v1, v14, v14 offset0:32 offset1:48
	ds_write2st64_b32 v1, v14, v14 offset0:64 offset1:80
	;; [unrolled: 1-line block ×3, first 2 shown]
	s_waitcnt lgkmcnt(0)
	s_barrier
	s_cbranch_scc1 .LBB119_38
; %bb.14:
	v_and_b32_e32 v1, 3, v0
	v_lshlrev_b32_e32 v1, 2, v1
	s_sub_i32 s22, s21, s20
	v_mov_b32_e32 v14, 1
	s_mov_b32 s23, s22
	v_mov_b32_e32 v15, v1
	s_mov_b32 s24, s20
	s_branch .LBB119_16
.LBB119_15:                             ;   in Loop: Header=BB119_16 Depth=1
	s_or_b64 exec, exec, s[18:19]
	s_add_i32 s24, s24, 8
	s_add_i32 s23, s23, -8
	s_cmp_lt_u32 s24, s21
	v_add_u32_e32 v15, 0x1000, v15
	s_cbranch_scc0 .LBB119_18
.LBB119_16:                             ; =>This Inner Loop Header: Depth=1
	s_and_saveexec_b64 s[18:19], s[10:11]
	s_cbranch_execz .LBB119_15
; %bb.17:                               ;   in Loop: Header=BB119_16 Depth=1
	s_min_u32 s25, s23, 8
	v_lshrrev_b64 v[18:19], s24, v[12:13]
	v_bfe_u32 v17, v18, 0, s25
	v_lshl_add_u32 v17, v17, 4, v15
	ds_add_u32 v17, v14
	s_branch .LBB119_15
.LBB119_18:
	v_mov_b32_e32 v12, 1
	s_mov_b32 s18, s22
	v_mov_b32_e32 v13, v1
	s_mov_b32 s19, s20
	s_branch .LBB119_20
.LBB119_19:                             ;   in Loop: Header=BB119_20 Depth=1
	s_or_b64 exec, exec, s[10:11]
	s_add_i32 s19, s19, 8
	s_add_i32 s18, s18, -8
	s_cmp_lt_u32 s19, s21
	v_add_u32_e32 v13, 0x1000, v13
	s_cbranch_scc0 .LBB119_22
.LBB119_20:                             ; =>This Inner Loop Header: Depth=1
	s_and_saveexec_b64 s[10:11], s[8:9]
	s_cbranch_execz .LBB119_19
; %bb.21:                               ;   in Loop: Header=BB119_20 Depth=1
	s_min_u32 s23, s18, 8
	v_lshrrev_b64 v[14:15], s19, v[10:11]
	v_bfe_u32 v14, v14, 0, s23
	v_lshl_add_u32 v14, v14, 4, v13
	ds_add_u32 v14, v12
	s_branch .LBB119_19
.LBB119_22:
	v_mov_b32_e32 v10, 1
	s_mov_b32 s10, s22
	v_mov_b32_e32 v11, v1
	s_mov_b32 s11, s20
	s_branch .LBB119_24
.LBB119_23:                             ;   in Loop: Header=BB119_24 Depth=1
	s_or_b64 exec, exec, s[8:9]
	s_add_i32 s11, s11, 8
	s_add_i32 s10, s10, -8
	s_cmp_lt_u32 s11, s21
	v_add_u32_e32 v11, 0x1000, v11
	s_cbranch_scc0 .LBB119_26
.LBB119_24:                             ; =>This Inner Loop Header: Depth=1
	s_and_saveexec_b64 s[8:9], s[6:7]
	s_cbranch_execz .LBB119_23
; %bb.25:                               ;   in Loop: Header=BB119_24 Depth=1
	s_min_u32 s18, s10, 8
	v_lshrrev_b64 v[12:13], s11, v[8:9]
	v_bfe_u32 v12, v12, 0, s18
	v_lshl_add_u32 v12, v12, 4, v11
	ds_add_u32 v12, v10
	s_branch .LBB119_23
.LBB119_26:
	v_mov_b32_e32 v8, 1
	s_mov_b32 s8, s22
	v_mov_b32_e32 v9, v1
	s_mov_b32 s9, s20
	s_branch .LBB119_28
.LBB119_27:                             ;   in Loop: Header=BB119_28 Depth=1
	s_or_b64 exec, exec, s[6:7]
	s_add_i32 s9, s9, 8
	s_add_i32 s8, s8, -8
	s_cmp_lt_u32 s9, s21
	v_add_u32_e32 v9, 0x1000, v9
	s_cbranch_scc0 .LBB119_30
.LBB119_28:                             ; =>This Inner Loop Header: Depth=1
	s_and_saveexec_b64 s[6:7], s[4:5]
	s_cbranch_execz .LBB119_27
; %bb.29:                               ;   in Loop: Header=BB119_28 Depth=1
	s_min_u32 s10, s8, 8
	v_lshrrev_b64 v[10:11], s9, v[6:7]
	v_bfe_u32 v10, v10, 0, s10
	v_lshl_add_u32 v10, v10, 4, v9
	ds_add_u32 v10, v8
	s_branch .LBB119_27
.LBB119_30:
	v_mov_b32_e32 v6, 1
	s_mov_b32 s6, s22
	v_mov_b32_e32 v7, v1
	s_mov_b32 s7, s20
	s_branch .LBB119_32
.LBB119_31:                             ;   in Loop: Header=BB119_32 Depth=1
	s_or_b64 exec, exec, s[4:5]
	s_add_i32 s7, s7, 8
	s_add_i32 s6, s6, -8
	s_cmp_lt_u32 s7, s21
	v_add_u32_e32 v7, 0x1000, v7
	s_cbranch_scc0 .LBB119_34
.LBB119_32:                             ; =>This Inner Loop Header: Depth=1
	s_and_saveexec_b64 s[4:5], s[2:3]
	s_cbranch_execz .LBB119_31
; %bb.33:                               ;   in Loop: Header=BB119_32 Depth=1
	s_min_u32 s8, s6, 8
	v_lshrrev_b64 v[8:9], s7, v[4:5]
	v_bfe_u32 v8, v8, 0, s8
	v_lshl_add_u32 v8, v8, 4, v7
	ds_add_u32 v8, v6
	s_branch .LBB119_31
.LBB119_34:
	v_mov_b32_e32 v4, 1
	s_mov_b32 s4, s20
	s_branch .LBB119_36
.LBB119_35:                             ;   in Loop: Header=BB119_36 Depth=1
	s_or_b64 exec, exec, s[2:3]
	s_add_i32 s4, s4, 8
	s_add_i32 s22, s22, -8
	s_cmp_lt_u32 s4, s21
	v_add_u32_e32 v1, 0x1000, v1
	s_cbranch_scc0 .LBB119_38
.LBB119_36:                             ; =>This Inner Loop Header: Depth=1
	s_and_saveexec_b64 s[2:3], s[0:1]
	s_cbranch_execz .LBB119_35
; %bb.37:                               ;   in Loop: Header=BB119_36 Depth=1
	s_min_u32 s5, s22, 8
	v_lshrrev_b64 v[6:7], s4, v[2:3]
	v_bfe_u32 v5, v6, 0, s5
	v_lshl_add_u32 v5, v5, 4, v1
	ds_add_u32 v5, v4
	s_branch .LBB119_35
.LBB119_38:
	s_and_b64 vcc, exec, s[16:17]
	s_waitcnt lgkmcnt(0)
	s_barrier
	s_cbranch_vccz .LBB119_43
; %bb.39:
	s_movk_i32 s0, 0x100
	v_cmp_gt_u32_e32 vcc, s0, v0
	v_lshlrev_b32_e32 v1, 4, v0
	v_mov_b32_e32 v3, 0
	v_mov_b32_e32 v2, v0
	s_mov_b32 s4, s20
	s_branch .LBB119_41
.LBB119_40:                             ;   in Loop: Header=BB119_41 Depth=1
	s_or_b64 exec, exec, s[2:3]
	s_add_i32 s4, s4, 8
	v_add_u32_e32 v2, 0x100, v2
	s_cmp_lt_u32 s4, s21
	v_add_u32_e32 v1, 0x1000, v1
	s_cbranch_scc0 .LBB119_43
.LBB119_41:                             ; =>This Inner Loop Header: Depth=1
	s_and_saveexec_b64 s[2:3], vcc
	s_cbranch_execz .LBB119_40
; %bb.42:                               ;   in Loop: Header=BB119_41 Depth=1
	ds_read2_b32 v[4:5], v1 offset1:1
	ds_read2_b32 v[6:7], v1 offset0:2 offset1:3
	v_lshlrev_b64 v[8:9], 3, v[2:3]
	v_mov_b32_e32 v10, s15
	s_waitcnt lgkmcnt(1)
	v_add_u32_e32 v4, v5, v4
	s_waitcnt lgkmcnt(0)
	v_add3_u32 v4, v4, v6, v7
	v_add_co_u32_e64 v6, s[0:1], s14, v8
	v_addc_co_u32_e64 v7, s[0:1], v10, v9, s[0:1]
	v_mov_b32_e32 v5, v3
	global_atomic_add_x2 v[6:7], v[4:5], off
	s_branch .LBB119_40
.LBB119_43:
	s_mov_b64 s[0:1], 0
.LBB119_44:
	s_and_b64 vcc, exec, s[0:1]
	s_cbranch_vccz .LBB119_68
; %bb.45:
	v_mov_b32_e32 v1, s13
	v_add_co_u32_e32 v17, vcc, s12, v16
	v_addc_co_u32_e32 v1, vcc, 0, v1, vcc
	v_add_co_u32_e32 v2, vcc, 0x2000, v17
	v_addc_co_u32_e32 v3, vcc, 0, v1, vcc
	;; [unrolled: 2-line block ×5, first 2 shown]
	global_load_dwordx2 v[10:11], v[2:3], off
	global_load_dwordx2 v[8:9], v[12:13], off
	;; [unrolled: 1-line block ×4, first 2 shown]
	v_add_co_u32_e32 v14, vcc, 0xa000, v17
	v_addc_co_u32_e32 v15, vcc, 0, v1, vcc
	global_load_dwordx2 v[12:13], v16, s[12:13]
	global_load_dwordx2 v[2:3], v[14:15], off
	s_cmp_eq_u32 s20, 0
	s_cselect_b64 s[0:1], -1, 0
	s_cmp_eq_u32 s21, 64
	s_cselect_b64 s[2:3], -1, 0
	s_and_b64 s[2:3], s[0:1], s[2:3]
	s_mov_b64 s[0:1], -1
	s_and_b64 vcc, exec, s[2:3]
	v_lshlrev_b32_e32 v17, 2, v0
	s_cbranch_vccnz .LBB119_65
; %bb.46:
	s_cmp_gt_u32 s21, s20
	v_mov_b32_e32 v1, 0
	s_cselect_b64 s[0:1], -1, 0
	s_cmp_le_u32 s21, s20
	ds_write2st64_b32 v17, v1, v1 offset1:16
	ds_write2st64_b32 v17, v1, v1 offset0:32 offset1:48
	ds_write2st64_b32 v17, v1, v1 offset0:64 offset1:80
	;; [unrolled: 1-line block ×3, first 2 shown]
	s_waitcnt lgkmcnt(0)
	s_barrier
	s_cbranch_scc1 .LBB119_59
; %bb.47:
	v_and_b32_e32 v1, 3, v0
	v_lshlrev_b32_e32 v1, 2, v1
	s_sub_i32 s2, s21, s20
	s_waitcnt vmcnt(1)
	v_xor_b32_e32 v15, 0x80000000, v13
	v_mov_b32_e32 v14, v12
	v_mov_b32_e32 v18, 1
	s_mov_b32 s3, s2
	v_mov_b32_e32 v19, v1
	s_mov_b32 s4, s20
.LBB119_48:                             ; =>This Inner Loop Header: Depth=1
	s_min_u32 s5, s3, 8
	v_lshrrev_b64 v[20:21], s4, v[14:15]
	v_bfe_u32 v20, v20, 0, s5
	v_lshl_add_u32 v20, v20, 4, v19
	ds_add_u32 v20, v18
	s_add_i32 s4, s4, 8
	s_add_i32 s3, s3, -8
	s_cmp_lt_u32 s4, s21
	v_add_u32_e32 v19, 0x1000, v19
	s_cbranch_scc1 .LBB119_48
; %bb.49:
	v_xor_b32_e32 v15, 0x80000000, v11
	v_mov_b32_e32 v14, v10
	v_mov_b32_e32 v18, 1
	s_mov_b32 s3, s2
	v_mov_b32_e32 v19, v1
	s_mov_b32 s4, s20
.LBB119_50:                             ; =>This Inner Loop Header: Depth=1
	s_min_u32 s5, s3, 8
	v_lshrrev_b64 v[20:21], s4, v[14:15]
	v_bfe_u32 v20, v20, 0, s5
	v_lshl_add_u32 v20, v20, 4, v19
	ds_add_u32 v20, v18
	s_add_i32 s4, s4, 8
	s_add_i32 s3, s3, -8
	s_cmp_lt_u32 s4, s21
	v_add_u32_e32 v19, 0x1000, v19
	s_cbranch_scc1 .LBB119_50
; %bb.51:
	;; [unrolled: 18-line block ×5, first 2 shown]
	s_waitcnt vmcnt(0)
	v_xor_b32_e32 v15, 0x80000000, v3
	v_mov_b32_e32 v14, v2
	v_mov_b32_e32 v18, 1
	s_mov_b32 s3, s20
.LBB119_58:                             ; =>This Inner Loop Header: Depth=1
	s_min_u32 s4, s2, 8
	v_lshrrev_b64 v[20:21], s3, v[14:15]
	v_bfe_u32 v19, v20, 0, s4
	v_lshl_add_u32 v19, v19, 4, v1
	ds_add_u32 v19, v18
	s_add_i32 s3, s3, 8
	s_add_i32 s2, s2, -8
	s_cmp_lt_u32 s3, s21
	v_add_u32_e32 v1, 0x1000, v1
	s_cbranch_scc1 .LBB119_58
.LBB119_59:
	s_and_b64 vcc, exec, s[0:1]
	s_waitcnt lgkmcnt(0)
	s_barrier
	s_cbranch_vccz .LBB119_64
; %bb.60:
	s_movk_i32 s0, 0x100
	v_cmp_gt_u32_e32 vcc, s0, v0
	v_lshlrev_b32_e32 v1, 4, v0
	v_mov_b32_e32 v15, 0
	v_mov_b32_e32 v14, v0
	s_branch .LBB119_62
.LBB119_61:                             ;   in Loop: Header=BB119_62 Depth=1
	s_or_b64 exec, exec, s[2:3]
	s_add_i32 s20, s20, 8
	v_add_u32_e32 v14, 0x100, v14
	s_cmp_ge_u32 s20, s21
	v_add_u32_e32 v1, 0x1000, v1
	s_cbranch_scc1 .LBB119_64
.LBB119_62:                             ; =>This Inner Loop Header: Depth=1
	s_and_saveexec_b64 s[2:3], vcc
	s_cbranch_execz .LBB119_61
; %bb.63:                               ;   in Loop: Header=BB119_62 Depth=1
	ds_read2_b32 v[18:19], v1 offset1:1
	ds_read2_b32 v[20:21], v1 offset0:2 offset1:3
	v_lshlrev_b64 v[22:23], 3, v[14:15]
	v_mov_b32_e32 v24, s15
	s_waitcnt lgkmcnt(1)
	v_add_u32_e32 v18, v19, v18
	s_waitcnt lgkmcnt(0)
	v_add3_u32 v18, v18, v20, v21
	v_add_co_u32_e64 v20, s[0:1], s14, v22
	v_addc_co_u32_e64 v21, s[0:1], v24, v23, s[0:1]
	v_mov_b32_e32 v19, v15
	global_atomic_add_x2 v[20:21], v[18:19], off
	s_branch .LBB119_61
.LBB119_64:
	s_mov_b64 s[0:1], 0
.LBB119_65:
	s_and_b64 vcc, exec, s[0:1]
	s_cbranch_vccz .LBB119_68
; %bb.66:
	v_and_b32_e32 v14, 3, v0
	s_waitcnt vmcnt(1)
	v_lshlrev_b32_e32 v15, 2, v12
	s_movk_i32 s0, 0x3fc
	v_mov_b32_e32 v1, 0
	v_and_or_b32 v15, v15, s0, v14
	ds_write2st64_b32 v17, v1, v1 offset1:16
	ds_write2st64_b32 v17, v1, v1 offset0:32 offset1:48
	ds_write2st64_b32 v17, v1, v1 offset0:64 offset1:80
	;; [unrolled: 1-line block ×3, first 2 shown]
	v_lshlrev_b32_e32 v15, 2, v15
	v_mov_b32_e32 v17, 1
	s_waitcnt lgkmcnt(0)
	s_barrier
	ds_add_u32 v15, v17
	v_bfe_u32 v15, v12, 8, 8
	v_lshl_or_b32 v15, v15, 2, v14
	v_lshlrev_b32_e32 v15, 2, v15
	ds_add_u32 v15, v17 offset:4096
	v_bfe_u32 v15, v12, 16, 8
	v_lshl_or_b32 v15, v15, 2, v14
	v_lshlrev_b32_e32 v15, 2, v15
	ds_add_u32 v15, v17 offset:8192
	v_lshrrev_b32_e32 v15, 24, v12
	v_lshl_or_b32 v15, v15, 2, v14
	v_alignbit_b32 v12, v13, v12, 30
	v_lshlrev_b32_e32 v15, 2, v15
	v_and_or_b32 v12, v12, s0, v14
	ds_add_u32 v15, v17 offset:12288
	v_lshlrev_b32_e32 v12, 2, v12
	ds_add_u32 v12, v17 offset:16384
	v_bfe_u32 v12, v13, 8, 8
	v_lshl_or_b32 v12, v12, 2, v14
	v_lshlrev_b32_e32 v12, 2, v12
	ds_add_u32 v12, v17 offset:20480
	v_bfe_u32 v12, v13, 16, 8
	v_lshl_or_b32 v12, v12, 2, v14
	v_lshlrev_b32_e32 v12, 2, v12
	ds_add_u32 v12, v17 offset:24576
	v_lshrrev_b32_e32 v12, 24, v13
	v_or_b32_e32 v13, 0x1c00, v14
	v_lshl_or_b32 v12, v12, 2, v13
	v_xor_b32_e32 v12, 0x200, v12
	v_lshlrev_b32_e32 v12, 2, v12
	ds_add_u32 v12, v17
	v_lshlrev_b32_e32 v12, 2, v10
	v_and_or_b32 v12, v12, s0, v14
	v_lshlrev_b32_e32 v12, 2, v12
	ds_add_u32 v12, v17
	v_bfe_u32 v12, v10, 8, 8
	v_lshl_or_b32 v12, v12, 2, v14
	v_lshlrev_b32_e32 v12, 2, v12
	ds_add_u32 v12, v17 offset:4096
	v_bfe_u32 v12, v10, 16, 8
	v_lshl_or_b32 v12, v12, 2, v14
	v_lshlrev_b32_e32 v12, 2, v12
	ds_add_u32 v12, v17 offset:8192
	v_lshrrev_b32_e32 v12, 24, v10
	v_lshl_or_b32 v12, v12, 2, v14
	v_alignbit_b32 v10, v11, v10, 30
	v_lshlrev_b32_e32 v12, 2, v12
	v_and_or_b32 v10, v10, s0, v14
	ds_add_u32 v12, v17 offset:12288
	v_lshlrev_b32_e32 v10, 2, v10
	ds_add_u32 v10, v17 offset:16384
	v_bfe_u32 v10, v11, 8, 8
	v_lshl_or_b32 v10, v10, 2, v14
	v_lshlrev_b32_e32 v10, 2, v10
	ds_add_u32 v10, v17 offset:20480
	v_bfe_u32 v10, v11, 16, 8
	v_lshl_or_b32 v10, v10, 2, v14
	v_lshlrev_b32_e32 v10, 2, v10
	ds_add_u32 v10, v17 offset:24576
	v_lshrrev_b32_e32 v10, 24, v11
	v_lshl_or_b32 v10, v10, 2, v13
	v_xor_b32_e32 v10, 0x200, v10
	v_lshlrev_b32_e32 v10, 2, v10
	ds_add_u32 v10, v17
	v_lshlrev_b32_e32 v10, 2, v8
	v_and_or_b32 v10, v10, s0, v14
	v_lshlrev_b32_e32 v10, 2, v10
	ds_add_u32 v10, v17
	v_bfe_u32 v10, v8, 8, 8
	v_lshl_or_b32 v10, v10, 2, v14
	v_lshlrev_b32_e32 v10, 2, v10
	ds_add_u32 v10, v17 offset:4096
	v_bfe_u32 v10, v8, 16, 8
	v_lshl_or_b32 v10, v10, 2, v14
	v_lshlrev_b32_e32 v10, 2, v10
	ds_add_u32 v10, v17 offset:8192
	v_lshrrev_b32_e32 v10, 24, v8
	v_lshl_or_b32 v10, v10, 2, v14
	v_alignbit_b32 v8, v9, v8, 30
	v_lshlrev_b32_e32 v10, 2, v10
	v_and_or_b32 v8, v8, s0, v14
	ds_add_u32 v10, v17 offset:12288
	v_lshlrev_b32_e32 v8, 2, v8
	ds_add_u32 v8, v17 offset:16384
	v_bfe_u32 v8, v9, 8, 8
	v_lshl_or_b32 v8, v8, 2, v14
	v_lshlrev_b32_e32 v8, 2, v8
	ds_add_u32 v8, v17 offset:20480
	v_bfe_u32 v8, v9, 16, 8
	v_lshl_or_b32 v8, v8, 2, v14
	v_lshlrev_b32_e32 v8, 2, v8
	ds_add_u32 v8, v17 offset:24576
	v_lshrrev_b32_e32 v8, 24, v9
	;; [unrolled: 33-line block ×4, first 2 shown]
	v_lshl_or_b32 v4, v4, 2, v13
	v_xor_b32_e32 v4, 0x200, v4
	v_lshlrev_b32_e32 v4, 2, v4
	ds_add_u32 v4, v17
	s_waitcnt vmcnt(0)
	v_lshlrev_b32_e32 v4, 2, v2
	v_and_or_b32 v4, v4, s0, v14
	v_lshlrev_b32_e32 v4, 2, v4
	ds_add_u32 v4, v17
	v_bfe_u32 v4, v2, 8, 8
	v_lshl_or_b32 v4, v4, 2, v14
	v_lshlrev_b32_e32 v4, 2, v4
	ds_add_u32 v4, v17 offset:4096
	v_bfe_u32 v4, v2, 16, 8
	v_lshl_or_b32 v4, v4, 2, v14
	v_lshlrev_b32_e32 v4, 2, v4
	ds_add_u32 v4, v17 offset:8192
	v_lshrrev_b32_e32 v4, 24, v2
	v_lshl_or_b32 v4, v4, 2, v14
	v_alignbit_b32 v2, v3, v2, 30
	v_lshlrev_b32_e32 v4, 2, v4
	v_and_or_b32 v2, v2, s0, v14
	ds_add_u32 v4, v17 offset:12288
	v_lshlrev_b32_e32 v2, 2, v2
	ds_add_u32 v2, v17 offset:16384
	v_bfe_u32 v2, v3, 8, 8
	v_lshl_or_b32 v2, v2, 2, v14
	v_lshlrev_b32_e32 v2, 2, v2
	ds_add_u32 v2, v17 offset:20480
	v_bfe_u32 v2, v3, 16, 8
	v_lshl_or_b32 v2, v2, 2, v14
	v_lshlrev_b32_e32 v2, 2, v2
	ds_add_u32 v2, v17 offset:24576
	v_lshrrev_b32_e32 v2, 24, v3
	v_lshl_or_b32 v2, v2, 2, v13
	v_xor_b32_e32 v2, 0x200, v2
	v_lshlrev_b32_e32 v2, 2, v2
	ds_add_u32 v2, v17
	s_movk_i32 s0, 0x100
	v_cmp_gt_u32_e32 vcc, s0, v0
	s_waitcnt lgkmcnt(0)
	s_barrier
	s_and_saveexec_b64 s[0:1], vcc
	s_cbranch_execz .LBB119_68
; %bb.67:
	v_lshlrev_b32_e32 v6, 4, v0
	ds_read2_b32 v[2:3], v6 offset1:1
	ds_read2_b32 v[4:5], v6 offset0:2 offset1:3
	v_add_u32_e32 v7, 0x1000, v6
	v_add_u32_e32 v8, 0x1008, v6
	;; [unrolled: 1-line block ×3, first 2 shown]
	s_waitcnt lgkmcnt(1)
	v_add_u32_e32 v0, v3, v2
	s_waitcnt lgkmcnt(0)
	v_add3_u32 v0, v0, v4, v5
	global_atomic_add_x2 v16, v[0:1], s[14:15]
	ds_read2_b32 v[2:3], v7 offset1:1
	ds_read2_b32 v[4:5], v8 offset1:1
	v_add_u32_e32 v7, 0x2000, v6
	v_add_u32_e32 v8, 0x2008, v6
	s_waitcnt lgkmcnt(1)
	v_add_u32_e32 v0, v3, v2
	s_waitcnt lgkmcnt(0)
	v_add3_u32 v0, v0, v4, v5
	global_atomic_add_x2 v16, v[0:1], s[14:15] offset:2048
	ds_read2_b32 v[2:3], v7 offset1:1
	ds_read2_b32 v[4:5], v8 offset1:1
	v_or_b32_e32 v7, 0x1000, v16
	v_add_u32_e32 v8, 0x3000, v6
	s_waitcnt lgkmcnt(1)
	v_add_u32_e32 v0, v3, v2
	s_waitcnt lgkmcnt(0)
	v_add3_u32 v0, v0, v4, v5
	global_atomic_add_x2 v7, v[0:1], s[14:15]
	ds_read2_b32 v[2:3], v8 offset1:1
	ds_read2_b32 v[4:5], v9 offset1:1
	v_or_b32_e32 v7, 0x1800, v16
	v_or_b32_e32 v8, 0x4000, v6
	;; [unrolled: 1-line block ×3, first 2 shown]
	s_waitcnt lgkmcnt(1)
	v_add_u32_e32 v0, v3, v2
	s_waitcnt lgkmcnt(0)
	v_add3_u32 v0, v0, v4, v5
	global_atomic_add_x2 v7, v[0:1], s[14:15]
	ds_read2_b32 v[2:3], v8 offset1:1
	ds_read2_b32 v[4:5], v9 offset1:1
	v_or_b32_e32 v7, 0x2000, v16
	v_add_u32_e32 v8, 0x5000, v6
	v_add_u32_e32 v9, 0x5008, v6
	s_waitcnt lgkmcnt(1)
	v_add_u32_e32 v0, v3, v2
	s_waitcnt lgkmcnt(0)
	v_add3_u32 v0, v0, v4, v5
	global_atomic_add_x2 v7, v[0:1], s[14:15]
	ds_read2_b32 v[2:3], v8 offset1:1
	ds_read2_b32 v[4:5], v9 offset1:1
	v_or_b32_e32 v7, 0x2800, v16
	v_add_u32_e32 v8, 0x6000, v6
	v_add_u32_e32 v9, 0x6008, v6
	;; [unrolled: 10-line block ×3, first 2 shown]
	s_waitcnt lgkmcnt(1)
	v_add_u32_e32 v0, v3, v2
	s_waitcnt lgkmcnt(0)
	v_add3_u32 v0, v0, v4, v5
	global_atomic_add_x2 v7, v[0:1], s[14:15]
	ds_read2_b32 v[2:3], v8 offset1:1
	ds_read2_b32 v[4:5], v6 offset1:1
	s_waitcnt lgkmcnt(1)
	v_add_u32_e32 v0, v3, v2
	s_waitcnt lgkmcnt(0)
	v_add3_u32 v0, v0, v4, v5
	v_or_b32_e32 v2, 0x3800, v16
	global_atomic_add_x2 v2, v[0:1], s[14:15]
.LBB119_68:
	s_endpgm
	.section	.rodata,"a",@progbits
	.p2align	6, 0x0
	.amdhsa_kernel _ZN7rocprim17ROCPRIM_304000_NS6detail26onesweep_histograms_kernelINS1_34wrapped_radix_sort_onesweep_configINS0_14default_configElN2at4cuda3cub6detail10OpaqueTypeILi8EEEEELb0EPKlmNS0_19identity_decomposerEEEvT1_PT2_SG_SG_T3_jj
		.amdhsa_group_segment_fixed_size 32768
		.amdhsa_private_segment_fixed_size 0
		.amdhsa_kernarg_size 44
		.amdhsa_user_sgpr_count 6
		.amdhsa_user_sgpr_private_segment_buffer 1
		.amdhsa_user_sgpr_dispatch_ptr 0
		.amdhsa_user_sgpr_queue_ptr 0
		.amdhsa_user_sgpr_kernarg_segment_ptr 1
		.amdhsa_user_sgpr_dispatch_id 0
		.amdhsa_user_sgpr_flat_scratch_init 0
		.amdhsa_user_sgpr_kernarg_preload_length 0
		.amdhsa_user_sgpr_kernarg_preload_offset 0
		.amdhsa_user_sgpr_private_segment_size 0
		.amdhsa_uses_dynamic_stack 0
		.amdhsa_system_sgpr_private_segment_wavefront_offset 0
		.amdhsa_system_sgpr_workgroup_id_x 1
		.amdhsa_system_sgpr_workgroup_id_y 0
		.amdhsa_system_sgpr_workgroup_id_z 0
		.amdhsa_system_sgpr_workgroup_info 0
		.amdhsa_system_vgpr_workitem_id 0
		.amdhsa_next_free_vgpr 25
		.amdhsa_next_free_sgpr 26
		.amdhsa_accum_offset 28
		.amdhsa_reserve_vcc 1
		.amdhsa_reserve_flat_scratch 0
		.amdhsa_float_round_mode_32 0
		.amdhsa_float_round_mode_16_64 0
		.amdhsa_float_denorm_mode_32 3
		.amdhsa_float_denorm_mode_16_64 3
		.amdhsa_dx10_clamp 1
		.amdhsa_ieee_mode 1
		.amdhsa_fp16_overflow 0
		.amdhsa_tg_split 0
		.amdhsa_exception_fp_ieee_invalid_op 0
		.amdhsa_exception_fp_denorm_src 0
		.amdhsa_exception_fp_ieee_div_zero 0
		.amdhsa_exception_fp_ieee_overflow 0
		.amdhsa_exception_fp_ieee_underflow 0
		.amdhsa_exception_fp_ieee_inexact 0
		.amdhsa_exception_int_div_zero 0
	.end_amdhsa_kernel
	.section	.text._ZN7rocprim17ROCPRIM_304000_NS6detail26onesweep_histograms_kernelINS1_34wrapped_radix_sort_onesweep_configINS0_14default_configElN2at4cuda3cub6detail10OpaqueTypeILi8EEEEELb0EPKlmNS0_19identity_decomposerEEEvT1_PT2_SG_SG_T3_jj,"axG",@progbits,_ZN7rocprim17ROCPRIM_304000_NS6detail26onesweep_histograms_kernelINS1_34wrapped_radix_sort_onesweep_configINS0_14default_configElN2at4cuda3cub6detail10OpaqueTypeILi8EEEEELb0EPKlmNS0_19identity_decomposerEEEvT1_PT2_SG_SG_T3_jj,comdat
.Lfunc_end119:
	.size	_ZN7rocprim17ROCPRIM_304000_NS6detail26onesweep_histograms_kernelINS1_34wrapped_radix_sort_onesweep_configINS0_14default_configElN2at4cuda3cub6detail10OpaqueTypeILi8EEEEELb0EPKlmNS0_19identity_decomposerEEEvT1_PT2_SG_SG_T3_jj, .Lfunc_end119-_ZN7rocprim17ROCPRIM_304000_NS6detail26onesweep_histograms_kernelINS1_34wrapped_radix_sort_onesweep_configINS0_14default_configElN2at4cuda3cub6detail10OpaqueTypeILi8EEEEELb0EPKlmNS0_19identity_decomposerEEEvT1_PT2_SG_SG_T3_jj
                                        ; -- End function
	.section	.AMDGPU.csdata,"",@progbits
; Kernel info:
; codeLenInByte = 4120
; NumSgprs: 30
; NumVgprs: 25
; NumAgprs: 0
; TotalNumVgprs: 25
; ScratchSize: 0
; MemoryBound: 1
; FloatMode: 240
; IeeeMode: 1
; LDSByteSize: 32768 bytes/workgroup (compile time only)
; SGPRBlocks: 3
; VGPRBlocks: 3
; NumSGPRsForWavesPerEU: 30
; NumVGPRsForWavesPerEU: 25
; AccumOffset: 28
; Occupancy: 8
; WaveLimiterHint : 1
; COMPUTE_PGM_RSRC2:SCRATCH_EN: 0
; COMPUTE_PGM_RSRC2:USER_SGPR: 6
; COMPUTE_PGM_RSRC2:TRAP_HANDLER: 0
; COMPUTE_PGM_RSRC2:TGID_X_EN: 1
; COMPUTE_PGM_RSRC2:TGID_Y_EN: 0
; COMPUTE_PGM_RSRC2:TGID_Z_EN: 0
; COMPUTE_PGM_RSRC2:TIDIG_COMP_CNT: 0
; COMPUTE_PGM_RSRC3_GFX90A:ACCUM_OFFSET: 6
; COMPUTE_PGM_RSRC3_GFX90A:TG_SPLIT: 0
	.section	.text._ZN7rocprim17ROCPRIM_304000_NS6detail25onesweep_iteration_kernelINS1_34wrapped_radix_sort_onesweep_configINS0_14default_configElN2at4cuda3cub6detail10OpaqueTypeILi8EEEEELb0EPKlPlPKSA_PSA_mNS0_19identity_decomposerEEEvT1_T2_T3_T4_jPT5_SO_PNS1_23onesweep_lookback_stateET6_jjj,"axG",@progbits,_ZN7rocprim17ROCPRIM_304000_NS6detail25onesweep_iteration_kernelINS1_34wrapped_radix_sort_onesweep_configINS0_14default_configElN2at4cuda3cub6detail10OpaqueTypeILi8EEEEELb0EPKlPlPKSA_PSA_mNS0_19identity_decomposerEEEvT1_T2_T3_T4_jPT5_SO_PNS1_23onesweep_lookback_stateET6_jjj,comdat
	.protected	_ZN7rocprim17ROCPRIM_304000_NS6detail25onesweep_iteration_kernelINS1_34wrapped_radix_sort_onesweep_configINS0_14default_configElN2at4cuda3cub6detail10OpaqueTypeILi8EEEEELb0EPKlPlPKSA_PSA_mNS0_19identity_decomposerEEEvT1_T2_T3_T4_jPT5_SO_PNS1_23onesweep_lookback_stateET6_jjj ; -- Begin function _ZN7rocprim17ROCPRIM_304000_NS6detail25onesweep_iteration_kernelINS1_34wrapped_radix_sort_onesweep_configINS0_14default_configElN2at4cuda3cub6detail10OpaqueTypeILi8EEEEELb0EPKlPlPKSA_PSA_mNS0_19identity_decomposerEEEvT1_T2_T3_T4_jPT5_SO_PNS1_23onesweep_lookback_stateET6_jjj
	.globl	_ZN7rocprim17ROCPRIM_304000_NS6detail25onesweep_iteration_kernelINS1_34wrapped_radix_sort_onesweep_configINS0_14default_configElN2at4cuda3cub6detail10OpaqueTypeILi8EEEEELb0EPKlPlPKSA_PSA_mNS0_19identity_decomposerEEEvT1_T2_T3_T4_jPT5_SO_PNS1_23onesweep_lookback_stateET6_jjj
	.p2align	8
	.type	_ZN7rocprim17ROCPRIM_304000_NS6detail25onesweep_iteration_kernelINS1_34wrapped_radix_sort_onesweep_configINS0_14default_configElN2at4cuda3cub6detail10OpaqueTypeILi8EEEEELb0EPKlPlPKSA_PSA_mNS0_19identity_decomposerEEEvT1_T2_T3_T4_jPT5_SO_PNS1_23onesweep_lookback_stateET6_jjj,@function
_ZN7rocprim17ROCPRIM_304000_NS6detail25onesweep_iteration_kernelINS1_34wrapped_radix_sort_onesweep_configINS0_14default_configElN2at4cuda3cub6detail10OpaqueTypeILi8EEEEELb0EPKlPlPKSA_PSA_mNS0_19identity_decomposerEEEvT1_T2_T3_T4_jPT5_SO_PNS1_23onesweep_lookback_stateET6_jjj: ; @_ZN7rocprim17ROCPRIM_304000_NS6detail25onesweep_iteration_kernelINS1_34wrapped_radix_sort_onesweep_configINS0_14default_configElN2at4cuda3cub6detail10OpaqueTypeILi8EEEEELb0EPKlPlPKSA_PSA_mNS0_19identity_decomposerEEEvT1_T2_T3_T4_jPT5_SO_PNS1_23onesweep_lookback_stateET6_jjj
; %bb.0:
	s_load_dwordx4 s[48:51], s[4:5], 0x44
	s_load_dwordx8 s[36:43], s[4:5], 0x0
	s_load_dwordx4 s[44:47], s[4:5], 0x28
	s_load_dwordx2 s[30:31], s[4:5], 0x38
	s_mul_i32 s34, s6, 0x1800
	s_waitcnt lgkmcnt(0)
	s_cmp_ge_u32 s6, s50
	v_mbcnt_lo_u32_b32 v1, -1, 0
	s_cbranch_scc0 .LBB120_86
; %bb.1:
	s_load_dword s0, s[4:5], 0x20
	s_mul_i32 s1, s50, 0xffffe800
	s_mov_b32 s35, 0
	v_and_b32_e32 v2, 0x3ff, v0
	s_lshl_b64 s[50:51], s[34:35], 3
	s_waitcnt lgkmcnt(0)
	s_add_i32 s35, s1, s0
	s_add_u32 s0, s36, s50
	v_mbcnt_hi_u32_b32 v21, -1, v1
	v_and_b32_e32 v3, 0x3c0, v2
	s_addc_u32 s1, s37, s51
	v_mul_u32_u24_e32 v4, 6, v3
	v_lshlrev_b32_e32 v3, 3, v21
	v_mov_b32_e32 v5, s1
	v_add_co_u32_e32 v6, vcc, s0, v3
	v_addc_co_u32_e32 v5, vcc, 0, v5, vcc
	v_lshlrev_b32_e32 v20, 3, v4
	s_mov_b32 s2, -1
	v_add_co_u32_e32 v16, vcc, v6, v20
	s_brev_b32 s3, -2
	v_addc_co_u32_e32 v17, vcc, 0, v5, vcc
	v_or_b32_e32 v14, v21, v4
	v_cmp_gt_u32_e32 vcc, s35, v14
	v_pk_mov_b32 v[4:5], s[2:3], s[2:3] op_sel:[0,1]
	s_and_saveexec_b64 s[0:1], vcc
	s_cbranch_execz .LBB120_3
; %bb.2:
	global_load_dwordx2 v[4:5], v[16:17], off
.LBB120_3:
	s_or_b64 exec, exec, s[0:1]
	v_add_u32_e32 v6, 64, v14
	v_cmp_gt_u32_e64 s[0:1], s35, v6
	v_pk_mov_b32 v[6:7], s[2:3], s[2:3] op_sel:[0,1]
	s_and_saveexec_b64 s[2:3], s[0:1]
	s_cbranch_execz .LBB120_5
; %bb.4:
	global_load_dwordx2 v[6:7], v[16:17], off offset:512
.LBB120_5:
	s_or_b64 exec, exec, s[2:3]
	s_mov_b32 s8, -1
	v_add_u32_e32 v8, 0x80, v14
	s_brev_b32 s9, -2
	v_cmp_gt_u32_e64 s[2:3], s35, v8
	v_pk_mov_b32 v[8:9], s[8:9], s[8:9] op_sel:[0,1]
	s_and_saveexec_b64 s[10:11], s[2:3]
	s_cbranch_execz .LBB120_7
; %bb.6:
	global_load_dwordx2 v[8:9], v[16:17], off offset:1024
.LBB120_7:
	s_or_b64 exec, exec, s[10:11]
	v_add_u32_e32 v10, 0xc0, v14
	v_cmp_gt_u32_e64 s[26:27], s35, v10
	v_pk_mov_b32 v[10:11], s[8:9], s[8:9] op_sel:[0,1]
	s_and_saveexec_b64 s[8:9], s[26:27]
	s_cbranch_execz .LBB120_9
; %bb.8:
	global_load_dwordx2 v[10:11], v[16:17], off offset:1536
.LBB120_9:
	s_or_b64 exec, exec, s[8:9]
	s_mov_b32 s12, -1
	v_add_u32_e32 v12, 0x100, v14
	s_brev_b32 s13, -2
	v_cmp_gt_u32_e64 s[8:9], s35, v12
	v_pk_mov_b32 v[12:13], s[12:13], s[12:13] op_sel:[0,1]
	s_and_saveexec_b64 s[10:11], s[8:9]
	s_cbranch_execz .LBB120_11
; %bb.10:
	global_load_dwordx2 v[12:13], v[16:17], off offset:2048
.LBB120_11:
	s_or_b64 exec, exec, s[10:11]
	v_add_u32_e32 v14, 0x140, v14
	v_cmp_gt_u32_e64 s[10:11], s35, v14
	v_pk_mov_b32 v[14:15], s[12:13], s[12:13] op_sel:[0,1]
	s_and_saveexec_b64 s[12:13], s[10:11]
	s_cbranch_execz .LBB120_13
; %bb.12:
	global_load_dwordx2 v[14:15], v[16:17], off offset:2560
.LBB120_13:
	s_or_b64 exec, exec, s[12:13]
	s_load_dword s12, s[4:5], 0x5c
	s_load_dword s7, s[4:5], 0x50
	s_add_u32 s13, s4, 0x50
	s_addc_u32 s14, s5, 0
	v_mov_b32_e32 v16, 0
	s_waitcnt lgkmcnt(0)
	s_lshr_b32 s15, s12, 16
	s_cmp_lt_u32 s6, s7
	s_cselect_b32 s12, 12, 18
	s_add_u32 s12, s13, s12
	s_addc_u32 s13, s14, 0
	global_load_ushort v23, v16, s[12:13]
	s_waitcnt vmcnt(1)
	v_xor_b32_e32 v5, 0x80000000, v5
	v_mul_u32_u24_e32 v18, 5, v2
	s_lshl_b32 s12, -1, s49
	v_lshlrev_b32_e32 v22, 2, v18
	v_lshrrev_b64 v[18:19], s48, v[4:5]
	s_not_b32 s33, s12
	v_and_b32_e32 v18, s33, v18
	v_and_b32_e32 v25, 1, v18
	v_bfe_u32 v17, v0, 10, 10
	v_bfe_u32 v24, v0, 20, 10
	v_add_co_u32_e64 v26, s[12:13], -1, v25
	v_mad_u32_u24 v19, v24, s15, v17
	v_lshlrev_b32_e32 v17, 30, v18
	v_addc_co_u32_e64 v27, s[12:13], 0, -1, s[12:13]
	v_cmp_ne_u32_e64 s[12:13], 0, v25
	v_cmp_gt_i64_e64 s[14:15], 0, v[16:17]
	v_not_b32_e32 v25, v17
	v_lshlrev_b32_e32 v17, 29, v18
	v_xor_b32_e32 v27, s13, v27
	v_xor_b32_e32 v26, s12, v26
	v_ashrrev_i32_e32 v25, 31, v25
	v_cmp_gt_i64_e64 s[12:13], 0, v[16:17]
	v_not_b32_e32 v28, v17
	v_lshlrev_b32_e32 v17, 28, v18
	v_and_b32_e32 v27, exec_hi, v27
	v_and_b32_e32 v26, exec_lo, v26
	v_xor_b32_e32 v29, s15, v25
	v_xor_b32_e32 v25, s14, v25
	v_ashrrev_i32_e32 v28, 31, v28
	v_cmp_gt_i64_e64 s[14:15], 0, v[16:17]
	v_not_b32_e32 v30, v17
	v_lshlrev_b32_e32 v17, 27, v18
	v_and_b32_e32 v27, v27, v29
	v_and_b32_e32 v25, v26, v25
	v_xor_b32_e32 v26, s13, v28
	v_xor_b32_e32 v28, s12, v28
	v_ashrrev_i32_e32 v29, 31, v30
	v_cmp_gt_i64_e64 s[12:13], 0, v[16:17]
	v_not_b32_e32 v30, v17
	v_lshlrev_b32_e32 v17, 26, v18
	v_and_b32_e32 v26, v27, v26
	v_and_b32_e32 v25, v25, v28
	;; [unrolled: 8-line block ×3, first 2 shown]
	v_xor_b32_e32 v27, s13, v29
	v_xor_b32_e32 v28, s12, v29
	v_ashrrev_i32_e32 v29, 31, v30
	v_not_b32_e32 v30, v17
	v_lshl_add_u32 v24, v18, 4, v18
	v_cmp_gt_i64_e64 s[12:13], 0, v[16:17]
	v_lshlrev_b32_e32 v17, 24, v18
	v_and_b32_e32 v18, v26, v27
	v_and_b32_e32 v25, v25, v28
	v_xor_b32_e32 v26, s15, v29
	v_ashrrev_i32_e32 v28, 31, v30
	v_xor_b32_e32 v27, s14, v29
	v_cmp_gt_i64_e64 s[14:15], 0, v[16:17]
	v_not_b32_e32 v17, v17
	v_and_b32_e32 v18, v18, v26
	v_xor_b32_e32 v26, s13, v28
	v_and_b32_e32 v25, v25, v27
	v_xor_b32_e32 v27, s12, v28
	v_and_b32_e32 v26, v18, v26
	v_ashrrev_i32_e32 v17, 31, v17
	v_and_b32_e32 v27, v25, v27
	ds_write2_b32 v22, v16, v16 offset0:16 offset1:17
	ds_write2_b32 v22, v16, v16 offset0:18 offset1:19
	ds_write_b32 v22, v16 offset:80
	s_waitcnt lgkmcnt(0)
	s_barrier
	s_waitcnt lgkmcnt(0)
	; wave barrier
	s_waitcnt vmcnt(0)
	v_mad_u64_u32 v[18:19], s[12:13], v19, v23, v[2:3]
	v_lshrrev_b32_e32 v32, 6, v18
	v_xor_b32_e32 v18, s15, v17
	v_xor_b32_e32 v17, s14, v17
	v_and_b32_e32 v19, v26, v18
	v_and_b32_e32 v18, v27, v17
	v_mbcnt_lo_u32_b32 v17, v18, 0
	v_mbcnt_hi_u32_b32 v23, v19, v17
	v_cmp_eq_u32_e64 s[12:13], 0, v23
	v_cmp_ne_u64_e64 s[14:15], 0, v[18:19]
	v_add_lshl_u32 v25, v32, v24, 2
	s_and_b64 s[14:15], s[14:15], s[12:13]
	s_and_saveexec_b64 s[12:13], s[14:15]
	s_cbranch_execz .LBB120_15
; %bb.14:
	v_bcnt_u32_b32 v17, v18, 0
	v_bcnt_u32_b32 v17, v19, v17
	ds_write_b32 v25, v17 offset:64
.LBB120_15:
	s_or_b64 exec, exec, s[12:13]
	v_xor_b32_e32 v7, 0x80000000, v7
	v_lshrrev_b64 v[18:19], s48, v[6:7]
	v_and_b32_e32 v18, s33, v18
	v_lshl_add_u32 v17, v18, 4, v18
	v_add_lshl_u32 v26, v32, v17, 2
	v_and_b32_e32 v17, 1, v18
	v_add_co_u32_e64 v19, s[12:13], -1, v17
	v_addc_co_u32_e64 v27, s[12:13], 0, -1, s[12:13]
	v_cmp_ne_u32_e64 s[12:13], 0, v17
	v_xor_b32_e32 v17, s13, v27
	v_and_b32_e32 v27, exec_hi, v17
	v_lshlrev_b32_e32 v17, 30, v18
	v_xor_b32_e32 v19, s12, v19
	v_cmp_gt_i64_e64 s[12:13], 0, v[16:17]
	v_not_b32_e32 v17, v17
	v_ashrrev_i32_e32 v17, 31, v17
	v_and_b32_e32 v19, exec_lo, v19
	v_xor_b32_e32 v28, s13, v17
	v_xor_b32_e32 v17, s12, v17
	v_and_b32_e32 v19, v19, v17
	v_lshlrev_b32_e32 v17, 29, v18
	v_cmp_gt_i64_e64 s[12:13], 0, v[16:17]
	v_not_b32_e32 v17, v17
	v_ashrrev_i32_e32 v17, 31, v17
	v_and_b32_e32 v27, v27, v28
	v_xor_b32_e32 v28, s13, v17
	v_xor_b32_e32 v17, s12, v17
	v_and_b32_e32 v19, v19, v17
	v_lshlrev_b32_e32 v17, 28, v18
	v_cmp_gt_i64_e64 s[12:13], 0, v[16:17]
	v_not_b32_e32 v17, v17
	v_ashrrev_i32_e32 v17, 31, v17
	v_and_b32_e32 v27, v27, v28
	;; [unrolled: 8-line block ×5, first 2 shown]
	v_xor_b32_e32 v28, s13, v17
	v_xor_b32_e32 v17, s12, v17
	v_and_b32_e32 v19, v19, v17
	v_lshlrev_b32_e32 v17, 24, v18
	v_cmp_gt_i64_e64 s[12:13], 0, v[16:17]
	v_not_b32_e32 v16, v17
	v_ashrrev_i32_e32 v16, 31, v16
	v_xor_b32_e32 v17, s13, v16
	v_xor_b32_e32 v16, s12, v16
	; wave barrier
	ds_read_b32 v24, v26 offset:64
	v_and_b32_e32 v27, v27, v28
	v_and_b32_e32 v16, v19, v16
	;; [unrolled: 1-line block ×3, first 2 shown]
	v_mbcnt_lo_u32_b32 v18, v16, 0
	v_mbcnt_hi_u32_b32 v27, v17, v18
	v_cmp_eq_u32_e64 s[12:13], 0, v27
	v_cmp_ne_u64_e64 s[14:15], 0, v[16:17]
	s_and_b64 s[14:15], s[14:15], s[12:13]
	; wave barrier
	s_and_saveexec_b64 s[12:13], s[14:15]
	s_cbranch_execz .LBB120_17
; %bb.16:
	v_bcnt_u32_b32 v16, v16, 0
	v_bcnt_u32_b32 v16, v17, v16
	s_waitcnt lgkmcnt(0)
	v_add_u32_e32 v16, v24, v16
	ds_write_b32 v26, v16 offset:64
.LBB120_17:
	s_or_b64 exec, exec, s[12:13]
	v_xor_b32_e32 v9, 0x80000000, v9
	v_lshrrev_b64 v[16:17], s48, v[8:9]
	v_and_b32_e32 v18, s33, v16
	v_and_b32_e32 v17, 1, v18
	v_add_co_u32_e64 v19, s[12:13], -1, v17
	v_addc_co_u32_e64 v30, s[12:13], 0, -1, s[12:13]
	v_cmp_ne_u32_e64 s[12:13], 0, v17
	v_lshl_add_u32 v16, v18, 4, v18
	v_xor_b32_e32 v17, s13, v30
	v_add_lshl_u32 v29, v32, v16, 2
	v_mov_b32_e32 v16, 0
	v_and_b32_e32 v30, exec_hi, v17
	v_lshlrev_b32_e32 v17, 30, v18
	v_xor_b32_e32 v19, s12, v19
	v_cmp_gt_i64_e64 s[12:13], 0, v[16:17]
	v_not_b32_e32 v17, v17
	v_ashrrev_i32_e32 v17, 31, v17
	v_and_b32_e32 v19, exec_lo, v19
	v_xor_b32_e32 v31, s13, v17
	v_xor_b32_e32 v17, s12, v17
	v_and_b32_e32 v19, v19, v17
	v_lshlrev_b32_e32 v17, 29, v18
	v_cmp_gt_i64_e64 s[12:13], 0, v[16:17]
	v_not_b32_e32 v17, v17
	v_ashrrev_i32_e32 v17, 31, v17
	v_and_b32_e32 v30, v30, v31
	v_xor_b32_e32 v31, s13, v17
	v_xor_b32_e32 v17, s12, v17
	v_and_b32_e32 v19, v19, v17
	v_lshlrev_b32_e32 v17, 28, v18
	v_cmp_gt_i64_e64 s[12:13], 0, v[16:17]
	v_not_b32_e32 v17, v17
	v_ashrrev_i32_e32 v17, 31, v17
	v_and_b32_e32 v30, v30, v31
	;; [unrolled: 8-line block ×5, first 2 shown]
	v_xor_b32_e32 v31, s13, v17
	v_xor_b32_e32 v17, s12, v17
	v_and_b32_e32 v30, v30, v31
	v_and_b32_e32 v31, v19, v17
	v_lshlrev_b32_e32 v17, 24, v18
	v_cmp_gt_i64_e64 s[12:13], 0, v[16:17]
	v_not_b32_e32 v17, v17
	v_ashrrev_i32_e32 v17, 31, v17
	v_xor_b32_e32 v18, s13, v17
	v_xor_b32_e32 v17, s12, v17
	; wave barrier
	ds_read_b32 v28, v29 offset:64
	v_and_b32_e32 v19, v30, v18
	v_and_b32_e32 v18, v31, v17
	v_mbcnt_lo_u32_b32 v17, v18, 0
	v_mbcnt_hi_u32_b32 v30, v19, v17
	v_cmp_eq_u32_e64 s[12:13], 0, v30
	v_cmp_ne_u64_e64 s[14:15], 0, v[18:19]
	s_and_b64 s[14:15], s[14:15], s[12:13]
	; wave barrier
	s_and_saveexec_b64 s[12:13], s[14:15]
	s_cbranch_execz .LBB120_19
; %bb.18:
	v_bcnt_u32_b32 v17, v18, 0
	v_bcnt_u32_b32 v17, v19, v17
	s_waitcnt lgkmcnt(0)
	v_add_u32_e32 v17, v28, v17
	ds_write_b32 v29, v17 offset:64
.LBB120_19:
	s_or_b64 exec, exec, s[12:13]
	v_xor_b32_e32 v11, 0x80000000, v11
	v_lshrrev_b64 v[18:19], s48, v[10:11]
	v_and_b32_e32 v18, s33, v18
	v_lshl_add_u32 v17, v18, 4, v18
	v_add_lshl_u32 v33, v32, v17, 2
	v_and_b32_e32 v17, 1, v18
	v_add_co_u32_e64 v19, s[12:13], -1, v17
	v_addc_co_u32_e64 v34, s[12:13], 0, -1, s[12:13]
	v_cmp_ne_u32_e64 s[12:13], 0, v17
	v_xor_b32_e32 v17, s13, v34
	v_and_b32_e32 v34, exec_hi, v17
	v_lshlrev_b32_e32 v17, 30, v18
	v_xor_b32_e32 v19, s12, v19
	v_cmp_gt_i64_e64 s[12:13], 0, v[16:17]
	v_not_b32_e32 v17, v17
	v_ashrrev_i32_e32 v17, 31, v17
	v_and_b32_e32 v19, exec_lo, v19
	v_xor_b32_e32 v35, s13, v17
	v_xor_b32_e32 v17, s12, v17
	v_and_b32_e32 v19, v19, v17
	v_lshlrev_b32_e32 v17, 29, v18
	v_cmp_gt_i64_e64 s[12:13], 0, v[16:17]
	v_not_b32_e32 v17, v17
	v_ashrrev_i32_e32 v17, 31, v17
	v_and_b32_e32 v34, v34, v35
	v_xor_b32_e32 v35, s13, v17
	v_xor_b32_e32 v17, s12, v17
	v_and_b32_e32 v19, v19, v17
	v_lshlrev_b32_e32 v17, 28, v18
	v_cmp_gt_i64_e64 s[12:13], 0, v[16:17]
	v_not_b32_e32 v17, v17
	v_ashrrev_i32_e32 v17, 31, v17
	v_and_b32_e32 v34, v34, v35
	;; [unrolled: 8-line block ×5, first 2 shown]
	v_xor_b32_e32 v35, s13, v17
	v_xor_b32_e32 v17, s12, v17
	v_and_b32_e32 v19, v19, v17
	v_lshlrev_b32_e32 v17, 24, v18
	v_cmp_gt_i64_e64 s[12:13], 0, v[16:17]
	v_not_b32_e32 v16, v17
	v_ashrrev_i32_e32 v16, 31, v16
	v_xor_b32_e32 v17, s13, v16
	v_xor_b32_e32 v16, s12, v16
	; wave barrier
	ds_read_b32 v31, v33 offset:64
	v_and_b32_e32 v34, v34, v35
	v_and_b32_e32 v16, v19, v16
	;; [unrolled: 1-line block ×3, first 2 shown]
	v_mbcnt_lo_u32_b32 v18, v16, 0
	v_mbcnt_hi_u32_b32 v34, v17, v18
	v_cmp_eq_u32_e64 s[12:13], 0, v34
	v_cmp_ne_u64_e64 s[14:15], 0, v[16:17]
	s_and_b64 s[14:15], s[14:15], s[12:13]
	; wave barrier
	s_and_saveexec_b64 s[12:13], s[14:15]
	s_cbranch_execz .LBB120_21
; %bb.20:
	v_bcnt_u32_b32 v16, v16, 0
	v_bcnt_u32_b32 v16, v17, v16
	s_waitcnt lgkmcnt(0)
	v_add_u32_e32 v16, v31, v16
	ds_write_b32 v33, v16 offset:64
.LBB120_21:
	s_or_b64 exec, exec, s[12:13]
	v_xor_b32_e32 v13, 0x80000000, v13
	v_lshrrev_b64 v[16:17], s48, v[12:13]
	v_and_b32_e32 v18, s33, v16
	v_and_b32_e32 v17, 1, v18
	v_add_co_u32_e64 v19, s[12:13], -1, v17
	v_addc_co_u32_e64 v37, s[12:13], 0, -1, s[12:13]
	v_cmp_ne_u32_e64 s[12:13], 0, v17
	v_lshl_add_u32 v16, v18, 4, v18
	v_xor_b32_e32 v17, s13, v37
	v_add_lshl_u32 v36, v32, v16, 2
	v_mov_b32_e32 v16, 0
	v_and_b32_e32 v37, exec_hi, v17
	v_lshlrev_b32_e32 v17, 30, v18
	v_xor_b32_e32 v19, s12, v19
	v_cmp_gt_i64_e64 s[12:13], 0, v[16:17]
	v_not_b32_e32 v17, v17
	v_ashrrev_i32_e32 v17, 31, v17
	v_and_b32_e32 v19, exec_lo, v19
	v_xor_b32_e32 v38, s13, v17
	v_xor_b32_e32 v17, s12, v17
	v_and_b32_e32 v19, v19, v17
	v_lshlrev_b32_e32 v17, 29, v18
	v_cmp_gt_i64_e64 s[12:13], 0, v[16:17]
	v_not_b32_e32 v17, v17
	v_ashrrev_i32_e32 v17, 31, v17
	v_and_b32_e32 v37, v37, v38
	v_xor_b32_e32 v38, s13, v17
	v_xor_b32_e32 v17, s12, v17
	v_and_b32_e32 v19, v19, v17
	v_lshlrev_b32_e32 v17, 28, v18
	v_cmp_gt_i64_e64 s[12:13], 0, v[16:17]
	v_not_b32_e32 v17, v17
	v_ashrrev_i32_e32 v17, 31, v17
	v_and_b32_e32 v37, v37, v38
	v_xor_b32_e32 v38, s13, v17
	v_xor_b32_e32 v17, s12, v17
	v_and_b32_e32 v19, v19, v17
	v_lshlrev_b32_e32 v17, 27, v18
	v_cmp_gt_i64_e64 s[12:13], 0, v[16:17]
	v_not_b32_e32 v17, v17
	v_ashrrev_i32_e32 v17, 31, v17
	v_and_b32_e32 v37, v37, v38
	v_xor_b32_e32 v38, s13, v17
	v_xor_b32_e32 v17, s12, v17
	v_and_b32_e32 v19, v19, v17
	v_lshlrev_b32_e32 v17, 26, v18
	v_cmp_gt_i64_e64 s[12:13], 0, v[16:17]
	v_not_b32_e32 v17, v17
	v_ashrrev_i32_e32 v17, 31, v17
	v_and_b32_e32 v37, v37, v38
	v_xor_b32_e32 v38, s13, v17
	v_xor_b32_e32 v17, s12, v17
	v_and_b32_e32 v19, v19, v17
	v_lshlrev_b32_e32 v17, 25, v18
	v_cmp_gt_i64_e64 s[12:13], 0, v[16:17]
	v_not_b32_e32 v17, v17
	v_ashrrev_i32_e32 v17, 31, v17
	v_and_b32_e32 v37, v37, v38
	v_xor_b32_e32 v38, s13, v17
	v_xor_b32_e32 v17, s12, v17
	v_and_b32_e32 v37, v37, v38
	v_and_b32_e32 v38, v19, v17
	v_lshlrev_b32_e32 v17, 24, v18
	v_cmp_gt_i64_e64 s[12:13], 0, v[16:17]
	v_not_b32_e32 v17, v17
	v_ashrrev_i32_e32 v17, 31, v17
	v_xor_b32_e32 v18, s13, v17
	v_xor_b32_e32 v17, s12, v17
	; wave barrier
	ds_read_b32 v35, v36 offset:64
	v_and_b32_e32 v19, v37, v18
	v_and_b32_e32 v18, v38, v17
	v_mbcnt_lo_u32_b32 v17, v18, 0
	v_mbcnt_hi_u32_b32 v37, v19, v17
	v_cmp_eq_u32_e64 s[12:13], 0, v37
	v_cmp_ne_u64_e64 s[14:15], 0, v[18:19]
	s_and_b64 s[14:15], s[14:15], s[12:13]
	; wave barrier
	s_and_saveexec_b64 s[12:13], s[14:15]
	s_cbranch_execz .LBB120_23
; %bb.22:
	v_bcnt_u32_b32 v17, v18, 0
	v_bcnt_u32_b32 v17, v19, v17
	s_waitcnt lgkmcnt(0)
	v_add_u32_e32 v17, v35, v17
	ds_write_b32 v36, v17 offset:64
.LBB120_23:
	s_or_b64 exec, exec, s[12:13]
	v_xor_b32_e32 v15, 0x80000000, v15
	v_lshrrev_b64 v[18:19], s48, v[14:15]
	v_and_b32_e32 v18, s33, v18
	v_lshl_add_u32 v17, v18, 4, v18
	v_add_lshl_u32 v39, v32, v17, 2
	v_and_b32_e32 v17, 1, v18
	v_add_co_u32_e64 v19, s[12:13], -1, v17
	v_addc_co_u32_e64 v40, s[12:13], 0, -1, s[12:13]
	v_cmp_ne_u32_e64 s[12:13], 0, v17
	v_xor_b32_e32 v17, s13, v40
	v_and_b32_e32 v40, exec_hi, v17
	v_lshlrev_b32_e32 v17, 30, v18
	v_xor_b32_e32 v19, s12, v19
	v_cmp_gt_i64_e64 s[12:13], 0, v[16:17]
	v_not_b32_e32 v17, v17
	v_ashrrev_i32_e32 v17, 31, v17
	v_and_b32_e32 v19, exec_lo, v19
	v_xor_b32_e32 v41, s13, v17
	v_xor_b32_e32 v17, s12, v17
	v_and_b32_e32 v19, v19, v17
	v_lshlrev_b32_e32 v17, 29, v18
	v_cmp_gt_i64_e64 s[12:13], 0, v[16:17]
	v_not_b32_e32 v17, v17
	v_ashrrev_i32_e32 v17, 31, v17
	v_and_b32_e32 v40, v40, v41
	v_xor_b32_e32 v41, s13, v17
	v_xor_b32_e32 v17, s12, v17
	v_and_b32_e32 v19, v19, v17
	v_lshlrev_b32_e32 v17, 28, v18
	v_cmp_gt_i64_e64 s[12:13], 0, v[16:17]
	v_not_b32_e32 v17, v17
	v_ashrrev_i32_e32 v17, 31, v17
	v_and_b32_e32 v40, v40, v41
	;; [unrolled: 8-line block ×5, first 2 shown]
	v_xor_b32_e32 v41, s13, v17
	v_xor_b32_e32 v17, s12, v17
	v_and_b32_e32 v19, v19, v17
	v_lshlrev_b32_e32 v17, 24, v18
	v_cmp_gt_i64_e64 s[12:13], 0, v[16:17]
	v_not_b32_e32 v16, v17
	v_ashrrev_i32_e32 v16, 31, v16
	v_xor_b32_e32 v17, s13, v16
	v_xor_b32_e32 v16, s12, v16
	; wave barrier
	ds_read_b32 v32, v39 offset:64
	v_and_b32_e32 v40, v40, v41
	v_and_b32_e32 v16, v19, v16
	;; [unrolled: 1-line block ×3, first 2 shown]
	v_mbcnt_lo_u32_b32 v18, v16, 0
	v_mbcnt_hi_u32_b32 v40, v17, v18
	v_cmp_eq_u32_e64 s[12:13], 0, v40
	v_cmp_ne_u64_e64 s[14:15], 0, v[16:17]
	v_add_u32_e32 v38, 64, v22
	s_and_b64 s[14:15], s[14:15], s[12:13]
	; wave barrier
	s_and_saveexec_b64 s[12:13], s[14:15]
	s_cbranch_execz .LBB120_25
; %bb.24:
	v_bcnt_u32_b32 v16, v16, 0
	v_bcnt_u32_b32 v16, v17, v16
	s_waitcnt lgkmcnt(0)
	v_add_u32_e32 v16, v32, v16
	ds_write_b32 v39, v16 offset:64
.LBB120_25:
	s_or_b64 exec, exec, s[12:13]
	; wave barrier
	s_waitcnt lgkmcnt(0)
	s_barrier
	ds_read2_b32 v[18:19], v22 offset0:16 offset1:17
	ds_read2_b32 v[16:17], v38 offset0:2 offset1:3
	ds_read_b32 v41, v38 offset:16
	v_cmp_lt_u32_e64 s[20:21], 31, v21
	s_waitcnt lgkmcnt(1)
	v_add3_u32 v42, v19, v18, v16
	s_waitcnt lgkmcnt(0)
	v_add3_u32 v41, v42, v17, v41
	v_and_b32_e32 v42, 15, v21
	v_cmp_eq_u32_e64 s[12:13], 0, v42
	v_mov_b32_dpp v43, v41 row_shr:1 row_mask:0xf bank_mask:0xf
	v_cndmask_b32_e64 v43, v43, 0, s[12:13]
	v_add_u32_e32 v41, v43, v41
	v_cmp_lt_u32_e64 s[14:15], 1, v42
	v_cmp_lt_u32_e64 s[16:17], 3, v42
	v_mov_b32_dpp v43, v41 row_shr:2 row_mask:0xf bank_mask:0xf
	v_cndmask_b32_e64 v43, 0, v43, s[14:15]
	v_add_u32_e32 v41, v41, v43
	v_cmp_lt_u32_e64 s[18:19], 7, v42
	s_nop 0
	v_mov_b32_dpp v43, v41 row_shr:4 row_mask:0xf bank_mask:0xf
	v_cndmask_b32_e64 v43, 0, v43, s[16:17]
	v_add_u32_e32 v41, v41, v43
	s_nop 1
	v_mov_b32_dpp v43, v41 row_shr:8 row_mask:0xf bank_mask:0xf
	v_cndmask_b32_e64 v42, 0, v43, s[18:19]
	v_add_u32_e32 v41, v41, v42
	v_bfe_i32 v43, v21, 4, 1
	s_nop 0
	v_mov_b32_dpp v42, v41 row_bcast:15 row_mask:0xf bank_mask:0xf
	v_and_b32_e32 v42, v43, v42
	v_add_u32_e32 v41, v41, v42
	v_and_b32_e32 v43, 63, v2
	s_nop 0
	v_mov_b32_dpp v42, v41 row_bcast:31 row_mask:0xf bank_mask:0xf
	v_cndmask_b32_e64 v42, 0, v42, s[20:21]
	v_add_u32_e32 v41, v41, v42
	v_lshrrev_b32_e32 v42, 6, v2
	v_cmp_eq_u32_e64 s[20:21], 63, v43
	s_and_saveexec_b64 s[22:23], s[20:21]
	s_cbranch_execz .LBB120_27
; %bb.26:
	v_lshlrev_b32_e32 v43, 2, v42
	ds_write_b32 v43, v41
.LBB120_27:
	s_or_b64 exec, exec, s[22:23]
	v_cmp_gt_u32_e64 s[20:21], 16, v2
	s_waitcnt lgkmcnt(0)
	s_barrier
	s_and_saveexec_b64 s[22:23], s[20:21]
	s_cbranch_execz .LBB120_29
; %bb.28:
	v_lshlrev_b32_e32 v43, 2, v2
	ds_read_b32 v44, v43
	s_waitcnt lgkmcnt(0)
	s_nop 0
	v_mov_b32_dpp v45, v44 row_shr:1 row_mask:0xf bank_mask:0xf
	v_cndmask_b32_e64 v45, v45, 0, s[12:13]
	v_add_u32_e32 v44, v45, v44
	s_nop 1
	v_mov_b32_dpp v45, v44 row_shr:2 row_mask:0xf bank_mask:0xf
	v_cndmask_b32_e64 v45, 0, v45, s[14:15]
	v_add_u32_e32 v44, v44, v45
	;; [unrolled: 4-line block ×4, first 2 shown]
	ds_write_b32 v43, v44
.LBB120_29:
	s_or_b64 exec, exec, s[22:23]
	v_cmp_lt_u32_e64 s[12:13], 63, v2
	v_mov_b32_e32 v43, 0
	s_waitcnt lgkmcnt(0)
	s_barrier
	s_and_saveexec_b64 s[14:15], s[12:13]
	s_cbranch_execz .LBB120_31
; %bb.30:
	v_lshl_add_u32 v42, v42, 2, -4
	ds_read_b32 v43, v42
.LBB120_31:
	s_or_b64 exec, exec, s[14:15]
	v_add_u32_e32 v42, -1, v21
	v_and_b32_e32 v44, 64, v21
	v_cmp_lt_i32_e64 s[12:13], v42, v44
	v_cndmask_b32_e64 v42, v42, v21, s[12:13]
	s_waitcnt lgkmcnt(0)
	v_add_u32_e32 v41, v43, v41
	v_lshlrev_b32_e32 v42, 2, v42
	ds_bpermute_b32 v41, v42, v41
	v_cmp_eq_u32_e64 s[12:13], 0, v21
	s_waitcnt lgkmcnt(0)
	v_cndmask_b32_e64 v21, v41, v43, s[12:13]
	v_cmp_ne_u32_e64 s[12:13], 0, v2
	v_cndmask_b32_e64 v21, 0, v21, s[12:13]
	v_add_u32_e32 v18, v21, v18
	v_add_u32_e32 v19, v18, v19
	;; [unrolled: 1-line block ×4, first 2 shown]
	ds_write2_b32 v22, v21, v18 offset0:16 offset1:17
	ds_write2_b32 v38, v19, v16 offset0:2 offset1:3
	ds_write_b32 v38, v17 offset:16
	s_waitcnt lgkmcnt(0)
	s_barrier
	ds_read_b32 v22, v25 offset:64
	ds_read_b32 v38, v26 offset:64
	;; [unrolled: 1-line block ×6, first 2 shown]
	s_movk_i32 s12, 0x100
	v_cmp_gt_u32_e64 s[12:13], s12, v2
	v_pk_mov_b32 v[16:17], 0, 0
                                        ; implicit-def: $vgpr21
	s_and_saveexec_b64 s[16:17], s[12:13]
	s_cbranch_execz .LBB120_35
; %bb.32:
	v_mul_u32_u24_e32 v16, 17, v2
	v_lshlrev_b32_e32 v21, 2, v16
	ds_read_b32 v16, v21 offset:64
	s_movk_i32 s14, 0xff
	v_cmp_ne_u32_e64 s[14:15], s14, v2
	v_mov_b32_e32 v17, 0x1800
	s_and_saveexec_b64 s[18:19], s[14:15]
	s_cbranch_execz .LBB120_34
; %bb.33:
	ds_read_b32 v17, v21 offset:132
.LBB120_34:
	s_or_b64 exec, exec, s[18:19]
	s_waitcnt lgkmcnt(0)
	v_sub_u32_e32 v21, v17, v16
	v_mov_b32_e32 v17, 0
.LBB120_35:
	s_or_b64 exec, exec, s[16:17]
	v_add_u32_e32 v29, v40, v32
	v_add_u32_e32 v32, v37, v35
	;; [unrolled: 1-line block ×5, first 2 shown]
	s_waitcnt lgkmcnt(5)
	v_add_lshl_u32 v22, v22, v23, 3
	s_waitcnt lgkmcnt(4)
	v_add_lshl_u32 v23, v24, v38, 3
	;; [unrolled: 2-line block ×6, first 2 shown]
	s_barrier
	ds_write_b64 v22, v[4:5] offset:2048
	ds_write_b64 v23, v[6:7] offset:2048
	;; [unrolled: 1-line block ×6, first 2 shown]
	s_waitcnt lgkmcnt(0)
	s_barrier
	s_and_saveexec_b64 s[16:17], s[12:13]
	s_cbranch_execz .LBB120_45
; %bb.36:
	v_lshl_or_b32 v4, s6, 8, v2
	v_mov_b32_e32 v5, 0
	v_lshlrev_b64 v[6:7], 2, v[4:5]
	v_mov_b32_e32 v10, s31
	v_add_co_u32_e64 v6, s[14:15], s30, v6
	v_addc_co_u32_e64 v7, s[14:15], v10, v7, s[14:15]
	v_or_b32_e32 v4, 2.0, v21
	s_mov_b64 s[18:19], 0
	s_brev_b32 s24, 1
	s_mov_b32 s25, s6
	v_mov_b32_e32 v11, 0
	global_store_dword v[6:7], v4, off
                                        ; implicit-def: $sgpr14_sgpr15
	s_branch .LBB120_38
.LBB120_37:                             ;   in Loop: Header=BB120_38 Depth=1
	s_or_b64 exec, exec, s[20:21]
	v_and_b32_e32 v8, 0x3fffffff, v12
	v_add_u32_e32 v11, v8, v11
	v_cmp_eq_u32_e64 s[14:15], s24, v4
	s_and_b64 s[20:21], exec, s[14:15]
	s_or_b64 s[18:19], s[20:21], s[18:19]
	s_andn2_b64 exec, exec, s[18:19]
	s_cbranch_execz .LBB120_44
.LBB120_38:                             ; =>This Loop Header: Depth=1
                                        ;     Child Loop BB120_41 Depth 2
	s_or_b64 s[14:15], s[14:15], exec
	s_cmp_eq_u32 s25, 0
	s_cbranch_scc1 .LBB120_43
; %bb.39:                               ;   in Loop: Header=BB120_38 Depth=1
	s_add_i32 s25, s25, -1
	v_lshl_or_b32 v4, s25, 8, v2
	v_lshlrev_b64 v[8:9], 2, v[4:5]
	v_add_co_u32_e64 v8, s[14:15], s30, v8
	v_addc_co_u32_e64 v9, s[14:15], v10, v9, s[14:15]
	global_load_dword v12, v[8:9], off glc
	s_waitcnt vmcnt(0)
	v_and_b32_e32 v4, -2.0, v12
	v_cmp_eq_u32_e64 s[14:15], 0, v4
	s_and_saveexec_b64 s[20:21], s[14:15]
	s_cbranch_execz .LBB120_37
; %bb.40:                               ;   in Loop: Header=BB120_38 Depth=1
	s_mov_b64 s[22:23], 0
.LBB120_41:                             ;   Parent Loop BB120_38 Depth=1
                                        ; =>  This Inner Loop Header: Depth=2
	global_load_dword v12, v[8:9], off glc
	s_waitcnt vmcnt(0)
	v_and_b32_e32 v4, -2.0, v12
	v_cmp_ne_u32_e64 s[14:15], 0, v4
	s_or_b64 s[22:23], s[14:15], s[22:23]
	s_andn2_b64 exec, exec, s[22:23]
	s_cbranch_execnz .LBB120_41
; %bb.42:                               ;   in Loop: Header=BB120_38 Depth=1
	s_or_b64 exec, exec, s[22:23]
	s_branch .LBB120_37
.LBB120_43:                             ;   in Loop: Header=BB120_38 Depth=1
                                        ; implicit-def: $sgpr25
	s_and_b64 s[20:21], exec, s[14:15]
	s_or_b64 s[18:19], s[20:21], s[18:19]
	s_andn2_b64 exec, exec, s[18:19]
	s_cbranch_execnz .LBB120_38
.LBB120_44:
	s_or_b64 exec, exec, s[18:19]
	v_add_u32_e32 v4, v11, v21
	v_or_b32_e32 v4, 0x80000000, v4
	global_store_dword v[6:7], v4, off
	v_lshlrev_b32_e32 v6, 3, v2
	global_load_dwordx2 v[4:5], v6, s[44:45]
	v_sub_co_u32_e64 v7, s[14:15], v11, v16
	v_subb_co_u32_e64 v8, s[14:15], 0, v17, s[14:15]
	s_waitcnt vmcnt(0)
	v_add_co_u32_e64 v4, s[14:15], v7, v4
	v_addc_co_u32_e64 v5, s[14:15], v8, v5, s[14:15]
	ds_write_b64 v6, v[4:5]
.LBB120_45:
	s_or_b64 exec, exec, s[16:17]
	v_cmp_gt_u32_e64 s[14:15], s35, v2
	v_lshlrev_b32_e32 v28, 3, v2
	s_waitcnt lgkmcnt(0)
	s_barrier
	s_and_saveexec_b64 s[18:19], s[14:15]
	s_cbranch_execz .LBB120_47
; %bb.46:
	ds_read_b64 v[4:5], v28 offset:2048
	v_mov_b32_e32 v8, s39
	s_waitcnt lgkmcnt(0)
	v_lshrrev_b64 v[6:7], s48, v[4:5]
	v_and_b32_e32 v6, s33, v6
	v_lshlrev_b32_e32 v6, 3, v6
	ds_read_b64 v[6:7], v6
	v_xor_b32_e32 v5, 0x80000000, v5
	s_waitcnt lgkmcnt(0)
	v_lshlrev_b64 v[6:7], 3, v[6:7]
	v_add_co_u32_e64 v6, s[16:17], s38, v6
	v_addc_co_u32_e64 v7, s[16:17], v8, v7, s[16:17]
	v_add_co_u32_e64 v6, s[16:17], v6, v28
	v_addc_co_u32_e64 v7, s[16:17], 0, v7, s[16:17]
	global_store_dwordx2 v[6:7], v[4:5], off
.LBB120_47:
	s_or_b64 exec, exec, s[18:19]
	v_or_b32_e32 v4, 0x400, v2
	v_cmp_gt_u32_e64 s[16:17], s35, v4
	v_lshlrev_b32_e32 v29, 3, v4
	s_and_saveexec_b64 s[20:21], s[16:17]
	s_cbranch_execz .LBB120_49
; %bb.48:
	ds_read_b64 v[4:5], v28 offset:10240
	v_mov_b32_e32 v8, s39
	s_waitcnt lgkmcnt(0)
	v_lshrrev_b64 v[6:7], s48, v[4:5]
	v_and_b32_e32 v6, s33, v6
	v_lshlrev_b32_e32 v6, 3, v6
	ds_read_b64 v[6:7], v6
	v_xor_b32_e32 v5, 0x80000000, v5
	s_waitcnt lgkmcnt(0)
	v_lshlrev_b64 v[6:7], 3, v[6:7]
	v_add_co_u32_e64 v6, s[18:19], s38, v6
	v_addc_co_u32_e64 v7, s[18:19], v8, v7, s[18:19]
	v_add_co_u32_e64 v6, s[18:19], v6, v29
	v_addc_co_u32_e64 v7, s[18:19], 0, v7, s[18:19]
	global_store_dwordx2 v[6:7], v[4:5], off
.LBB120_49:
	s_or_b64 exec, exec, s[20:21]
	v_or_b32_e32 v4, 0x800, v2
	v_cmp_gt_u32_e64 s[18:19], s35, v4
	v_lshlrev_b32_e32 v30, 3, v4
	;; [unrolled: 23-line block ×5, first 2 shown]
	s_and_saveexec_b64 s[52:53], s[24:25]
	s_cbranch_execz .LBB120_57
; %bb.56:
	ds_read_b64 v[4:5], v28 offset:43008
	v_mov_b32_e32 v8, s39
	s_waitcnt lgkmcnt(0)
	v_lshrrev_b64 v[6:7], s48, v[4:5]
	v_and_b32_e32 v6, s33, v6
	v_lshlrev_b32_e32 v6, 3, v6
	ds_read_b64 v[6:7], v6
	v_xor_b32_e32 v5, 0x80000000, v5
	s_waitcnt lgkmcnt(0)
	v_lshlrev_b64 v[6:7], 3, v[6:7]
	v_add_co_u32_e64 v6, s[28:29], s38, v6
	v_addc_co_u32_e64 v7, s[28:29], v8, v7, s[28:29]
	v_add_co_u32_e64 v6, s[28:29], v6, v33
	v_addc_co_u32_e64 v7, s[28:29], 0, v7, s[28:29]
	global_store_dwordx2 v[6:7], v[4:5], off
.LBB120_57:
	s_or_b64 exec, exec, s[52:53]
	s_add_u32 s28, s40, s50
	s_addc_u32 s29, s41, s51
	v_mov_b32_e32 v4, s29
	v_add_co_u32_e64 v3, s[28:29], s28, v3
	v_addc_co_u32_e64 v4, s[28:29], 0, v4, s[28:29]
	v_add_co_u32_e64 v18, s[28:29], v3, v20
	v_addc_co_u32_e64 v19, s[28:29], 0, v4, s[28:29]
                                        ; implicit-def: $vgpr4_vgpr5
	s_and_saveexec_b64 s[28:29], vcc
	s_xor_b64 s[28:29], exec, s[28:29]
	s_cbranch_execnz .LBB120_127
; %bb.58:
	s_or_b64 exec, exec, s[28:29]
                                        ; implicit-def: $vgpr6_vgpr7
	s_and_saveexec_b64 s[28:29], s[0:1]
	s_cbranch_execnz .LBB120_128
.LBB120_59:
	s_or_b64 exec, exec, s[28:29]
                                        ; implicit-def: $vgpr8_vgpr9
	s_and_saveexec_b64 s[0:1], s[2:3]
	s_cbranch_execnz .LBB120_129
.LBB120_60:
	s_or_b64 exec, exec, s[0:1]
                                        ; implicit-def: $vgpr10_vgpr11
	s_and_saveexec_b64 s[0:1], s[26:27]
	s_cbranch_execnz .LBB120_130
.LBB120_61:
	s_or_b64 exec, exec, s[0:1]
                                        ; implicit-def: $vgpr12_vgpr13
	s_and_saveexec_b64 s[0:1], s[8:9]
	s_cbranch_execnz .LBB120_131
.LBB120_62:
	s_or_b64 exec, exec, s[0:1]
                                        ; implicit-def: $vgpr14_vgpr15
	s_and_saveexec_b64 s[0:1], s[10:11]
	s_cbranch_execz .LBB120_64
.LBB120_63:
	global_load_dwordx2 v[14:15], v[18:19], off offset:2560
.LBB120_64:
	s_or_b64 exec, exec, s[0:1]
	v_mov_b32_e32 v20, 0
	v_mov_b32_e32 v35, 0
	s_and_saveexec_b64 s[0:1], s[14:15]
	s_cbranch_execz .LBB120_66
; %bb.65:
	ds_read_b64 v[18:19], v28 offset:2048
	s_waitcnt lgkmcnt(0)
	v_lshrrev_b64 v[18:19], s48, v[18:19]
	v_and_b32_e32 v35, s33, v18
.LBB120_66:
	s_or_b64 exec, exec, s[0:1]
	s_and_saveexec_b64 s[0:1], s[16:17]
	s_cbranch_execz .LBB120_68
; %bb.67:
	ds_read_b64 v[18:19], v28 offset:10240
	s_waitcnt lgkmcnt(0)
	v_lshrrev_b64 v[18:19], s48, v[18:19]
	v_and_b32_e32 v20, s33, v18
.LBB120_68:
	s_or_b64 exec, exec, s[0:1]
	v_mov_b32_e32 v18, 0
	v_mov_b32_e32 v34, 0
	s_and_saveexec_b64 s[0:1], s[18:19]
	s_cbranch_execz .LBB120_70
; %bb.69:
	ds_read_b64 v[36:37], v28 offset:18432
	s_waitcnt lgkmcnt(0)
	v_lshrrev_b64 v[36:37], s48, v[36:37]
	v_and_b32_e32 v34, s33, v36
.LBB120_70:
	s_or_b64 exec, exec, s[0:1]
	s_and_saveexec_b64 s[0:1], s[20:21]
	s_cbranch_execz .LBB120_72
; %bb.71:
	ds_read_b64 v[18:19], v28 offset:26624
	s_waitcnt lgkmcnt(0)
	v_lshrrev_b64 v[18:19], s48, v[18:19]
	v_and_b32_e32 v18, s33, v18
.LBB120_72:
	;; [unrolled: 20-line block ×3, first 2 shown]
	s_or_b64 exec, exec, s[0:1]
	s_barrier
	s_waitcnt vmcnt(0)
	ds_write_b64 v22, v[4:5] offset:2048
	ds_write_b64 v23, v[6:7] offset:2048
	;; [unrolled: 1-line block ×6, first 2 shown]
	s_waitcnt lgkmcnt(0)
	s_barrier
	s_and_saveexec_b64 s[0:1], s[14:15]
	s_cbranch_execnz .LBB120_132
; %bb.77:
	s_or_b64 exec, exec, s[0:1]
	s_and_saveexec_b64 s[0:1], s[16:17]
	s_cbranch_execnz .LBB120_133
.LBB120_78:
	s_or_b64 exec, exec, s[0:1]
	s_and_saveexec_b64 s[0:1], s[18:19]
	s_cbranch_execnz .LBB120_134
.LBB120_79:
	s_or_b64 exec, exec, s[0:1]
	s_and_saveexec_b64 s[0:1], s[20:21]
	s_cbranch_execnz .LBB120_135
.LBB120_80:
	s_or_b64 exec, exec, s[0:1]
	s_and_saveexec_b64 s[0:1], s[22:23]
	s_cbranch_execnz .LBB120_136
.LBB120_81:
	s_or_b64 exec, exec, s[0:1]
	s_and_saveexec_b64 s[0:1], s[24:25]
	s_cbranch_execz .LBB120_83
.LBB120_82:
	v_lshlrev_b32_e32 v3, 3, v3
	ds_read_b64 v[4:5], v3
	ds_read_b64 v[6:7], v28 offset:43008
	v_mov_b32_e32 v3, s43
	s_waitcnt lgkmcnt(1)
	v_lshlrev_b64 v[4:5], 3, v[4:5]
	v_add_co_u32_e32 v4, vcc, s42, v4
	v_addc_co_u32_e32 v3, vcc, v3, v5, vcc
	v_add_co_u32_e32 v4, vcc, v4, v33
	v_addc_co_u32_e32 v5, vcc, 0, v3, vcc
	s_waitcnt lgkmcnt(0)
	global_store_dwordx2 v[4:5], v[6:7], off
.LBB120_83:
	s_or_b64 exec, exec, s[0:1]
	s_add_i32 s7, s7, -1
	s_cmp_eq_u32 s6, s7
	s_cselect_b64 s[0:1], -1, 0
	s_and_b64 s[2:3], s[12:13], s[0:1]
	s_mov_b64 s[0:1], 0
	s_mov_b64 s[10:11], 0
                                        ; implicit-def: $vgpr4_vgpr5
	s_and_saveexec_b64 s[8:9], s[2:3]
	s_xor_b64 s[2:3], exec, s[8:9]
; %bb.84:
	v_add_co_u32_e32 v4, vcc, v16, v21
	s_mov_b64 s[10:11], exec
	v_mov_b32_e32 v3, 0
	v_addc_co_u32_e32 v5, vcc, 0, v17, vcc
; %bb.85:
	s_or_b64 exec, exec, s[2:3]
	s_and_b64 vcc, exec, s[0:1]
	s_cbranch_vccnz .LBB120_87
	s_branch .LBB120_124
.LBB120_86:
	s_mov_b64 s[10:11], 0
                                        ; implicit-def: $vgpr4_vgpr5
                                        ; implicit-def: $vgpr2_vgpr3
	s_cbranch_execz .LBB120_124
.LBB120_87:
	s_mov_b32 s35, 0
	s_lshl_b64 s[12:13], s[34:35], 3
	v_mbcnt_hi_u32_b32 v3, -1, v1
	s_add_u32 s0, s36, s12
	v_lshlrev_b32_e32 v18, 3, v3
	v_add_co_u32_e32 v5, vcc, s0, v18
	s_load_dword s7, s[4:5], 0x50
	s_load_dword s0, s[4:5], 0x5c
	v_and_b32_e32 v2, 0x3ff, v0
	s_addc_u32 s1, s37, s13
	v_and_b32_e32 v1, 0x3c0, v2
	v_mul_u32_u24_e32 v1, 6, v1
	v_mov_b32_e32 v4, s1
	v_addc_co_u32_e32 v4, vcc, 0, v4, vcc
	v_lshlrev_b32_e32 v19, 3, v1
	s_add_u32 s1, s4, 0x50
	v_add_co_u32_e32 v16, vcc, v5, v19
	s_addc_u32 s2, s5, 0
	s_waitcnt lgkmcnt(0)
	s_lshr_b32 s3, s0, 16
	v_addc_co_u32_e32 v17, vcc, 0, v4, vcc
	s_cmp_lt_u32 s6, s7
	global_load_dwordx2 v[4:5], v[16:17], off
	s_cselect_b32 s0, 12, 18
	s_add_u32 s0, s1, s0
	v_mov_b32_e32 v14, 0
	s_addc_u32 s1, s2, 0
	global_load_ushort v15, v14, s[0:1]
	v_mul_u32_u24_e32 v6, 5, v2
	v_lshlrev_b32_e32 v20, 2, v6
	v_bfe_u32 v1, v0, 10, 10
	v_bfe_u32 v0, v0, 20, 10
	ds_write2_b32 v20, v14, v14 offset0:16 offset1:17
	ds_write2_b32 v20, v14, v14 offset0:18 offset1:19
	ds_write_b32 v20, v14 offset:80
	v_mad_u32_u24 v21, v0, s3, v1
	global_load_dwordx2 v[12:13], v[16:17], off offset:512
	global_load_dwordx2 v[10:11], v[16:17], off offset:1024
	;; [unrolled: 1-line block ×5, first 2 shown]
	s_lshl_b32 s0, -1, s49
	s_not_b32 s16, s0
	s_waitcnt lgkmcnt(0)
	s_barrier
	s_waitcnt lgkmcnt(0)
	; wave barrier
	s_waitcnt vmcnt(6)
	v_xor_b32_e32 v5, 0x80000000, v5
	v_lshrrev_b64 v[16:17], s48, v[4:5]
	v_and_b32_e32 v22, s16, v16
	s_waitcnt vmcnt(5)
	v_mad_u64_u32 v[16:17], s[0:1], v21, v15, v[2:3]
	v_and_b32_e32 v21, 1, v22
	v_lshrrev_b32_e32 v27, 6, v16
	v_add_co_u32_e32 v16, vcc, -1, v21
	v_lshlrev_b32_e32 v15, 30, v22
	v_addc_co_u32_e64 v23, s[0:1], 0, -1, vcc
	v_lshl_add_u32 v17, v22, 4, v22
	v_cmp_ne_u32_e32 vcc, 0, v21
	v_cmp_gt_i64_e64 s[0:1], 0, v[14:15]
	v_not_b32_e32 v24, v15
	v_lshlrev_b32_e32 v15, 29, v22
	v_add_lshl_u32 v21, v27, v17, 2
	v_xor_b32_e32 v17, vcc_hi, v23
	v_xor_b32_e32 v16, vcc_lo, v16
	v_ashrrev_i32_e32 v23, 31, v24
	v_cmp_gt_i64_e32 vcc, 0, v[14:15]
	v_not_b32_e32 v24, v15
	v_lshlrev_b32_e32 v15, 28, v22
	v_and_b32_e32 v17, exec_hi, v17
	v_and_b32_e32 v16, exec_lo, v16
	v_xor_b32_e32 v25, s1, v23
	v_xor_b32_e32 v23, s0, v23
	v_ashrrev_i32_e32 v24, 31, v24
	v_cmp_gt_i64_e64 s[0:1], 0, v[14:15]
	v_not_b32_e32 v26, v15
	v_lshlrev_b32_e32 v15, 27, v22
	v_and_b32_e32 v17, v17, v25
	v_and_b32_e32 v16, v16, v23
	v_xor_b32_e32 v23, vcc_hi, v24
	v_xor_b32_e32 v24, vcc_lo, v24
	v_ashrrev_i32_e32 v25, 31, v26
	v_cmp_gt_i64_e32 vcc, 0, v[14:15]
	v_not_b32_e32 v15, v15
	v_and_b32_e32 v17, v17, v23
	v_and_b32_e32 v16, v16, v24
	v_xor_b32_e32 v23, s1, v25
	v_xor_b32_e32 v24, s0, v25
	v_ashrrev_i32_e32 v15, 31, v15
	v_and_b32_e32 v17, v17, v23
	v_and_b32_e32 v16, v16, v24
	v_xor_b32_e32 v23, vcc_hi, v15
	v_xor_b32_e32 v15, vcc_lo, v15
	v_and_b32_e32 v16, v16, v15
	v_lshlrev_b32_e32 v15, 26, v22
	v_cmp_gt_i64_e32 vcc, 0, v[14:15]
	v_not_b32_e32 v15, v15
	v_ashrrev_i32_e32 v15, 31, v15
	v_and_b32_e32 v17, v17, v23
	v_xor_b32_e32 v23, vcc_hi, v15
	v_xor_b32_e32 v15, vcc_lo, v15
	v_and_b32_e32 v16, v16, v15
	v_lshlrev_b32_e32 v15, 25, v22
	v_cmp_gt_i64_e32 vcc, 0, v[14:15]
	v_not_b32_e32 v15, v15
	v_ashrrev_i32_e32 v15, 31, v15
	v_and_b32_e32 v17, v17, v23
	v_xor_b32_e32 v23, vcc_hi, v15
	v_xor_b32_e32 v15, vcc_lo, v15
	v_and_b32_e32 v16, v16, v15
	v_lshlrev_b32_e32 v15, 24, v22
	v_cmp_gt_i64_e32 vcc, 0, v[14:15]
	v_not_b32_e32 v15, v15
	v_ashrrev_i32_e32 v15, 31, v15
	v_xor_b32_e32 v22, vcc_hi, v15
	v_xor_b32_e32 v15, vcc_lo, v15
	v_and_b32_e32 v17, v17, v23
	v_and_b32_e32 v16, v16, v15
	;; [unrolled: 1-line block ×3, first 2 shown]
	v_mbcnt_lo_u32_b32 v15, v16, 0
	v_mbcnt_hi_u32_b32 v22, v17, v15
	v_cmp_eq_u32_e32 vcc, 0, v22
	v_cmp_ne_u64_e64 s[0:1], 0, v[16:17]
	s_and_b64 s[2:3], s[0:1], vcc
	s_and_saveexec_b64 s[0:1], s[2:3]
	s_cbranch_execz .LBB120_89
; %bb.88:
	v_bcnt_u32_b32 v15, v16, 0
	v_bcnt_u32_b32 v15, v17, v15
	ds_write_b32 v21, v15 offset:64
.LBB120_89:
	s_or_b64 exec, exec, s[0:1]
	s_waitcnt vmcnt(4)
	v_xor_b32_e32 v13, 0x80000000, v13
	v_lshrrev_b64 v[16:17], s48, v[12:13]
	v_and_b32_e32 v16, s16, v16
	v_lshl_add_u32 v15, v16, 4, v16
	v_add_lshl_u32 v24, v27, v15, 2
	v_and_b32_e32 v15, 1, v16
	v_add_co_u32_e32 v17, vcc, -1, v15
	v_addc_co_u32_e64 v25, s[0:1], 0, -1, vcc
	v_cmp_ne_u32_e32 vcc, 0, v15
	v_xor_b32_e32 v15, vcc_hi, v25
	v_and_b32_e32 v25, exec_hi, v15
	v_lshlrev_b32_e32 v15, 30, v16
	v_xor_b32_e32 v17, vcc_lo, v17
	v_cmp_gt_i64_e32 vcc, 0, v[14:15]
	v_not_b32_e32 v15, v15
	v_ashrrev_i32_e32 v15, 31, v15
	v_and_b32_e32 v17, exec_lo, v17
	v_xor_b32_e32 v26, vcc_hi, v15
	v_xor_b32_e32 v15, vcc_lo, v15
	v_and_b32_e32 v17, v17, v15
	v_lshlrev_b32_e32 v15, 29, v16
	v_cmp_gt_i64_e32 vcc, 0, v[14:15]
	v_not_b32_e32 v15, v15
	v_ashrrev_i32_e32 v15, 31, v15
	v_and_b32_e32 v25, v25, v26
	v_xor_b32_e32 v26, vcc_hi, v15
	v_xor_b32_e32 v15, vcc_lo, v15
	v_and_b32_e32 v17, v17, v15
	v_lshlrev_b32_e32 v15, 28, v16
	v_cmp_gt_i64_e32 vcc, 0, v[14:15]
	v_not_b32_e32 v15, v15
	v_ashrrev_i32_e32 v15, 31, v15
	v_and_b32_e32 v25, v25, v26
	;; [unrolled: 8-line block ×5, first 2 shown]
	v_xor_b32_e32 v26, vcc_hi, v15
	v_xor_b32_e32 v15, vcc_lo, v15
	v_and_b32_e32 v17, v17, v15
	v_lshlrev_b32_e32 v15, 24, v16
	v_cmp_gt_i64_e32 vcc, 0, v[14:15]
	v_not_b32_e32 v14, v15
	v_ashrrev_i32_e32 v14, 31, v14
	v_xor_b32_e32 v15, vcc_hi, v14
	v_xor_b32_e32 v14, vcc_lo, v14
	; wave barrier
	ds_read_b32 v23, v24 offset:64
	v_and_b32_e32 v25, v25, v26
	v_and_b32_e32 v14, v17, v14
	;; [unrolled: 1-line block ×3, first 2 shown]
	v_mbcnt_lo_u32_b32 v16, v14, 0
	v_mbcnt_hi_u32_b32 v25, v15, v16
	v_cmp_eq_u32_e32 vcc, 0, v25
	v_cmp_ne_u64_e64 s[0:1], 0, v[14:15]
	s_and_b64 s[2:3], s[0:1], vcc
	; wave barrier
	s_and_saveexec_b64 s[0:1], s[2:3]
	s_cbranch_execz .LBB120_91
; %bb.90:
	v_bcnt_u32_b32 v14, v14, 0
	v_bcnt_u32_b32 v14, v15, v14
	s_waitcnt lgkmcnt(0)
	v_add_u32_e32 v14, v23, v14
	ds_write_b32 v24, v14 offset:64
.LBB120_91:
	s_or_b64 exec, exec, s[0:1]
	s_waitcnt vmcnt(3)
	v_xor_b32_e32 v11, 0x80000000, v11
	v_lshrrev_b64 v[14:15], s48, v[10:11]
	v_and_b32_e32 v16, s16, v14
	v_and_b32_e32 v15, 1, v16
	v_add_co_u32_e32 v17, vcc, -1, v15
	v_addc_co_u32_e64 v29, s[0:1], 0, -1, vcc
	v_cmp_ne_u32_e32 vcc, 0, v15
	v_lshl_add_u32 v14, v16, 4, v16
	v_xor_b32_e32 v15, vcc_hi, v29
	v_add_lshl_u32 v28, v27, v14, 2
	v_mov_b32_e32 v14, 0
	v_and_b32_e32 v29, exec_hi, v15
	v_lshlrev_b32_e32 v15, 30, v16
	v_xor_b32_e32 v17, vcc_lo, v17
	v_cmp_gt_i64_e32 vcc, 0, v[14:15]
	v_not_b32_e32 v15, v15
	v_ashrrev_i32_e32 v15, 31, v15
	v_and_b32_e32 v17, exec_lo, v17
	v_xor_b32_e32 v30, vcc_hi, v15
	v_xor_b32_e32 v15, vcc_lo, v15
	v_and_b32_e32 v17, v17, v15
	v_lshlrev_b32_e32 v15, 29, v16
	v_cmp_gt_i64_e32 vcc, 0, v[14:15]
	v_not_b32_e32 v15, v15
	v_ashrrev_i32_e32 v15, 31, v15
	v_and_b32_e32 v29, v29, v30
	v_xor_b32_e32 v30, vcc_hi, v15
	v_xor_b32_e32 v15, vcc_lo, v15
	v_and_b32_e32 v17, v17, v15
	v_lshlrev_b32_e32 v15, 28, v16
	v_cmp_gt_i64_e32 vcc, 0, v[14:15]
	v_not_b32_e32 v15, v15
	v_ashrrev_i32_e32 v15, 31, v15
	v_and_b32_e32 v29, v29, v30
	;; [unrolled: 8-line block ×5, first 2 shown]
	v_xor_b32_e32 v30, vcc_hi, v15
	v_xor_b32_e32 v15, vcc_lo, v15
	v_and_b32_e32 v29, v29, v30
	v_and_b32_e32 v30, v17, v15
	v_lshlrev_b32_e32 v15, 24, v16
	v_cmp_gt_i64_e32 vcc, 0, v[14:15]
	v_not_b32_e32 v15, v15
	v_ashrrev_i32_e32 v15, 31, v15
	v_xor_b32_e32 v16, vcc_hi, v15
	v_xor_b32_e32 v15, vcc_lo, v15
	; wave barrier
	ds_read_b32 v26, v28 offset:64
	v_and_b32_e32 v17, v29, v16
	v_and_b32_e32 v16, v30, v15
	v_mbcnt_lo_u32_b32 v15, v16, 0
	v_mbcnt_hi_u32_b32 v29, v17, v15
	v_cmp_eq_u32_e32 vcc, 0, v29
	v_cmp_ne_u64_e64 s[0:1], 0, v[16:17]
	s_and_b64 s[2:3], s[0:1], vcc
	; wave barrier
	s_and_saveexec_b64 s[0:1], s[2:3]
	s_cbranch_execz .LBB120_93
; %bb.92:
	v_bcnt_u32_b32 v15, v16, 0
	v_bcnt_u32_b32 v15, v17, v15
	s_waitcnt lgkmcnt(0)
	v_add_u32_e32 v15, v26, v15
	ds_write_b32 v28, v15 offset:64
.LBB120_93:
	s_or_b64 exec, exec, s[0:1]
	s_waitcnt vmcnt(2)
	v_xor_b32_e32 v9, 0x80000000, v9
	v_lshrrev_b64 v[16:17], s48, v[8:9]
	v_and_b32_e32 v16, s16, v16
	v_lshl_add_u32 v15, v16, 4, v16
	v_add_lshl_u32 v31, v27, v15, 2
	v_and_b32_e32 v15, 1, v16
	v_add_co_u32_e32 v17, vcc, -1, v15
	v_addc_co_u32_e64 v32, s[0:1], 0, -1, vcc
	v_cmp_ne_u32_e32 vcc, 0, v15
	v_xor_b32_e32 v15, vcc_hi, v32
	v_and_b32_e32 v32, exec_hi, v15
	v_lshlrev_b32_e32 v15, 30, v16
	v_xor_b32_e32 v17, vcc_lo, v17
	v_cmp_gt_i64_e32 vcc, 0, v[14:15]
	v_not_b32_e32 v15, v15
	v_ashrrev_i32_e32 v15, 31, v15
	v_and_b32_e32 v17, exec_lo, v17
	v_xor_b32_e32 v33, vcc_hi, v15
	v_xor_b32_e32 v15, vcc_lo, v15
	v_and_b32_e32 v17, v17, v15
	v_lshlrev_b32_e32 v15, 29, v16
	v_cmp_gt_i64_e32 vcc, 0, v[14:15]
	v_not_b32_e32 v15, v15
	v_ashrrev_i32_e32 v15, 31, v15
	v_and_b32_e32 v32, v32, v33
	v_xor_b32_e32 v33, vcc_hi, v15
	v_xor_b32_e32 v15, vcc_lo, v15
	v_and_b32_e32 v17, v17, v15
	v_lshlrev_b32_e32 v15, 28, v16
	v_cmp_gt_i64_e32 vcc, 0, v[14:15]
	v_not_b32_e32 v15, v15
	v_ashrrev_i32_e32 v15, 31, v15
	v_and_b32_e32 v32, v32, v33
	;; [unrolled: 8-line block ×5, first 2 shown]
	v_xor_b32_e32 v33, vcc_hi, v15
	v_xor_b32_e32 v15, vcc_lo, v15
	v_and_b32_e32 v17, v17, v15
	v_lshlrev_b32_e32 v15, 24, v16
	v_cmp_gt_i64_e32 vcc, 0, v[14:15]
	v_not_b32_e32 v14, v15
	v_ashrrev_i32_e32 v14, 31, v14
	v_xor_b32_e32 v15, vcc_hi, v14
	v_xor_b32_e32 v14, vcc_lo, v14
	; wave barrier
	ds_read_b32 v30, v31 offset:64
	v_and_b32_e32 v32, v32, v33
	v_and_b32_e32 v14, v17, v14
	;; [unrolled: 1-line block ×3, first 2 shown]
	v_mbcnt_lo_u32_b32 v16, v14, 0
	v_mbcnt_hi_u32_b32 v32, v15, v16
	v_cmp_eq_u32_e32 vcc, 0, v32
	v_cmp_ne_u64_e64 s[0:1], 0, v[14:15]
	s_and_b64 s[2:3], s[0:1], vcc
	; wave barrier
	s_and_saveexec_b64 s[0:1], s[2:3]
	s_cbranch_execz .LBB120_95
; %bb.94:
	v_bcnt_u32_b32 v14, v14, 0
	v_bcnt_u32_b32 v14, v15, v14
	s_waitcnt lgkmcnt(0)
	v_add_u32_e32 v14, v30, v14
	ds_write_b32 v31, v14 offset:64
.LBB120_95:
	s_or_b64 exec, exec, s[0:1]
	s_waitcnt vmcnt(1)
	v_xor_b32_e32 v7, 0x80000000, v7
	v_lshrrev_b64 v[14:15], s48, v[6:7]
	v_and_b32_e32 v16, s16, v14
	v_and_b32_e32 v15, 1, v16
	v_add_co_u32_e32 v17, vcc, -1, v15
	v_addc_co_u32_e64 v35, s[0:1], 0, -1, vcc
	v_cmp_ne_u32_e32 vcc, 0, v15
	v_lshl_add_u32 v14, v16, 4, v16
	v_xor_b32_e32 v15, vcc_hi, v35
	v_add_lshl_u32 v34, v27, v14, 2
	v_mov_b32_e32 v14, 0
	v_and_b32_e32 v35, exec_hi, v15
	v_lshlrev_b32_e32 v15, 30, v16
	v_xor_b32_e32 v17, vcc_lo, v17
	v_cmp_gt_i64_e32 vcc, 0, v[14:15]
	v_not_b32_e32 v15, v15
	v_ashrrev_i32_e32 v15, 31, v15
	v_and_b32_e32 v17, exec_lo, v17
	v_xor_b32_e32 v36, vcc_hi, v15
	v_xor_b32_e32 v15, vcc_lo, v15
	v_and_b32_e32 v17, v17, v15
	v_lshlrev_b32_e32 v15, 29, v16
	v_cmp_gt_i64_e32 vcc, 0, v[14:15]
	v_not_b32_e32 v15, v15
	v_ashrrev_i32_e32 v15, 31, v15
	v_and_b32_e32 v35, v35, v36
	v_xor_b32_e32 v36, vcc_hi, v15
	v_xor_b32_e32 v15, vcc_lo, v15
	v_and_b32_e32 v17, v17, v15
	v_lshlrev_b32_e32 v15, 28, v16
	v_cmp_gt_i64_e32 vcc, 0, v[14:15]
	v_not_b32_e32 v15, v15
	v_ashrrev_i32_e32 v15, 31, v15
	v_and_b32_e32 v35, v35, v36
	;; [unrolled: 8-line block ×5, first 2 shown]
	v_xor_b32_e32 v36, vcc_hi, v15
	v_xor_b32_e32 v15, vcc_lo, v15
	v_and_b32_e32 v35, v35, v36
	v_and_b32_e32 v36, v17, v15
	v_lshlrev_b32_e32 v15, 24, v16
	v_cmp_gt_i64_e32 vcc, 0, v[14:15]
	v_not_b32_e32 v15, v15
	v_ashrrev_i32_e32 v15, 31, v15
	v_xor_b32_e32 v16, vcc_hi, v15
	v_xor_b32_e32 v15, vcc_lo, v15
	; wave barrier
	ds_read_b32 v33, v34 offset:64
	v_and_b32_e32 v17, v35, v16
	v_and_b32_e32 v16, v36, v15
	v_mbcnt_lo_u32_b32 v15, v16, 0
	v_mbcnt_hi_u32_b32 v35, v17, v15
	v_cmp_eq_u32_e32 vcc, 0, v35
	v_cmp_ne_u64_e64 s[0:1], 0, v[16:17]
	s_and_b64 s[2:3], s[0:1], vcc
	; wave barrier
	s_and_saveexec_b64 s[0:1], s[2:3]
	s_cbranch_execz .LBB120_97
; %bb.96:
	v_bcnt_u32_b32 v15, v16, 0
	v_bcnt_u32_b32 v15, v17, v15
	s_waitcnt lgkmcnt(0)
	v_add_u32_e32 v15, v33, v15
	ds_write_b32 v34, v15 offset:64
.LBB120_97:
	s_or_b64 exec, exec, s[0:1]
	s_waitcnt vmcnt(0)
	v_xor_b32_e32 v1, 0x80000000, v1
	v_lshrrev_b64 v[16:17], s48, v[0:1]
	v_and_b32_e32 v16, s16, v16
	v_lshl_add_u32 v15, v16, 4, v16
	v_add_lshl_u32 v37, v27, v15, 2
	v_and_b32_e32 v15, 1, v16
	v_add_co_u32_e32 v17, vcc, -1, v15
	v_addc_co_u32_e64 v38, s[0:1], 0, -1, vcc
	v_cmp_ne_u32_e32 vcc, 0, v15
	v_xor_b32_e32 v15, vcc_hi, v38
	v_and_b32_e32 v38, exec_hi, v15
	v_lshlrev_b32_e32 v15, 30, v16
	v_xor_b32_e32 v17, vcc_lo, v17
	v_cmp_gt_i64_e32 vcc, 0, v[14:15]
	v_not_b32_e32 v15, v15
	v_ashrrev_i32_e32 v15, 31, v15
	v_and_b32_e32 v17, exec_lo, v17
	v_xor_b32_e32 v39, vcc_hi, v15
	v_xor_b32_e32 v15, vcc_lo, v15
	v_and_b32_e32 v17, v17, v15
	v_lshlrev_b32_e32 v15, 29, v16
	v_cmp_gt_i64_e32 vcc, 0, v[14:15]
	v_not_b32_e32 v15, v15
	v_ashrrev_i32_e32 v15, 31, v15
	v_and_b32_e32 v38, v38, v39
	v_xor_b32_e32 v39, vcc_hi, v15
	v_xor_b32_e32 v15, vcc_lo, v15
	v_and_b32_e32 v17, v17, v15
	v_lshlrev_b32_e32 v15, 28, v16
	v_cmp_gt_i64_e32 vcc, 0, v[14:15]
	v_not_b32_e32 v15, v15
	v_ashrrev_i32_e32 v15, 31, v15
	v_and_b32_e32 v38, v38, v39
	;; [unrolled: 8-line block ×5, first 2 shown]
	v_xor_b32_e32 v39, vcc_hi, v15
	v_xor_b32_e32 v15, vcc_lo, v15
	v_and_b32_e32 v17, v17, v15
	v_lshlrev_b32_e32 v15, 24, v16
	v_cmp_gt_i64_e32 vcc, 0, v[14:15]
	v_not_b32_e32 v14, v15
	v_ashrrev_i32_e32 v14, 31, v14
	v_xor_b32_e32 v15, vcc_hi, v14
	v_xor_b32_e32 v14, vcc_lo, v14
	; wave barrier
	ds_read_b32 v27, v37 offset:64
	v_and_b32_e32 v38, v38, v39
	v_and_b32_e32 v14, v17, v14
	;; [unrolled: 1-line block ×3, first 2 shown]
	v_mbcnt_lo_u32_b32 v16, v14, 0
	v_mbcnt_hi_u32_b32 v38, v15, v16
	v_cmp_eq_u32_e32 vcc, 0, v38
	v_cmp_ne_u64_e64 s[0:1], 0, v[14:15]
	v_add_u32_e32 v36, 64, v20
	s_and_b64 s[2:3], s[0:1], vcc
	; wave barrier
	s_and_saveexec_b64 s[0:1], s[2:3]
	s_cbranch_execz .LBB120_99
; %bb.98:
	v_bcnt_u32_b32 v14, v14, 0
	v_bcnt_u32_b32 v14, v15, v14
	s_waitcnt lgkmcnt(0)
	v_add_u32_e32 v14, v27, v14
	ds_write_b32 v37, v14 offset:64
.LBB120_99:
	s_or_b64 exec, exec, s[0:1]
	; wave barrier
	s_waitcnt lgkmcnt(0)
	s_barrier
	ds_read2_b32 v[16:17], v20 offset0:16 offset1:17
	ds_read2_b32 v[14:15], v36 offset0:2 offset1:3
	ds_read_b32 v39, v36 offset:16
	v_cmp_lt_u32_e64 s[8:9], 31, v3
	s_waitcnt lgkmcnt(1)
	v_add3_u32 v40, v17, v16, v14
	s_waitcnt lgkmcnt(0)
	v_add3_u32 v39, v40, v15, v39
	v_and_b32_e32 v40, 15, v3
	v_cmp_eq_u32_e32 vcc, 0, v40
	v_mov_b32_dpp v41, v39 row_shr:1 row_mask:0xf bank_mask:0xf
	v_cndmask_b32_e64 v41, v41, 0, vcc
	v_add_u32_e32 v39, v41, v39
	v_cmp_lt_u32_e64 s[0:1], 1, v40
	v_cmp_lt_u32_e64 s[2:3], 3, v40
	v_mov_b32_dpp v41, v39 row_shr:2 row_mask:0xf bank_mask:0xf
	v_cndmask_b32_e64 v41, 0, v41, s[0:1]
	v_add_u32_e32 v39, v39, v41
	v_cmp_lt_u32_e64 s[4:5], 7, v40
	s_nop 0
	v_mov_b32_dpp v41, v39 row_shr:4 row_mask:0xf bank_mask:0xf
	v_cndmask_b32_e64 v41, 0, v41, s[2:3]
	v_add_u32_e32 v39, v39, v41
	s_nop 1
	v_mov_b32_dpp v41, v39 row_shr:8 row_mask:0xf bank_mask:0xf
	v_cndmask_b32_e64 v40, 0, v41, s[4:5]
	v_add_u32_e32 v39, v39, v40
	v_bfe_i32 v41, v3, 4, 1
	s_nop 0
	v_mov_b32_dpp v40, v39 row_bcast:15 row_mask:0xf bank_mask:0xf
	v_and_b32_e32 v40, v41, v40
	v_add_u32_e32 v39, v39, v40
	v_and_b32_e32 v41, 63, v2
	s_nop 0
	v_mov_b32_dpp v40, v39 row_bcast:31 row_mask:0xf bank_mask:0xf
	v_cndmask_b32_e64 v40, 0, v40, s[8:9]
	v_add_u32_e32 v39, v39, v40
	v_lshrrev_b32_e32 v40, 6, v2
	v_cmp_eq_u32_e64 s[8:9], 63, v41
	s_and_saveexec_b64 s[14:15], s[8:9]
	s_cbranch_execz .LBB120_101
; %bb.100:
	v_lshlrev_b32_e32 v41, 2, v40
	ds_write_b32 v41, v39
.LBB120_101:
	s_or_b64 exec, exec, s[14:15]
	v_cmp_gt_u32_e64 s[8:9], 16, v2
	s_waitcnt lgkmcnt(0)
	s_barrier
	s_and_saveexec_b64 s[14:15], s[8:9]
	s_cbranch_execz .LBB120_103
; %bb.102:
	v_lshlrev_b32_e32 v41, 2, v2
	ds_read_b32 v42, v41
	s_waitcnt lgkmcnt(0)
	s_nop 0
	v_mov_b32_dpp v43, v42 row_shr:1 row_mask:0xf bank_mask:0xf
	v_cndmask_b32_e64 v43, v43, 0, vcc
	v_add_u32_e32 v42, v43, v42
	s_nop 1
	v_mov_b32_dpp v43, v42 row_shr:2 row_mask:0xf bank_mask:0xf
	v_cndmask_b32_e64 v43, 0, v43, s[0:1]
	v_add_u32_e32 v42, v42, v43
	s_nop 1
	v_mov_b32_dpp v43, v42 row_shr:4 row_mask:0xf bank_mask:0xf
	v_cndmask_b32_e64 v43, 0, v43, s[2:3]
	;; [unrolled: 4-line block ×3, first 2 shown]
	v_add_u32_e32 v42, v42, v43
	ds_write_b32 v41, v42
.LBB120_103:
	s_or_b64 exec, exec, s[14:15]
	v_cmp_lt_u32_e32 vcc, 63, v2
	v_mov_b32_e32 v41, 0
	s_waitcnt lgkmcnt(0)
	s_barrier
	s_and_saveexec_b64 s[0:1], vcc
	s_cbranch_execz .LBB120_105
; %bb.104:
	v_lshl_add_u32 v40, v40, 2, -4
	ds_read_b32 v41, v40
.LBB120_105:
	s_or_b64 exec, exec, s[0:1]
	v_add_u32_e32 v40, -1, v3
	v_and_b32_e32 v42, 64, v3
	v_cmp_lt_i32_e32 vcc, v40, v42
	v_cndmask_b32_e32 v40, v40, v3, vcc
	s_waitcnt lgkmcnt(0)
	v_add_u32_e32 v39, v41, v39
	v_lshlrev_b32_e32 v40, 2, v40
	ds_bpermute_b32 v39, v40, v39
	v_cmp_eq_u32_e32 vcc, 0, v3
	s_movk_i32 s2, 0xff
	s_movk_i32 s3, 0x100
	v_cmp_lt_u32_e64 s[0:1], s2, v2
	s_waitcnt lgkmcnt(0)
	v_cndmask_b32_e32 v3, v39, v41, vcc
	v_cmp_ne_u32_e32 vcc, 0, v2
	v_cndmask_b32_e32 v3, 0, v3, vcc
	v_add_u32_e32 v16, v3, v16
	v_add_u32_e32 v17, v16, v17
	;; [unrolled: 1-line block ×4, first 2 shown]
	ds_write2_b32 v20, v3, v16 offset0:16 offset1:17
	ds_write2_b32 v36, v17, v14 offset0:2 offset1:3
	ds_write_b32 v36, v15 offset:16
	s_waitcnt lgkmcnt(0)
	s_barrier
	ds_read_b32 v17, v21 offset:64
	ds_read_b32 v20, v24 offset:64
	;; [unrolled: 1-line block ×6, first 2 shown]
	v_cmp_gt_u32_e32 vcc, s3, v2
	v_pk_mov_b32 v[14:15], 0, 0
                                        ; implicit-def: $vgpr16
	s_and_saveexec_b64 s[4:5], vcc
	s_cbranch_execz .LBB120_109
; %bb.106:
	v_mul_u32_u24_e32 v14, 17, v2
	v_lshlrev_b32_e32 v16, 2, v14
	ds_read_b32 v14, v16 offset:64
	v_cmp_ne_u32_e64 s[2:3], s2, v2
	v_mov_b32_e32 v15, 0x1800
	s_and_saveexec_b64 s[8:9], s[2:3]
	s_cbranch_execz .LBB120_108
; %bb.107:
	ds_read_b32 v15, v16 offset:132
.LBB120_108:
	s_or_b64 exec, exec, s[8:9]
	s_waitcnt lgkmcnt(0)
	v_sub_u32_e32 v16, v15, v14
	v_mov_b32_e32 v15, 0
.LBB120_109:
	s_or_b64 exec, exec, s[4:5]
	v_add_u32_e32 v23, v25, v23
	v_add_u32_e32 v26, v29, v26
	s_waitcnt lgkmcnt(5)
	v_add_lshl_u32 v17, v17, v22, 3
	s_waitcnt lgkmcnt(4)
	v_add_lshl_u32 v20, v23, v20, 3
	v_add_u32_e32 v30, v32, v30
	s_waitcnt lgkmcnt(0)
	s_barrier
	ds_write_b64 v17, v[4:5] offset:2048
	ds_write_b64 v20, v[12:13] offset:2048
	v_add_lshl_u32 v12, v26, v28, 3
	v_add_u32_e32 v27, v38, v27
	v_add_u32_e32 v31, v35, v33
	ds_write_b64 v12, v[10:11] offset:2048
	v_add_lshl_u32 v10, v30, v24, 3
	ds_write_b64 v10, v[8:9] offset:2048
	v_add_lshl_u32 v8, v31, v21, 3
	v_add_lshl_u32 v9, v27, v3, 3
	ds_write_b64 v8, v[6:7] offset:2048
	ds_write_b64 v9, v[0:1] offset:2048
	s_waitcnt lgkmcnt(0)
	s_barrier
	s_and_saveexec_b64 s[2:3], s[0:1]
	s_xor_b64 s[0:1], exec, s[2:3]
; %bb.110:
	v_mov_b32_e32 v3, 0
; %bb.111:
	s_andn2_saveexec_b64 s[2:3], s[0:1]
	s_cbranch_execz .LBB120_121
; %bb.112:
	v_lshl_or_b32 v0, s6, 8, v2
	v_mov_b32_e32 v1, 0
	v_lshlrev_b64 v[4:5], 2, v[0:1]
	v_mov_b32_e32 v3, s31
	v_add_co_u32_e64 v4, s[0:1], s30, v4
	v_addc_co_u32_e64 v5, s[0:1], v3, v5, s[0:1]
	v_or_b32_e32 v0, 2.0, v16
	s_mov_b64 s[4:5], 0
	s_brev_b32 s17, 1
	s_mov_b32 s18, s6
	v_mov_b32_e32 v11, 0
	global_store_dword v[4:5], v0, off
                                        ; implicit-def: $sgpr0_sgpr1
	s_branch .LBB120_115
.LBB120_113:                            ;   in Loop: Header=BB120_115 Depth=1
	s_or_b64 exec, exec, s[14:15]
.LBB120_114:                            ;   in Loop: Header=BB120_115 Depth=1
	s_or_b64 exec, exec, s[8:9]
	v_and_b32_e32 v6, 0x3fffffff, v13
	v_add_u32_e32 v11, v6, v11
	v_cmp_eq_u32_e64 s[0:1], s17, v0
	s_and_b64 s[8:9], exec, s[0:1]
	s_or_b64 s[4:5], s[8:9], s[4:5]
	s_andn2_b64 exec, exec, s[4:5]
	s_cbranch_execz .LBB120_120
.LBB120_115:                            ; =>This Loop Header: Depth=1
                                        ;     Child Loop BB120_118 Depth 2
	s_or_b64 s[0:1], s[0:1], exec
	s_cmp_eq_u32 s18, 0
	s_cbranch_scc1 .LBB120_119
; %bb.116:                              ;   in Loop: Header=BB120_115 Depth=1
	s_add_i32 s18, s18, -1
	v_lshl_or_b32 v0, s18, 8, v2
	v_lshlrev_b64 v[6:7], 2, v[0:1]
	v_add_co_u32_e64 v6, s[0:1], s30, v6
	v_addc_co_u32_e64 v7, s[0:1], v3, v7, s[0:1]
	global_load_dword v13, v[6:7], off glc
	s_waitcnt vmcnt(0)
	v_and_b32_e32 v0, -2.0, v13
	v_cmp_eq_u32_e64 s[0:1], 0, v0
	s_and_saveexec_b64 s[8:9], s[0:1]
	s_cbranch_execz .LBB120_114
; %bb.117:                              ;   in Loop: Header=BB120_115 Depth=1
	s_mov_b64 s[14:15], 0
.LBB120_118:                            ;   Parent Loop BB120_115 Depth=1
                                        ; =>  This Inner Loop Header: Depth=2
	global_load_dword v13, v[6:7], off glc
	s_waitcnt vmcnt(0)
	v_and_b32_e32 v0, -2.0, v13
	v_cmp_ne_u32_e64 s[0:1], 0, v0
	s_or_b64 s[14:15], s[0:1], s[14:15]
	s_andn2_b64 exec, exec, s[14:15]
	s_cbranch_execnz .LBB120_118
	s_branch .LBB120_113
.LBB120_119:                            ;   in Loop: Header=BB120_115 Depth=1
                                        ; implicit-def: $sgpr18
	s_and_b64 s[8:9], exec, s[0:1]
	s_or_b64 s[4:5], s[8:9], s[4:5]
	s_andn2_b64 exec, exec, s[4:5]
	s_cbranch_execnz .LBB120_115
.LBB120_120:
	s_or_b64 exec, exec, s[4:5]
	v_add_u32_e32 v0, v11, v16
	v_or_b32_e32 v0, 0x80000000, v0
	global_store_dword v[4:5], v0, off
	v_lshlrev_b32_e32 v4, 3, v2
	global_load_dwordx2 v[0:1], v4, s[44:45]
	v_sub_co_u32_e64 v5, s[0:1], v11, v14
	v_subb_co_u32_e64 v6, s[0:1], 0, v15, s[0:1]
	v_mov_b32_e32 v3, 0
	s_waitcnt vmcnt(0)
	v_add_co_u32_e64 v0, s[0:1], v5, v0
	v_addc_co_u32_e64 v1, s[0:1], v6, v1, s[0:1]
	ds_write_b64 v4, v[0:1]
.LBB120_121:
	s_or_b64 exec, exec, s[2:3]
	v_lshlrev_b32_e32 v4, 3, v2
	s_waitcnt lgkmcnt(0)
	s_barrier
	ds_read2st64_b64 v[22:25], v4 offset0:20 offset1:36
	v_lshlrev_b32_e32 v5, 3, v2
	ds_read2st64_b64 v[26:29], v4 offset0:52 offset1:68
	ds_read_b64 v[6:7], v5 offset:2048
	v_mov_b32_e32 v42, s39
	s_waitcnt lgkmcnt(2)
	v_lshrrev_b64 v[0:1], s48, v[24:25]
	v_and_b32_e32 v0, s16, v0
	v_lshlrev_b32_e32 v21, 3, v0
	s_waitcnt lgkmcnt(1)
	v_lshrrev_b64 v[0:1], s48, v[28:29]
	v_and_b32_e32 v0, s16, v0
	v_lshlrev_b32_e32 v44, 3, v0
	s_waitcnt lgkmcnt(0)
	v_lshrrev_b64 v[0:1], s48, v[6:7]
	ds_read_b64 v[30:31], v44
	ds_read_b64 v[32:33], v21
	ds_read_b64 v[34:35], v4 offset:43008
	v_and_b32_e32 v0, s16, v0
	v_lshlrev_b32_e32 v11, 3, v0
	v_lshrrev_b64 v[0:1], s48, v[22:23]
	v_and_b32_e32 v0, s16, v0
	v_lshlrev_b32_e32 v13, 3, v0
	v_lshrrev_b64 v[0:1], s48, v[26:27]
	v_and_b32_e32 v0, s16, v0
	v_lshlrev_b32_e32 v45, 3, v0
	s_waitcnt lgkmcnt(0)
	v_lshrrev_b64 v[0:1], s48, v[34:35]
	v_and_b32_e32 v36, s16, v0
	ds_read_b64 v[0:1], v11
	v_lshlrev_b32_e32 v46, 3, v36
	ds_read_b64 v[36:37], v13
	ds_read_b64 v[38:39], v45
	;; [unrolled: 1-line block ×3, first 2 shown]
	v_xor_b32_e32 v7, 0x80000000, v7
	v_xor_b32_e32 v23, 0x80000000, v23
	s_waitcnt lgkmcnt(3)
	v_lshlrev_b64 v[0:1], 3, v[0:1]
	v_add_co_u32_e64 v43, s[0:1], s38, v0
	v_addc_co_u32_e64 v47, s[0:1], v42, v1, s[0:1]
	v_lshlrev_b64 v[0:1], 3, v[2:3]
	v_add_co_u32_e64 v42, s[0:1], v43, v0
	v_addc_co_u32_e64 v43, s[0:1], v47, v1, s[0:1]
	global_store_dwordx2 v[42:43], v[6:7], off
	s_waitcnt lgkmcnt(2)
	v_lshlrev_b64 v[6:7], 3, v[36:37]
	v_mov_b32_e32 v36, s39
	v_add_co_u32_e64 v6, s[0:1], s38, v6
	v_addc_co_u32_e64 v7, s[0:1], v36, v7, s[0:1]
	v_or_b32_e32 v36, 0x2000, v4
	v_add_co_u32_e64 v6, s[0:1], v6, v36
	v_addc_co_u32_e64 v7, s[0:1], 0, v7, s[0:1]
	global_store_dwordx2 v[6:7], v[22:23], off
	v_lshlrev_b64 v[6:7], 3, v[32:33]
	v_mov_b32_e32 v22, s39
	v_add_co_u32_e64 v6, s[0:1], s38, v6
	v_addc_co_u32_e64 v7, s[0:1], v22, v7, s[0:1]
	v_or_b32_e32 v32, 0x4000, v4
	v_add_co_u32_e64 v6, s[0:1], v6, v32
	v_xor_b32_e32 v25, 0x80000000, v25
	v_addc_co_u32_e64 v7, s[0:1], 0, v7, s[0:1]
	global_store_dwordx2 v[6:7], v[24:25], off
	s_waitcnt lgkmcnt(1)
	v_lshlrev_b64 v[6:7], 3, v[38:39]
	v_add_co_u32_e64 v6, s[0:1], s38, v6
	v_addc_co_u32_e64 v7, s[0:1], v22, v7, s[0:1]
	v_or_b32_e32 v33, 0x6000, v4
	v_add_co_u32_e64 v6, s[0:1], v6, v33
	v_xor_b32_e32 v27, 0x80000000, v27
	v_addc_co_u32_e64 v7, s[0:1], 0, v7, s[0:1]
	global_store_dwordx2 v[6:7], v[26:27], off
	v_lshlrev_b64 v[6:7], 3, v[30:31]
	v_add_co_u32_e64 v6, s[0:1], s38, v6
	v_addc_co_u32_e64 v7, s[0:1], v22, v7, s[0:1]
	v_or_b32_e32 v37, 0x8000, v4
	v_add_co_u32_e64 v6, s[0:1], v6, v37
	v_xor_b32_e32 v29, 0x80000000, v29
	v_addc_co_u32_e64 v7, s[0:1], 0, v7, s[0:1]
	global_store_dwordx2 v[6:7], v[28:29], off
	s_waitcnt lgkmcnt(0)
	v_lshlrev_b64 v[6:7], 3, v[40:41]
	v_add_co_u32_e64 v6, s[0:1], s38, v6
	v_addc_co_u32_e64 v7, s[0:1], v22, v7, s[0:1]
	v_or_b32_e32 v38, 0xa000, v4
	v_add_co_u32_e64 v6, s[0:1], v6, v38
	v_addc_co_u32_e64 v7, s[0:1], 0, v7, s[0:1]
	s_add_u32 s0, s40, s12
	v_xor_b32_e32 v35, 0x80000000, v35
	s_addc_u32 s1, s41, s13
	global_store_dwordx2 v[6:7], v[34:35], off
	v_mov_b32_e32 v6, s1
	v_add_co_u32_e64 v7, s[0:1], s0, v18
	v_addc_co_u32_e64 v18, s[0:1], 0, v6, s[0:1]
	v_add_co_u32_e64 v6, s[0:1], v7, v19
	v_addc_co_u32_e64 v7, s[0:1], 0, v18, s[0:1]
	global_load_dwordx2 v[18:19], v[6:7], off
	global_load_dwordx2 v[22:23], v[6:7], off offset:512
	global_load_dwordx2 v[24:25], v[6:7], off offset:1024
	;; [unrolled: 1-line block ×5, first 2 shown]
	s_barrier
	s_add_i32 s7, s7, -1
	s_cmp_eq_u32 s6, s7
	s_waitcnt vmcnt(5)
	ds_write_b64 v17, v[18:19] offset:2048
	s_waitcnt vmcnt(4)
	ds_write_b64 v20, v[22:23] offset:2048
	;; [unrolled: 2-line block ×6, first 2 shown]
	s_waitcnt lgkmcnt(0)
	s_barrier
	ds_read_b64 v[6:7], v11
	ds_read_b64 v[8:9], v5 offset:2048
	ds_read_b64 v[10:11], v13
	ds_read_b64 v[12:13], v4 offset:43008
	v_mov_b32_e32 v5, s43
	s_waitcnt lgkmcnt(3)
	v_lshlrev_b64 v[6:7], 3, v[6:7]
	v_add_co_u32_e64 v6, s[0:1], s42, v6
	v_addc_co_u32_e64 v5, s[0:1], v5, v7, s[0:1]
	v_add_co_u32_e64 v0, s[0:1], v6, v0
	v_addc_co_u32_e64 v1, s[0:1], v5, v1, s[0:1]
	s_waitcnt lgkmcnt(2)
	global_store_dwordx2 v[0:1], v[8:9], off
	ds_read2st64_b64 v[6:9], v4 offset0:20 offset1:36
	s_waitcnt lgkmcnt(2)
	v_lshlrev_b64 v[0:1], 3, v[10:11]
	ds_read_b64 v[10:11], v21
	v_mov_b32_e32 v5, s43
	v_add_co_u32_e64 v0, s[0:1], s42, v0
	v_addc_co_u32_e64 v1, s[0:1], v5, v1, s[0:1]
	v_add_co_u32_e64 v0, s[0:1], v0, v36
	v_addc_co_u32_e64 v1, s[0:1], 0, v1, s[0:1]
	s_waitcnt lgkmcnt(1)
	global_store_dwordx2 v[0:1], v[6:7], off
	s_waitcnt lgkmcnt(0)
	v_lshlrev_b64 v[6:7], 3, v[10:11]
	v_add_co_u32_e64 v6, s[0:1], s42, v6
	ds_read_b64 v[0:1], v45
	ds_read_b64 v[18:19], v44
	;; [unrolled: 1-line block ×3, first 2 shown]
	v_addc_co_u32_e64 v5, s[0:1], v5, v7, s[0:1]
	v_add_co_u32_e64 v6, s[0:1], v6, v32
	v_addc_co_u32_e64 v7, s[0:1], 0, v5, s[0:1]
	global_store_dwordx2 v[6:7], v[8:9], off
	ds_read2st64_b64 v[4:7], v4 offset0:52 offset1:68
	s_waitcnt lgkmcnt(3)
	v_lshlrev_b64 v[0:1], 3, v[0:1]
	v_mov_b32_e32 v8, s43
	v_add_co_u32_e64 v0, s[0:1], s42, v0
	v_addc_co_u32_e64 v1, s[0:1], v8, v1, s[0:1]
	v_add_co_u32_e64 v0, s[0:1], v0, v33
	v_addc_co_u32_e64 v1, s[0:1], 0, v1, s[0:1]
	s_waitcnt lgkmcnt(0)
	global_store_dwordx2 v[0:1], v[4:5], off
	v_lshlrev_b64 v[0:1], 3, v[18:19]
	v_mov_b32_e32 v4, s43
	v_add_co_u32_e64 v0, s[0:1], s42, v0
	v_addc_co_u32_e64 v1, s[0:1], v4, v1, s[0:1]
	v_add_co_u32_e64 v0, s[0:1], v0, v37
	v_addc_co_u32_e64 v1, s[0:1], 0, v1, s[0:1]
	global_store_dwordx2 v[0:1], v[6:7], off
	v_lshlrev_b64 v[0:1], 3, v[20:21]
	v_add_co_u32_e64 v0, s[0:1], s42, v0
	v_addc_co_u32_e64 v1, s[0:1], v4, v1, s[0:1]
	v_add_co_u32_e64 v0, s[0:1], v0, v38
	v_addc_co_u32_e64 v1, s[0:1], 0, v1, s[0:1]
	s_cselect_b64 s[0:1], -1, 0
	s_and_b64 s[2:3], vcc, s[0:1]
	global_store_dwordx2 v[0:1], v[12:13], off
                                        ; implicit-def: $vgpr4_vgpr5
	s_and_saveexec_b64 s[0:1], s[2:3]
; %bb.122:
	v_add_co_u32_e32 v4, vcc, v14, v16
	v_addc_co_u32_e32 v5, vcc, 0, v15, vcc
	s_or_b64 s[10:11], s[10:11], exec
; %bb.123:
	s_or_b64 exec, exec, s[0:1]
.LBB120_124:
	s_and_saveexec_b64 s[0:1], s[10:11]
	s_cbranch_execnz .LBB120_126
; %bb.125:
	s_endpgm
.LBB120_126:
	v_lshlrev_b32_e32 v6, 3, v2
	v_lshlrev_b64 v[0:1], 3, v[2:3]
	ds_read_b64 v[2:3], v6
	v_mov_b32_e32 v7, s47
	v_add_co_u32_e32 v0, vcc, s46, v0
	v_addc_co_u32_e32 v1, vcc, v7, v1, vcc
	s_waitcnt lgkmcnt(0)
	v_add_co_u32_e32 v2, vcc, v2, v4
	v_addc_co_u32_e32 v3, vcc, v3, v5, vcc
	global_store_dwordx2 v[0:1], v[2:3], off
	s_endpgm
.LBB120_127:
	global_load_dwordx2 v[4:5], v[18:19], off
	s_or_b64 exec, exec, s[28:29]
                                        ; implicit-def: $vgpr6_vgpr7
	s_and_saveexec_b64 s[28:29], s[0:1]
	s_cbranch_execz .LBB120_59
.LBB120_128:
	global_load_dwordx2 v[6:7], v[18:19], off offset:512
	s_or_b64 exec, exec, s[28:29]
                                        ; implicit-def: $vgpr8_vgpr9
	s_and_saveexec_b64 s[0:1], s[2:3]
	s_cbranch_execz .LBB120_60
.LBB120_129:
	global_load_dwordx2 v[8:9], v[18:19], off offset:1024
	s_or_b64 exec, exec, s[0:1]
                                        ; implicit-def: $vgpr10_vgpr11
	s_and_saveexec_b64 s[0:1], s[26:27]
	s_cbranch_execz .LBB120_61
.LBB120_130:
	global_load_dwordx2 v[10:11], v[18:19], off offset:1536
	s_or_b64 exec, exec, s[0:1]
                                        ; implicit-def: $vgpr12_vgpr13
	s_and_saveexec_b64 s[0:1], s[8:9]
	s_cbranch_execz .LBB120_62
.LBB120_131:
	global_load_dwordx2 v[12:13], v[18:19], off offset:2048
	s_or_b64 exec, exec, s[0:1]
                                        ; implicit-def: $vgpr14_vgpr15
	s_and_saveexec_b64 s[0:1], s[10:11]
	s_cbranch_execnz .LBB120_63
	s_branch .LBB120_64
.LBB120_132:
	v_lshlrev_b32_e32 v4, 3, v35
	ds_read_b64 v[4:5], v4
	ds_read_b64 v[6:7], v28 offset:2048
	v_mov_b32_e32 v8, s43
	s_waitcnt lgkmcnt(1)
	v_lshlrev_b64 v[4:5], 3, v[4:5]
	v_add_co_u32_e32 v4, vcc, s42, v4
	v_addc_co_u32_e32 v5, vcc, v8, v5, vcc
	v_add_co_u32_e32 v4, vcc, v4, v28
	v_addc_co_u32_e32 v5, vcc, 0, v5, vcc
	s_waitcnt lgkmcnt(0)
	global_store_dwordx2 v[4:5], v[6:7], off
	s_or_b64 exec, exec, s[0:1]
	s_and_saveexec_b64 s[0:1], s[16:17]
	s_cbranch_execz .LBB120_78
.LBB120_133:
	v_lshlrev_b32_e32 v4, 3, v20
	ds_read_b64 v[4:5], v4
	ds_read_b64 v[6:7], v28 offset:10240
	v_mov_b32_e32 v8, s43
	s_waitcnt lgkmcnt(1)
	v_lshlrev_b64 v[4:5], 3, v[4:5]
	v_add_co_u32_e32 v4, vcc, s42, v4
	v_addc_co_u32_e32 v5, vcc, v8, v5, vcc
	v_add_co_u32_e32 v4, vcc, v4, v29
	v_addc_co_u32_e32 v5, vcc, 0, v5, vcc
	s_waitcnt lgkmcnt(0)
	global_store_dwordx2 v[4:5], v[6:7], off
	s_or_b64 exec, exec, s[0:1]
	s_and_saveexec_b64 s[0:1], s[18:19]
	s_cbranch_execz .LBB120_79
.LBB120_134:
	v_lshlrev_b32_e32 v4, 3, v34
	ds_read_b64 v[4:5], v4
	ds_read_b64 v[6:7], v28 offset:18432
	v_mov_b32_e32 v8, s43
	s_waitcnt lgkmcnt(1)
	v_lshlrev_b64 v[4:5], 3, v[4:5]
	v_add_co_u32_e32 v4, vcc, s42, v4
	v_addc_co_u32_e32 v5, vcc, v8, v5, vcc
	v_add_co_u32_e32 v4, vcc, v4, v30
	v_addc_co_u32_e32 v5, vcc, 0, v5, vcc
	s_waitcnt lgkmcnt(0)
	global_store_dwordx2 v[4:5], v[6:7], off
	s_or_b64 exec, exec, s[0:1]
	s_and_saveexec_b64 s[0:1], s[20:21]
	s_cbranch_execz .LBB120_80
.LBB120_135:
	v_lshlrev_b32_e32 v4, 3, v18
	ds_read_b64 v[4:5], v4
	ds_read_b64 v[6:7], v28 offset:26624
	v_mov_b32_e32 v8, s43
	s_waitcnt lgkmcnt(1)
	v_lshlrev_b64 v[4:5], 3, v[4:5]
	v_add_co_u32_e32 v4, vcc, s42, v4
	v_addc_co_u32_e32 v5, vcc, v8, v5, vcc
	v_add_co_u32_e32 v4, vcc, v4, v31
	v_addc_co_u32_e32 v5, vcc, 0, v5, vcc
	s_waitcnt lgkmcnt(0)
	global_store_dwordx2 v[4:5], v[6:7], off
	s_or_b64 exec, exec, s[0:1]
	s_and_saveexec_b64 s[0:1], s[22:23]
	s_cbranch_execz .LBB120_81
.LBB120_136:
	v_lshlrev_b32_e32 v4, 3, v19
	ds_read_b64 v[4:5], v4
	ds_read_b64 v[6:7], v28 offset:34816
	v_mov_b32_e32 v8, s43
	s_waitcnt lgkmcnt(1)
	v_lshlrev_b64 v[4:5], 3, v[4:5]
	v_add_co_u32_e32 v4, vcc, s42, v4
	v_addc_co_u32_e32 v5, vcc, v8, v5, vcc
	v_add_co_u32_e32 v4, vcc, v4, v32
	v_addc_co_u32_e32 v5, vcc, 0, v5, vcc
	s_waitcnt lgkmcnt(0)
	global_store_dwordx2 v[4:5], v[6:7], off
	s_or_b64 exec, exec, s[0:1]
	s_and_saveexec_b64 s[0:1], s[24:25]
	s_cbranch_execnz .LBB120_82
	s_branch .LBB120_83
	.section	.rodata,"a",@progbits
	.p2align	6, 0x0
	.amdhsa_kernel _ZN7rocprim17ROCPRIM_304000_NS6detail25onesweep_iteration_kernelINS1_34wrapped_radix_sort_onesweep_configINS0_14default_configElN2at4cuda3cub6detail10OpaqueTypeILi8EEEEELb0EPKlPlPKSA_PSA_mNS0_19identity_decomposerEEEvT1_T2_T3_T4_jPT5_SO_PNS1_23onesweep_lookback_stateET6_jjj
		.amdhsa_group_segment_fixed_size 51200
		.amdhsa_private_segment_fixed_size 0
		.amdhsa_kernarg_size 336
		.amdhsa_user_sgpr_count 6
		.amdhsa_user_sgpr_private_segment_buffer 1
		.amdhsa_user_sgpr_dispatch_ptr 0
		.amdhsa_user_sgpr_queue_ptr 0
		.amdhsa_user_sgpr_kernarg_segment_ptr 1
		.amdhsa_user_sgpr_dispatch_id 0
		.amdhsa_user_sgpr_flat_scratch_init 0
		.amdhsa_user_sgpr_kernarg_preload_length 0
		.amdhsa_user_sgpr_kernarg_preload_offset 0
		.amdhsa_user_sgpr_private_segment_size 0
		.amdhsa_uses_dynamic_stack 0
		.amdhsa_system_sgpr_private_segment_wavefront_offset 0
		.amdhsa_system_sgpr_workgroup_id_x 1
		.amdhsa_system_sgpr_workgroup_id_y 0
		.amdhsa_system_sgpr_workgroup_id_z 0
		.amdhsa_system_sgpr_workgroup_info 0
		.amdhsa_system_vgpr_workitem_id 2
		.amdhsa_next_free_vgpr 48
		.amdhsa_next_free_sgpr 54
		.amdhsa_accum_offset 48
		.amdhsa_reserve_vcc 1
		.amdhsa_reserve_flat_scratch 0
		.amdhsa_float_round_mode_32 0
		.amdhsa_float_round_mode_16_64 0
		.amdhsa_float_denorm_mode_32 3
		.amdhsa_float_denorm_mode_16_64 3
		.amdhsa_dx10_clamp 1
		.amdhsa_ieee_mode 1
		.amdhsa_fp16_overflow 0
		.amdhsa_tg_split 0
		.amdhsa_exception_fp_ieee_invalid_op 0
		.amdhsa_exception_fp_denorm_src 0
		.amdhsa_exception_fp_ieee_div_zero 0
		.amdhsa_exception_fp_ieee_overflow 0
		.amdhsa_exception_fp_ieee_underflow 0
		.amdhsa_exception_fp_ieee_inexact 0
		.amdhsa_exception_int_div_zero 0
	.end_amdhsa_kernel
	.section	.text._ZN7rocprim17ROCPRIM_304000_NS6detail25onesweep_iteration_kernelINS1_34wrapped_radix_sort_onesweep_configINS0_14default_configElN2at4cuda3cub6detail10OpaqueTypeILi8EEEEELb0EPKlPlPKSA_PSA_mNS0_19identity_decomposerEEEvT1_T2_T3_T4_jPT5_SO_PNS1_23onesweep_lookback_stateET6_jjj,"axG",@progbits,_ZN7rocprim17ROCPRIM_304000_NS6detail25onesweep_iteration_kernelINS1_34wrapped_radix_sort_onesweep_configINS0_14default_configElN2at4cuda3cub6detail10OpaqueTypeILi8EEEEELb0EPKlPlPKSA_PSA_mNS0_19identity_decomposerEEEvT1_T2_T3_T4_jPT5_SO_PNS1_23onesweep_lookback_stateET6_jjj,comdat
.Lfunc_end120:
	.size	_ZN7rocprim17ROCPRIM_304000_NS6detail25onesweep_iteration_kernelINS1_34wrapped_radix_sort_onesweep_configINS0_14default_configElN2at4cuda3cub6detail10OpaqueTypeILi8EEEEELb0EPKlPlPKSA_PSA_mNS0_19identity_decomposerEEEvT1_T2_T3_T4_jPT5_SO_PNS1_23onesweep_lookback_stateET6_jjj, .Lfunc_end120-_ZN7rocprim17ROCPRIM_304000_NS6detail25onesweep_iteration_kernelINS1_34wrapped_radix_sort_onesweep_configINS0_14default_configElN2at4cuda3cub6detail10OpaqueTypeILi8EEEEELb0EPKlPlPKSA_PSA_mNS0_19identity_decomposerEEEvT1_T2_T3_T4_jPT5_SO_PNS1_23onesweep_lookback_stateET6_jjj
                                        ; -- End function
	.section	.AMDGPU.csdata,"",@progbits
; Kernel info:
; codeLenInByte = 11404
; NumSgprs: 58
; NumVgprs: 48
; NumAgprs: 0
; TotalNumVgprs: 48
; ScratchSize: 0
; MemoryBound: 0
; FloatMode: 240
; IeeeMode: 1
; LDSByteSize: 51200 bytes/workgroup (compile time only)
; SGPRBlocks: 7
; VGPRBlocks: 5
; NumSGPRsForWavesPerEU: 58
; NumVGPRsForWavesPerEU: 48
; AccumOffset: 48
; Occupancy: 4
; WaveLimiterHint : 1
; COMPUTE_PGM_RSRC2:SCRATCH_EN: 0
; COMPUTE_PGM_RSRC2:USER_SGPR: 6
; COMPUTE_PGM_RSRC2:TRAP_HANDLER: 0
; COMPUTE_PGM_RSRC2:TGID_X_EN: 1
; COMPUTE_PGM_RSRC2:TGID_Y_EN: 0
; COMPUTE_PGM_RSRC2:TGID_Z_EN: 0
; COMPUTE_PGM_RSRC2:TIDIG_COMP_CNT: 2
; COMPUTE_PGM_RSRC3_GFX90A:ACCUM_OFFSET: 11
; COMPUTE_PGM_RSRC3_GFX90A:TG_SPLIT: 0
	.section	.text._ZN7rocprim17ROCPRIM_304000_NS6detail25onesweep_iteration_kernelINS1_34wrapped_radix_sort_onesweep_configINS0_14default_configElN2at4cuda3cub6detail10OpaqueTypeILi8EEEEELb0EPlSC_PSA_SD_mNS0_19identity_decomposerEEEvT1_T2_T3_T4_jPT5_SK_PNS1_23onesweep_lookback_stateET6_jjj,"axG",@progbits,_ZN7rocprim17ROCPRIM_304000_NS6detail25onesweep_iteration_kernelINS1_34wrapped_radix_sort_onesweep_configINS0_14default_configElN2at4cuda3cub6detail10OpaqueTypeILi8EEEEELb0EPlSC_PSA_SD_mNS0_19identity_decomposerEEEvT1_T2_T3_T4_jPT5_SK_PNS1_23onesweep_lookback_stateET6_jjj,comdat
	.protected	_ZN7rocprim17ROCPRIM_304000_NS6detail25onesweep_iteration_kernelINS1_34wrapped_radix_sort_onesweep_configINS0_14default_configElN2at4cuda3cub6detail10OpaqueTypeILi8EEEEELb0EPlSC_PSA_SD_mNS0_19identity_decomposerEEEvT1_T2_T3_T4_jPT5_SK_PNS1_23onesweep_lookback_stateET6_jjj ; -- Begin function _ZN7rocprim17ROCPRIM_304000_NS6detail25onesweep_iteration_kernelINS1_34wrapped_radix_sort_onesweep_configINS0_14default_configElN2at4cuda3cub6detail10OpaqueTypeILi8EEEEELb0EPlSC_PSA_SD_mNS0_19identity_decomposerEEEvT1_T2_T3_T4_jPT5_SK_PNS1_23onesweep_lookback_stateET6_jjj
	.globl	_ZN7rocprim17ROCPRIM_304000_NS6detail25onesweep_iteration_kernelINS1_34wrapped_radix_sort_onesweep_configINS0_14default_configElN2at4cuda3cub6detail10OpaqueTypeILi8EEEEELb0EPlSC_PSA_SD_mNS0_19identity_decomposerEEEvT1_T2_T3_T4_jPT5_SK_PNS1_23onesweep_lookback_stateET6_jjj
	.p2align	8
	.type	_ZN7rocprim17ROCPRIM_304000_NS6detail25onesweep_iteration_kernelINS1_34wrapped_radix_sort_onesweep_configINS0_14default_configElN2at4cuda3cub6detail10OpaqueTypeILi8EEEEELb0EPlSC_PSA_SD_mNS0_19identity_decomposerEEEvT1_T2_T3_T4_jPT5_SK_PNS1_23onesweep_lookback_stateET6_jjj,@function
_ZN7rocprim17ROCPRIM_304000_NS6detail25onesweep_iteration_kernelINS1_34wrapped_radix_sort_onesweep_configINS0_14default_configElN2at4cuda3cub6detail10OpaqueTypeILi8EEEEELb0EPlSC_PSA_SD_mNS0_19identity_decomposerEEEvT1_T2_T3_T4_jPT5_SK_PNS1_23onesweep_lookback_stateET6_jjj: ; @_ZN7rocprim17ROCPRIM_304000_NS6detail25onesweep_iteration_kernelINS1_34wrapped_radix_sort_onesweep_configINS0_14default_configElN2at4cuda3cub6detail10OpaqueTypeILi8EEEEELb0EPlSC_PSA_SD_mNS0_19identity_decomposerEEEvT1_T2_T3_T4_jPT5_SK_PNS1_23onesweep_lookback_stateET6_jjj
; %bb.0:
	s_load_dwordx4 s[48:51], s[4:5], 0x44
	s_load_dwordx8 s[36:43], s[4:5], 0x0
	s_load_dwordx4 s[44:47], s[4:5], 0x28
	s_load_dwordx2 s[30:31], s[4:5], 0x38
	s_mul_i32 s34, s6, 0x1800
	s_waitcnt lgkmcnt(0)
	s_cmp_ge_u32 s6, s50
	v_mbcnt_lo_u32_b32 v1, -1, 0
	s_cbranch_scc0 .LBB121_86
; %bb.1:
	s_load_dword s0, s[4:5], 0x20
	s_mul_i32 s1, s50, 0xffffe800
	s_mov_b32 s35, 0
	v_and_b32_e32 v2, 0x3ff, v0
	s_lshl_b64 s[50:51], s[34:35], 3
	s_waitcnt lgkmcnt(0)
	s_add_i32 s35, s1, s0
	s_add_u32 s0, s36, s50
	v_mbcnt_hi_u32_b32 v21, -1, v1
	v_and_b32_e32 v3, 0x3c0, v2
	s_addc_u32 s1, s37, s51
	v_mul_u32_u24_e32 v4, 6, v3
	v_lshlrev_b32_e32 v3, 3, v21
	v_mov_b32_e32 v5, s1
	v_add_co_u32_e32 v6, vcc, s0, v3
	v_addc_co_u32_e32 v5, vcc, 0, v5, vcc
	v_lshlrev_b32_e32 v20, 3, v4
	s_mov_b32 s2, -1
	v_add_co_u32_e32 v16, vcc, v6, v20
	s_brev_b32 s3, -2
	v_addc_co_u32_e32 v17, vcc, 0, v5, vcc
	v_or_b32_e32 v14, v21, v4
	v_cmp_gt_u32_e32 vcc, s35, v14
	v_pk_mov_b32 v[4:5], s[2:3], s[2:3] op_sel:[0,1]
	s_and_saveexec_b64 s[0:1], vcc
	s_cbranch_execz .LBB121_3
; %bb.2:
	global_load_dwordx2 v[4:5], v[16:17], off
.LBB121_3:
	s_or_b64 exec, exec, s[0:1]
	v_add_u32_e32 v6, 64, v14
	v_cmp_gt_u32_e64 s[0:1], s35, v6
	v_pk_mov_b32 v[6:7], s[2:3], s[2:3] op_sel:[0,1]
	s_and_saveexec_b64 s[2:3], s[0:1]
	s_cbranch_execz .LBB121_5
; %bb.4:
	global_load_dwordx2 v[6:7], v[16:17], off offset:512
.LBB121_5:
	s_or_b64 exec, exec, s[2:3]
	s_mov_b32 s8, -1
	v_add_u32_e32 v8, 0x80, v14
	s_brev_b32 s9, -2
	v_cmp_gt_u32_e64 s[2:3], s35, v8
	v_pk_mov_b32 v[8:9], s[8:9], s[8:9] op_sel:[0,1]
	s_and_saveexec_b64 s[10:11], s[2:3]
	s_cbranch_execz .LBB121_7
; %bb.6:
	global_load_dwordx2 v[8:9], v[16:17], off offset:1024
.LBB121_7:
	s_or_b64 exec, exec, s[10:11]
	v_add_u32_e32 v10, 0xc0, v14
	v_cmp_gt_u32_e64 s[26:27], s35, v10
	v_pk_mov_b32 v[10:11], s[8:9], s[8:9] op_sel:[0,1]
	s_and_saveexec_b64 s[8:9], s[26:27]
	s_cbranch_execz .LBB121_9
; %bb.8:
	global_load_dwordx2 v[10:11], v[16:17], off offset:1536
.LBB121_9:
	s_or_b64 exec, exec, s[8:9]
	s_mov_b32 s12, -1
	v_add_u32_e32 v12, 0x100, v14
	s_brev_b32 s13, -2
	v_cmp_gt_u32_e64 s[8:9], s35, v12
	v_pk_mov_b32 v[12:13], s[12:13], s[12:13] op_sel:[0,1]
	s_and_saveexec_b64 s[10:11], s[8:9]
	s_cbranch_execz .LBB121_11
; %bb.10:
	global_load_dwordx2 v[12:13], v[16:17], off offset:2048
.LBB121_11:
	s_or_b64 exec, exec, s[10:11]
	v_add_u32_e32 v14, 0x140, v14
	v_cmp_gt_u32_e64 s[10:11], s35, v14
	v_pk_mov_b32 v[14:15], s[12:13], s[12:13] op_sel:[0,1]
	s_and_saveexec_b64 s[12:13], s[10:11]
	s_cbranch_execz .LBB121_13
; %bb.12:
	global_load_dwordx2 v[14:15], v[16:17], off offset:2560
.LBB121_13:
	s_or_b64 exec, exec, s[12:13]
	s_load_dword s12, s[4:5], 0x5c
	s_load_dword s7, s[4:5], 0x50
	s_add_u32 s13, s4, 0x50
	s_addc_u32 s14, s5, 0
	v_mov_b32_e32 v16, 0
	s_waitcnt lgkmcnt(0)
	s_lshr_b32 s15, s12, 16
	s_cmp_lt_u32 s6, s7
	s_cselect_b32 s12, 12, 18
	s_add_u32 s12, s13, s12
	s_addc_u32 s13, s14, 0
	global_load_ushort v23, v16, s[12:13]
	s_waitcnt vmcnt(1)
	v_xor_b32_e32 v5, 0x80000000, v5
	v_mul_u32_u24_e32 v18, 5, v2
	s_lshl_b32 s12, -1, s49
	v_lshlrev_b32_e32 v22, 2, v18
	v_lshrrev_b64 v[18:19], s48, v[4:5]
	s_not_b32 s33, s12
	v_and_b32_e32 v18, s33, v18
	v_and_b32_e32 v25, 1, v18
	v_bfe_u32 v17, v0, 10, 10
	v_bfe_u32 v24, v0, 20, 10
	v_add_co_u32_e64 v26, s[12:13], -1, v25
	v_mad_u32_u24 v19, v24, s15, v17
	v_lshlrev_b32_e32 v17, 30, v18
	v_addc_co_u32_e64 v27, s[12:13], 0, -1, s[12:13]
	v_cmp_ne_u32_e64 s[12:13], 0, v25
	v_cmp_gt_i64_e64 s[14:15], 0, v[16:17]
	v_not_b32_e32 v25, v17
	v_lshlrev_b32_e32 v17, 29, v18
	v_xor_b32_e32 v27, s13, v27
	v_xor_b32_e32 v26, s12, v26
	v_ashrrev_i32_e32 v25, 31, v25
	v_cmp_gt_i64_e64 s[12:13], 0, v[16:17]
	v_not_b32_e32 v28, v17
	v_lshlrev_b32_e32 v17, 28, v18
	v_and_b32_e32 v27, exec_hi, v27
	v_and_b32_e32 v26, exec_lo, v26
	v_xor_b32_e32 v29, s15, v25
	v_xor_b32_e32 v25, s14, v25
	v_ashrrev_i32_e32 v28, 31, v28
	v_cmp_gt_i64_e64 s[14:15], 0, v[16:17]
	v_not_b32_e32 v30, v17
	v_lshlrev_b32_e32 v17, 27, v18
	v_and_b32_e32 v27, v27, v29
	v_and_b32_e32 v25, v26, v25
	v_xor_b32_e32 v26, s13, v28
	v_xor_b32_e32 v28, s12, v28
	v_ashrrev_i32_e32 v29, 31, v30
	v_cmp_gt_i64_e64 s[12:13], 0, v[16:17]
	v_not_b32_e32 v30, v17
	v_lshlrev_b32_e32 v17, 26, v18
	v_and_b32_e32 v26, v27, v26
	v_and_b32_e32 v25, v25, v28
	v_xor_b32_e32 v27, s15, v29
	v_xor_b32_e32 v28, s14, v29
	v_ashrrev_i32_e32 v29, 31, v30
	v_cmp_gt_i64_e64 s[14:15], 0, v[16:17]
	v_not_b32_e32 v30, v17
	v_lshlrev_b32_e32 v17, 25, v18
	v_and_b32_e32 v26, v26, v27
	v_and_b32_e32 v25, v25, v28
	v_xor_b32_e32 v27, s13, v29
	v_xor_b32_e32 v28, s12, v29
	v_ashrrev_i32_e32 v29, 31, v30
	v_not_b32_e32 v30, v17
	v_lshl_add_u32 v24, v18, 4, v18
	v_cmp_gt_i64_e64 s[12:13], 0, v[16:17]
	v_lshlrev_b32_e32 v17, 24, v18
	v_and_b32_e32 v18, v26, v27
	v_and_b32_e32 v25, v25, v28
	v_xor_b32_e32 v26, s15, v29
	v_ashrrev_i32_e32 v28, 31, v30
	v_xor_b32_e32 v27, s14, v29
	v_cmp_gt_i64_e64 s[14:15], 0, v[16:17]
	v_not_b32_e32 v17, v17
	v_and_b32_e32 v18, v18, v26
	v_xor_b32_e32 v26, s13, v28
	v_and_b32_e32 v25, v25, v27
	v_xor_b32_e32 v27, s12, v28
	v_and_b32_e32 v26, v18, v26
	v_ashrrev_i32_e32 v17, 31, v17
	v_and_b32_e32 v27, v25, v27
	ds_write2_b32 v22, v16, v16 offset0:16 offset1:17
	ds_write2_b32 v22, v16, v16 offset0:18 offset1:19
	ds_write_b32 v22, v16 offset:80
	s_waitcnt lgkmcnt(0)
	s_barrier
	s_waitcnt lgkmcnt(0)
	; wave barrier
	s_waitcnt vmcnt(0)
	v_mad_u64_u32 v[18:19], s[12:13], v19, v23, v[2:3]
	v_lshrrev_b32_e32 v32, 6, v18
	v_xor_b32_e32 v18, s15, v17
	v_xor_b32_e32 v17, s14, v17
	v_and_b32_e32 v19, v26, v18
	v_and_b32_e32 v18, v27, v17
	v_mbcnt_lo_u32_b32 v17, v18, 0
	v_mbcnt_hi_u32_b32 v23, v19, v17
	v_cmp_eq_u32_e64 s[12:13], 0, v23
	v_cmp_ne_u64_e64 s[14:15], 0, v[18:19]
	v_add_lshl_u32 v25, v32, v24, 2
	s_and_b64 s[14:15], s[14:15], s[12:13]
	s_and_saveexec_b64 s[12:13], s[14:15]
	s_cbranch_execz .LBB121_15
; %bb.14:
	v_bcnt_u32_b32 v17, v18, 0
	v_bcnt_u32_b32 v17, v19, v17
	ds_write_b32 v25, v17 offset:64
.LBB121_15:
	s_or_b64 exec, exec, s[12:13]
	v_xor_b32_e32 v7, 0x80000000, v7
	v_lshrrev_b64 v[18:19], s48, v[6:7]
	v_and_b32_e32 v18, s33, v18
	v_lshl_add_u32 v17, v18, 4, v18
	v_add_lshl_u32 v26, v32, v17, 2
	v_and_b32_e32 v17, 1, v18
	v_add_co_u32_e64 v19, s[12:13], -1, v17
	v_addc_co_u32_e64 v27, s[12:13], 0, -1, s[12:13]
	v_cmp_ne_u32_e64 s[12:13], 0, v17
	v_xor_b32_e32 v17, s13, v27
	v_and_b32_e32 v27, exec_hi, v17
	v_lshlrev_b32_e32 v17, 30, v18
	v_xor_b32_e32 v19, s12, v19
	v_cmp_gt_i64_e64 s[12:13], 0, v[16:17]
	v_not_b32_e32 v17, v17
	v_ashrrev_i32_e32 v17, 31, v17
	v_and_b32_e32 v19, exec_lo, v19
	v_xor_b32_e32 v28, s13, v17
	v_xor_b32_e32 v17, s12, v17
	v_and_b32_e32 v19, v19, v17
	v_lshlrev_b32_e32 v17, 29, v18
	v_cmp_gt_i64_e64 s[12:13], 0, v[16:17]
	v_not_b32_e32 v17, v17
	v_ashrrev_i32_e32 v17, 31, v17
	v_and_b32_e32 v27, v27, v28
	v_xor_b32_e32 v28, s13, v17
	v_xor_b32_e32 v17, s12, v17
	v_and_b32_e32 v19, v19, v17
	v_lshlrev_b32_e32 v17, 28, v18
	v_cmp_gt_i64_e64 s[12:13], 0, v[16:17]
	v_not_b32_e32 v17, v17
	v_ashrrev_i32_e32 v17, 31, v17
	v_and_b32_e32 v27, v27, v28
	;; [unrolled: 8-line block ×5, first 2 shown]
	v_xor_b32_e32 v28, s13, v17
	v_xor_b32_e32 v17, s12, v17
	v_and_b32_e32 v19, v19, v17
	v_lshlrev_b32_e32 v17, 24, v18
	v_cmp_gt_i64_e64 s[12:13], 0, v[16:17]
	v_not_b32_e32 v16, v17
	v_ashrrev_i32_e32 v16, 31, v16
	v_xor_b32_e32 v17, s13, v16
	v_xor_b32_e32 v16, s12, v16
	; wave barrier
	ds_read_b32 v24, v26 offset:64
	v_and_b32_e32 v27, v27, v28
	v_and_b32_e32 v16, v19, v16
	;; [unrolled: 1-line block ×3, first 2 shown]
	v_mbcnt_lo_u32_b32 v18, v16, 0
	v_mbcnt_hi_u32_b32 v27, v17, v18
	v_cmp_eq_u32_e64 s[12:13], 0, v27
	v_cmp_ne_u64_e64 s[14:15], 0, v[16:17]
	s_and_b64 s[14:15], s[14:15], s[12:13]
	; wave barrier
	s_and_saveexec_b64 s[12:13], s[14:15]
	s_cbranch_execz .LBB121_17
; %bb.16:
	v_bcnt_u32_b32 v16, v16, 0
	v_bcnt_u32_b32 v16, v17, v16
	s_waitcnt lgkmcnt(0)
	v_add_u32_e32 v16, v24, v16
	ds_write_b32 v26, v16 offset:64
.LBB121_17:
	s_or_b64 exec, exec, s[12:13]
	v_xor_b32_e32 v9, 0x80000000, v9
	v_lshrrev_b64 v[16:17], s48, v[8:9]
	v_and_b32_e32 v18, s33, v16
	v_and_b32_e32 v17, 1, v18
	v_add_co_u32_e64 v19, s[12:13], -1, v17
	v_addc_co_u32_e64 v30, s[12:13], 0, -1, s[12:13]
	v_cmp_ne_u32_e64 s[12:13], 0, v17
	v_lshl_add_u32 v16, v18, 4, v18
	v_xor_b32_e32 v17, s13, v30
	v_add_lshl_u32 v29, v32, v16, 2
	v_mov_b32_e32 v16, 0
	v_and_b32_e32 v30, exec_hi, v17
	v_lshlrev_b32_e32 v17, 30, v18
	v_xor_b32_e32 v19, s12, v19
	v_cmp_gt_i64_e64 s[12:13], 0, v[16:17]
	v_not_b32_e32 v17, v17
	v_ashrrev_i32_e32 v17, 31, v17
	v_and_b32_e32 v19, exec_lo, v19
	v_xor_b32_e32 v31, s13, v17
	v_xor_b32_e32 v17, s12, v17
	v_and_b32_e32 v19, v19, v17
	v_lshlrev_b32_e32 v17, 29, v18
	v_cmp_gt_i64_e64 s[12:13], 0, v[16:17]
	v_not_b32_e32 v17, v17
	v_ashrrev_i32_e32 v17, 31, v17
	v_and_b32_e32 v30, v30, v31
	v_xor_b32_e32 v31, s13, v17
	v_xor_b32_e32 v17, s12, v17
	v_and_b32_e32 v19, v19, v17
	v_lshlrev_b32_e32 v17, 28, v18
	v_cmp_gt_i64_e64 s[12:13], 0, v[16:17]
	v_not_b32_e32 v17, v17
	v_ashrrev_i32_e32 v17, 31, v17
	v_and_b32_e32 v30, v30, v31
	;; [unrolled: 8-line block ×5, first 2 shown]
	v_xor_b32_e32 v31, s13, v17
	v_xor_b32_e32 v17, s12, v17
	v_and_b32_e32 v30, v30, v31
	v_and_b32_e32 v31, v19, v17
	v_lshlrev_b32_e32 v17, 24, v18
	v_cmp_gt_i64_e64 s[12:13], 0, v[16:17]
	v_not_b32_e32 v17, v17
	v_ashrrev_i32_e32 v17, 31, v17
	v_xor_b32_e32 v18, s13, v17
	v_xor_b32_e32 v17, s12, v17
	; wave barrier
	ds_read_b32 v28, v29 offset:64
	v_and_b32_e32 v19, v30, v18
	v_and_b32_e32 v18, v31, v17
	v_mbcnt_lo_u32_b32 v17, v18, 0
	v_mbcnt_hi_u32_b32 v30, v19, v17
	v_cmp_eq_u32_e64 s[12:13], 0, v30
	v_cmp_ne_u64_e64 s[14:15], 0, v[18:19]
	s_and_b64 s[14:15], s[14:15], s[12:13]
	; wave barrier
	s_and_saveexec_b64 s[12:13], s[14:15]
	s_cbranch_execz .LBB121_19
; %bb.18:
	v_bcnt_u32_b32 v17, v18, 0
	v_bcnt_u32_b32 v17, v19, v17
	s_waitcnt lgkmcnt(0)
	v_add_u32_e32 v17, v28, v17
	ds_write_b32 v29, v17 offset:64
.LBB121_19:
	s_or_b64 exec, exec, s[12:13]
	v_xor_b32_e32 v11, 0x80000000, v11
	v_lshrrev_b64 v[18:19], s48, v[10:11]
	v_and_b32_e32 v18, s33, v18
	v_lshl_add_u32 v17, v18, 4, v18
	v_add_lshl_u32 v33, v32, v17, 2
	v_and_b32_e32 v17, 1, v18
	v_add_co_u32_e64 v19, s[12:13], -1, v17
	v_addc_co_u32_e64 v34, s[12:13], 0, -1, s[12:13]
	v_cmp_ne_u32_e64 s[12:13], 0, v17
	v_xor_b32_e32 v17, s13, v34
	v_and_b32_e32 v34, exec_hi, v17
	v_lshlrev_b32_e32 v17, 30, v18
	v_xor_b32_e32 v19, s12, v19
	v_cmp_gt_i64_e64 s[12:13], 0, v[16:17]
	v_not_b32_e32 v17, v17
	v_ashrrev_i32_e32 v17, 31, v17
	v_and_b32_e32 v19, exec_lo, v19
	v_xor_b32_e32 v35, s13, v17
	v_xor_b32_e32 v17, s12, v17
	v_and_b32_e32 v19, v19, v17
	v_lshlrev_b32_e32 v17, 29, v18
	v_cmp_gt_i64_e64 s[12:13], 0, v[16:17]
	v_not_b32_e32 v17, v17
	v_ashrrev_i32_e32 v17, 31, v17
	v_and_b32_e32 v34, v34, v35
	v_xor_b32_e32 v35, s13, v17
	v_xor_b32_e32 v17, s12, v17
	v_and_b32_e32 v19, v19, v17
	v_lshlrev_b32_e32 v17, 28, v18
	v_cmp_gt_i64_e64 s[12:13], 0, v[16:17]
	v_not_b32_e32 v17, v17
	v_ashrrev_i32_e32 v17, 31, v17
	v_and_b32_e32 v34, v34, v35
	;; [unrolled: 8-line block ×5, first 2 shown]
	v_xor_b32_e32 v35, s13, v17
	v_xor_b32_e32 v17, s12, v17
	v_and_b32_e32 v19, v19, v17
	v_lshlrev_b32_e32 v17, 24, v18
	v_cmp_gt_i64_e64 s[12:13], 0, v[16:17]
	v_not_b32_e32 v16, v17
	v_ashrrev_i32_e32 v16, 31, v16
	v_xor_b32_e32 v17, s13, v16
	v_xor_b32_e32 v16, s12, v16
	; wave barrier
	ds_read_b32 v31, v33 offset:64
	v_and_b32_e32 v34, v34, v35
	v_and_b32_e32 v16, v19, v16
	;; [unrolled: 1-line block ×3, first 2 shown]
	v_mbcnt_lo_u32_b32 v18, v16, 0
	v_mbcnt_hi_u32_b32 v34, v17, v18
	v_cmp_eq_u32_e64 s[12:13], 0, v34
	v_cmp_ne_u64_e64 s[14:15], 0, v[16:17]
	s_and_b64 s[14:15], s[14:15], s[12:13]
	; wave barrier
	s_and_saveexec_b64 s[12:13], s[14:15]
	s_cbranch_execz .LBB121_21
; %bb.20:
	v_bcnt_u32_b32 v16, v16, 0
	v_bcnt_u32_b32 v16, v17, v16
	s_waitcnt lgkmcnt(0)
	v_add_u32_e32 v16, v31, v16
	ds_write_b32 v33, v16 offset:64
.LBB121_21:
	s_or_b64 exec, exec, s[12:13]
	v_xor_b32_e32 v13, 0x80000000, v13
	v_lshrrev_b64 v[16:17], s48, v[12:13]
	v_and_b32_e32 v18, s33, v16
	v_and_b32_e32 v17, 1, v18
	v_add_co_u32_e64 v19, s[12:13], -1, v17
	v_addc_co_u32_e64 v37, s[12:13], 0, -1, s[12:13]
	v_cmp_ne_u32_e64 s[12:13], 0, v17
	v_lshl_add_u32 v16, v18, 4, v18
	v_xor_b32_e32 v17, s13, v37
	v_add_lshl_u32 v36, v32, v16, 2
	v_mov_b32_e32 v16, 0
	v_and_b32_e32 v37, exec_hi, v17
	v_lshlrev_b32_e32 v17, 30, v18
	v_xor_b32_e32 v19, s12, v19
	v_cmp_gt_i64_e64 s[12:13], 0, v[16:17]
	v_not_b32_e32 v17, v17
	v_ashrrev_i32_e32 v17, 31, v17
	v_and_b32_e32 v19, exec_lo, v19
	v_xor_b32_e32 v38, s13, v17
	v_xor_b32_e32 v17, s12, v17
	v_and_b32_e32 v19, v19, v17
	v_lshlrev_b32_e32 v17, 29, v18
	v_cmp_gt_i64_e64 s[12:13], 0, v[16:17]
	v_not_b32_e32 v17, v17
	v_ashrrev_i32_e32 v17, 31, v17
	v_and_b32_e32 v37, v37, v38
	v_xor_b32_e32 v38, s13, v17
	v_xor_b32_e32 v17, s12, v17
	v_and_b32_e32 v19, v19, v17
	v_lshlrev_b32_e32 v17, 28, v18
	v_cmp_gt_i64_e64 s[12:13], 0, v[16:17]
	v_not_b32_e32 v17, v17
	v_ashrrev_i32_e32 v17, 31, v17
	v_and_b32_e32 v37, v37, v38
	;; [unrolled: 8-line block ×5, first 2 shown]
	v_xor_b32_e32 v38, s13, v17
	v_xor_b32_e32 v17, s12, v17
	v_and_b32_e32 v37, v37, v38
	v_and_b32_e32 v38, v19, v17
	v_lshlrev_b32_e32 v17, 24, v18
	v_cmp_gt_i64_e64 s[12:13], 0, v[16:17]
	v_not_b32_e32 v17, v17
	v_ashrrev_i32_e32 v17, 31, v17
	v_xor_b32_e32 v18, s13, v17
	v_xor_b32_e32 v17, s12, v17
	; wave barrier
	ds_read_b32 v35, v36 offset:64
	v_and_b32_e32 v19, v37, v18
	v_and_b32_e32 v18, v38, v17
	v_mbcnt_lo_u32_b32 v17, v18, 0
	v_mbcnt_hi_u32_b32 v37, v19, v17
	v_cmp_eq_u32_e64 s[12:13], 0, v37
	v_cmp_ne_u64_e64 s[14:15], 0, v[18:19]
	s_and_b64 s[14:15], s[14:15], s[12:13]
	; wave barrier
	s_and_saveexec_b64 s[12:13], s[14:15]
	s_cbranch_execz .LBB121_23
; %bb.22:
	v_bcnt_u32_b32 v17, v18, 0
	v_bcnt_u32_b32 v17, v19, v17
	s_waitcnt lgkmcnt(0)
	v_add_u32_e32 v17, v35, v17
	ds_write_b32 v36, v17 offset:64
.LBB121_23:
	s_or_b64 exec, exec, s[12:13]
	v_xor_b32_e32 v15, 0x80000000, v15
	v_lshrrev_b64 v[18:19], s48, v[14:15]
	v_and_b32_e32 v18, s33, v18
	v_lshl_add_u32 v17, v18, 4, v18
	v_add_lshl_u32 v39, v32, v17, 2
	v_and_b32_e32 v17, 1, v18
	v_add_co_u32_e64 v19, s[12:13], -1, v17
	v_addc_co_u32_e64 v40, s[12:13], 0, -1, s[12:13]
	v_cmp_ne_u32_e64 s[12:13], 0, v17
	v_xor_b32_e32 v17, s13, v40
	v_and_b32_e32 v40, exec_hi, v17
	v_lshlrev_b32_e32 v17, 30, v18
	v_xor_b32_e32 v19, s12, v19
	v_cmp_gt_i64_e64 s[12:13], 0, v[16:17]
	v_not_b32_e32 v17, v17
	v_ashrrev_i32_e32 v17, 31, v17
	v_and_b32_e32 v19, exec_lo, v19
	v_xor_b32_e32 v41, s13, v17
	v_xor_b32_e32 v17, s12, v17
	v_and_b32_e32 v19, v19, v17
	v_lshlrev_b32_e32 v17, 29, v18
	v_cmp_gt_i64_e64 s[12:13], 0, v[16:17]
	v_not_b32_e32 v17, v17
	v_ashrrev_i32_e32 v17, 31, v17
	v_and_b32_e32 v40, v40, v41
	v_xor_b32_e32 v41, s13, v17
	v_xor_b32_e32 v17, s12, v17
	v_and_b32_e32 v19, v19, v17
	v_lshlrev_b32_e32 v17, 28, v18
	v_cmp_gt_i64_e64 s[12:13], 0, v[16:17]
	v_not_b32_e32 v17, v17
	v_ashrrev_i32_e32 v17, 31, v17
	v_and_b32_e32 v40, v40, v41
	;; [unrolled: 8-line block ×5, first 2 shown]
	v_xor_b32_e32 v41, s13, v17
	v_xor_b32_e32 v17, s12, v17
	v_and_b32_e32 v19, v19, v17
	v_lshlrev_b32_e32 v17, 24, v18
	v_cmp_gt_i64_e64 s[12:13], 0, v[16:17]
	v_not_b32_e32 v16, v17
	v_ashrrev_i32_e32 v16, 31, v16
	v_xor_b32_e32 v17, s13, v16
	v_xor_b32_e32 v16, s12, v16
	; wave barrier
	ds_read_b32 v32, v39 offset:64
	v_and_b32_e32 v40, v40, v41
	v_and_b32_e32 v16, v19, v16
	;; [unrolled: 1-line block ×3, first 2 shown]
	v_mbcnt_lo_u32_b32 v18, v16, 0
	v_mbcnt_hi_u32_b32 v40, v17, v18
	v_cmp_eq_u32_e64 s[12:13], 0, v40
	v_cmp_ne_u64_e64 s[14:15], 0, v[16:17]
	v_add_u32_e32 v38, 64, v22
	s_and_b64 s[14:15], s[14:15], s[12:13]
	; wave barrier
	s_and_saveexec_b64 s[12:13], s[14:15]
	s_cbranch_execz .LBB121_25
; %bb.24:
	v_bcnt_u32_b32 v16, v16, 0
	v_bcnt_u32_b32 v16, v17, v16
	s_waitcnt lgkmcnt(0)
	v_add_u32_e32 v16, v32, v16
	ds_write_b32 v39, v16 offset:64
.LBB121_25:
	s_or_b64 exec, exec, s[12:13]
	; wave barrier
	s_waitcnt lgkmcnt(0)
	s_barrier
	ds_read2_b32 v[18:19], v22 offset0:16 offset1:17
	ds_read2_b32 v[16:17], v38 offset0:2 offset1:3
	ds_read_b32 v41, v38 offset:16
	v_cmp_lt_u32_e64 s[20:21], 31, v21
	s_waitcnt lgkmcnt(1)
	v_add3_u32 v42, v19, v18, v16
	s_waitcnt lgkmcnt(0)
	v_add3_u32 v41, v42, v17, v41
	v_and_b32_e32 v42, 15, v21
	v_cmp_eq_u32_e64 s[12:13], 0, v42
	v_mov_b32_dpp v43, v41 row_shr:1 row_mask:0xf bank_mask:0xf
	v_cndmask_b32_e64 v43, v43, 0, s[12:13]
	v_add_u32_e32 v41, v43, v41
	v_cmp_lt_u32_e64 s[14:15], 1, v42
	v_cmp_lt_u32_e64 s[16:17], 3, v42
	v_mov_b32_dpp v43, v41 row_shr:2 row_mask:0xf bank_mask:0xf
	v_cndmask_b32_e64 v43, 0, v43, s[14:15]
	v_add_u32_e32 v41, v41, v43
	v_cmp_lt_u32_e64 s[18:19], 7, v42
	s_nop 0
	v_mov_b32_dpp v43, v41 row_shr:4 row_mask:0xf bank_mask:0xf
	v_cndmask_b32_e64 v43, 0, v43, s[16:17]
	v_add_u32_e32 v41, v41, v43
	s_nop 1
	v_mov_b32_dpp v43, v41 row_shr:8 row_mask:0xf bank_mask:0xf
	v_cndmask_b32_e64 v42, 0, v43, s[18:19]
	v_add_u32_e32 v41, v41, v42
	v_bfe_i32 v43, v21, 4, 1
	s_nop 0
	v_mov_b32_dpp v42, v41 row_bcast:15 row_mask:0xf bank_mask:0xf
	v_and_b32_e32 v42, v43, v42
	v_add_u32_e32 v41, v41, v42
	v_and_b32_e32 v43, 63, v2
	s_nop 0
	v_mov_b32_dpp v42, v41 row_bcast:31 row_mask:0xf bank_mask:0xf
	v_cndmask_b32_e64 v42, 0, v42, s[20:21]
	v_add_u32_e32 v41, v41, v42
	v_lshrrev_b32_e32 v42, 6, v2
	v_cmp_eq_u32_e64 s[20:21], 63, v43
	s_and_saveexec_b64 s[22:23], s[20:21]
	s_cbranch_execz .LBB121_27
; %bb.26:
	v_lshlrev_b32_e32 v43, 2, v42
	ds_write_b32 v43, v41
.LBB121_27:
	s_or_b64 exec, exec, s[22:23]
	v_cmp_gt_u32_e64 s[20:21], 16, v2
	s_waitcnt lgkmcnt(0)
	s_barrier
	s_and_saveexec_b64 s[22:23], s[20:21]
	s_cbranch_execz .LBB121_29
; %bb.28:
	v_lshlrev_b32_e32 v43, 2, v2
	ds_read_b32 v44, v43
	s_waitcnt lgkmcnt(0)
	s_nop 0
	v_mov_b32_dpp v45, v44 row_shr:1 row_mask:0xf bank_mask:0xf
	v_cndmask_b32_e64 v45, v45, 0, s[12:13]
	v_add_u32_e32 v44, v45, v44
	s_nop 1
	v_mov_b32_dpp v45, v44 row_shr:2 row_mask:0xf bank_mask:0xf
	v_cndmask_b32_e64 v45, 0, v45, s[14:15]
	v_add_u32_e32 v44, v44, v45
	;; [unrolled: 4-line block ×4, first 2 shown]
	ds_write_b32 v43, v44
.LBB121_29:
	s_or_b64 exec, exec, s[22:23]
	v_cmp_lt_u32_e64 s[12:13], 63, v2
	v_mov_b32_e32 v43, 0
	s_waitcnt lgkmcnt(0)
	s_barrier
	s_and_saveexec_b64 s[14:15], s[12:13]
	s_cbranch_execz .LBB121_31
; %bb.30:
	v_lshl_add_u32 v42, v42, 2, -4
	ds_read_b32 v43, v42
.LBB121_31:
	s_or_b64 exec, exec, s[14:15]
	v_add_u32_e32 v42, -1, v21
	v_and_b32_e32 v44, 64, v21
	v_cmp_lt_i32_e64 s[12:13], v42, v44
	v_cndmask_b32_e64 v42, v42, v21, s[12:13]
	s_waitcnt lgkmcnt(0)
	v_add_u32_e32 v41, v43, v41
	v_lshlrev_b32_e32 v42, 2, v42
	ds_bpermute_b32 v41, v42, v41
	v_cmp_eq_u32_e64 s[12:13], 0, v21
	s_waitcnt lgkmcnt(0)
	v_cndmask_b32_e64 v21, v41, v43, s[12:13]
	v_cmp_ne_u32_e64 s[12:13], 0, v2
	v_cndmask_b32_e64 v21, 0, v21, s[12:13]
	v_add_u32_e32 v18, v21, v18
	v_add_u32_e32 v19, v18, v19
	;; [unrolled: 1-line block ×4, first 2 shown]
	ds_write2_b32 v22, v21, v18 offset0:16 offset1:17
	ds_write2_b32 v38, v19, v16 offset0:2 offset1:3
	ds_write_b32 v38, v17 offset:16
	s_waitcnt lgkmcnt(0)
	s_barrier
	ds_read_b32 v22, v25 offset:64
	ds_read_b32 v38, v26 offset:64
	;; [unrolled: 1-line block ×6, first 2 shown]
	s_movk_i32 s12, 0x100
	v_cmp_gt_u32_e64 s[12:13], s12, v2
	v_pk_mov_b32 v[16:17], 0, 0
                                        ; implicit-def: $vgpr21
	s_and_saveexec_b64 s[16:17], s[12:13]
	s_cbranch_execz .LBB121_35
; %bb.32:
	v_mul_u32_u24_e32 v16, 17, v2
	v_lshlrev_b32_e32 v21, 2, v16
	ds_read_b32 v16, v21 offset:64
	s_movk_i32 s14, 0xff
	v_cmp_ne_u32_e64 s[14:15], s14, v2
	v_mov_b32_e32 v17, 0x1800
	s_and_saveexec_b64 s[18:19], s[14:15]
	s_cbranch_execz .LBB121_34
; %bb.33:
	ds_read_b32 v17, v21 offset:132
.LBB121_34:
	s_or_b64 exec, exec, s[18:19]
	s_waitcnt lgkmcnt(0)
	v_sub_u32_e32 v21, v17, v16
	v_mov_b32_e32 v17, 0
.LBB121_35:
	s_or_b64 exec, exec, s[16:17]
	v_add_u32_e32 v29, v40, v32
	v_add_u32_e32 v32, v37, v35
	;; [unrolled: 1-line block ×5, first 2 shown]
	s_waitcnt lgkmcnt(5)
	v_add_lshl_u32 v22, v22, v23, 3
	s_waitcnt lgkmcnt(4)
	v_add_lshl_u32 v23, v24, v38, 3
	s_waitcnt lgkmcnt(3)
	v_add_lshl_u32 v24, v28, v26, 3
	s_waitcnt lgkmcnt(2)
	v_add_lshl_u32 v25, v31, v25, 3
	s_waitcnt lgkmcnt(1)
	v_add_lshl_u32 v26, v32, v19, 3
	s_waitcnt lgkmcnt(0)
	v_add_lshl_u32 v27, v29, v18, 3
	s_barrier
	ds_write_b64 v22, v[4:5] offset:2048
	ds_write_b64 v23, v[6:7] offset:2048
	;; [unrolled: 1-line block ×6, first 2 shown]
	s_waitcnt lgkmcnt(0)
	s_barrier
	s_and_saveexec_b64 s[16:17], s[12:13]
	s_cbranch_execz .LBB121_45
; %bb.36:
	v_lshl_or_b32 v4, s6, 8, v2
	v_mov_b32_e32 v5, 0
	v_lshlrev_b64 v[6:7], 2, v[4:5]
	v_mov_b32_e32 v10, s31
	v_add_co_u32_e64 v6, s[14:15], s30, v6
	v_addc_co_u32_e64 v7, s[14:15], v10, v7, s[14:15]
	v_or_b32_e32 v4, 2.0, v21
	s_mov_b64 s[18:19], 0
	s_brev_b32 s24, 1
	s_mov_b32 s25, s6
	v_mov_b32_e32 v11, 0
	global_store_dword v[6:7], v4, off
                                        ; implicit-def: $sgpr14_sgpr15
	s_branch .LBB121_38
.LBB121_37:                             ;   in Loop: Header=BB121_38 Depth=1
	s_or_b64 exec, exec, s[20:21]
	v_and_b32_e32 v8, 0x3fffffff, v12
	v_add_u32_e32 v11, v8, v11
	v_cmp_eq_u32_e64 s[14:15], s24, v4
	s_and_b64 s[20:21], exec, s[14:15]
	s_or_b64 s[18:19], s[20:21], s[18:19]
	s_andn2_b64 exec, exec, s[18:19]
	s_cbranch_execz .LBB121_44
.LBB121_38:                             ; =>This Loop Header: Depth=1
                                        ;     Child Loop BB121_41 Depth 2
	s_or_b64 s[14:15], s[14:15], exec
	s_cmp_eq_u32 s25, 0
	s_cbranch_scc1 .LBB121_43
; %bb.39:                               ;   in Loop: Header=BB121_38 Depth=1
	s_add_i32 s25, s25, -1
	v_lshl_or_b32 v4, s25, 8, v2
	v_lshlrev_b64 v[8:9], 2, v[4:5]
	v_add_co_u32_e64 v8, s[14:15], s30, v8
	v_addc_co_u32_e64 v9, s[14:15], v10, v9, s[14:15]
	global_load_dword v12, v[8:9], off glc
	s_waitcnt vmcnt(0)
	v_and_b32_e32 v4, -2.0, v12
	v_cmp_eq_u32_e64 s[14:15], 0, v4
	s_and_saveexec_b64 s[20:21], s[14:15]
	s_cbranch_execz .LBB121_37
; %bb.40:                               ;   in Loop: Header=BB121_38 Depth=1
	s_mov_b64 s[22:23], 0
.LBB121_41:                             ;   Parent Loop BB121_38 Depth=1
                                        ; =>  This Inner Loop Header: Depth=2
	global_load_dword v12, v[8:9], off glc
	s_waitcnt vmcnt(0)
	v_and_b32_e32 v4, -2.0, v12
	v_cmp_ne_u32_e64 s[14:15], 0, v4
	s_or_b64 s[22:23], s[14:15], s[22:23]
	s_andn2_b64 exec, exec, s[22:23]
	s_cbranch_execnz .LBB121_41
; %bb.42:                               ;   in Loop: Header=BB121_38 Depth=1
	s_or_b64 exec, exec, s[22:23]
	s_branch .LBB121_37
.LBB121_43:                             ;   in Loop: Header=BB121_38 Depth=1
                                        ; implicit-def: $sgpr25
	s_and_b64 s[20:21], exec, s[14:15]
	s_or_b64 s[18:19], s[20:21], s[18:19]
	s_andn2_b64 exec, exec, s[18:19]
	s_cbranch_execnz .LBB121_38
.LBB121_44:
	s_or_b64 exec, exec, s[18:19]
	v_add_u32_e32 v4, v11, v21
	v_or_b32_e32 v4, 0x80000000, v4
	global_store_dword v[6:7], v4, off
	v_lshlrev_b32_e32 v6, 3, v2
	global_load_dwordx2 v[4:5], v6, s[44:45]
	v_sub_co_u32_e64 v7, s[14:15], v11, v16
	v_subb_co_u32_e64 v8, s[14:15], 0, v17, s[14:15]
	s_waitcnt vmcnt(0)
	v_add_co_u32_e64 v4, s[14:15], v7, v4
	v_addc_co_u32_e64 v5, s[14:15], v8, v5, s[14:15]
	ds_write_b64 v6, v[4:5]
.LBB121_45:
	s_or_b64 exec, exec, s[16:17]
	v_cmp_gt_u32_e64 s[14:15], s35, v2
	v_lshlrev_b32_e32 v28, 3, v2
	s_waitcnt lgkmcnt(0)
	s_barrier
	s_and_saveexec_b64 s[18:19], s[14:15]
	s_cbranch_execz .LBB121_47
; %bb.46:
	ds_read_b64 v[4:5], v28 offset:2048
	v_mov_b32_e32 v8, s39
	s_waitcnt lgkmcnt(0)
	v_lshrrev_b64 v[6:7], s48, v[4:5]
	v_and_b32_e32 v6, s33, v6
	v_lshlrev_b32_e32 v6, 3, v6
	ds_read_b64 v[6:7], v6
	v_xor_b32_e32 v5, 0x80000000, v5
	s_waitcnt lgkmcnt(0)
	v_lshlrev_b64 v[6:7], 3, v[6:7]
	v_add_co_u32_e64 v6, s[16:17], s38, v6
	v_addc_co_u32_e64 v7, s[16:17], v8, v7, s[16:17]
	v_add_co_u32_e64 v6, s[16:17], v6, v28
	v_addc_co_u32_e64 v7, s[16:17], 0, v7, s[16:17]
	global_store_dwordx2 v[6:7], v[4:5], off
.LBB121_47:
	s_or_b64 exec, exec, s[18:19]
	v_or_b32_e32 v4, 0x400, v2
	v_cmp_gt_u32_e64 s[16:17], s35, v4
	v_lshlrev_b32_e32 v29, 3, v4
	s_and_saveexec_b64 s[20:21], s[16:17]
	s_cbranch_execz .LBB121_49
; %bb.48:
	ds_read_b64 v[4:5], v28 offset:10240
	v_mov_b32_e32 v8, s39
	s_waitcnt lgkmcnt(0)
	v_lshrrev_b64 v[6:7], s48, v[4:5]
	v_and_b32_e32 v6, s33, v6
	v_lshlrev_b32_e32 v6, 3, v6
	ds_read_b64 v[6:7], v6
	v_xor_b32_e32 v5, 0x80000000, v5
	s_waitcnt lgkmcnt(0)
	v_lshlrev_b64 v[6:7], 3, v[6:7]
	v_add_co_u32_e64 v6, s[18:19], s38, v6
	v_addc_co_u32_e64 v7, s[18:19], v8, v7, s[18:19]
	v_add_co_u32_e64 v6, s[18:19], v6, v29
	v_addc_co_u32_e64 v7, s[18:19], 0, v7, s[18:19]
	global_store_dwordx2 v[6:7], v[4:5], off
.LBB121_49:
	s_or_b64 exec, exec, s[20:21]
	v_or_b32_e32 v4, 0x800, v2
	v_cmp_gt_u32_e64 s[18:19], s35, v4
	v_lshlrev_b32_e32 v30, 3, v4
	;; [unrolled: 23-line block ×5, first 2 shown]
	s_and_saveexec_b64 s[52:53], s[24:25]
	s_cbranch_execz .LBB121_57
; %bb.56:
	ds_read_b64 v[4:5], v28 offset:43008
	v_mov_b32_e32 v8, s39
	s_waitcnt lgkmcnt(0)
	v_lshrrev_b64 v[6:7], s48, v[4:5]
	v_and_b32_e32 v6, s33, v6
	v_lshlrev_b32_e32 v6, 3, v6
	ds_read_b64 v[6:7], v6
	v_xor_b32_e32 v5, 0x80000000, v5
	s_waitcnt lgkmcnt(0)
	v_lshlrev_b64 v[6:7], 3, v[6:7]
	v_add_co_u32_e64 v6, s[28:29], s38, v6
	v_addc_co_u32_e64 v7, s[28:29], v8, v7, s[28:29]
	v_add_co_u32_e64 v6, s[28:29], v6, v33
	v_addc_co_u32_e64 v7, s[28:29], 0, v7, s[28:29]
	global_store_dwordx2 v[6:7], v[4:5], off
.LBB121_57:
	s_or_b64 exec, exec, s[52:53]
	s_add_u32 s28, s40, s50
	s_addc_u32 s29, s41, s51
	v_mov_b32_e32 v4, s29
	v_add_co_u32_e64 v3, s[28:29], s28, v3
	v_addc_co_u32_e64 v4, s[28:29], 0, v4, s[28:29]
	v_add_co_u32_e64 v18, s[28:29], v3, v20
	v_addc_co_u32_e64 v19, s[28:29], 0, v4, s[28:29]
                                        ; implicit-def: $vgpr4_vgpr5
	s_and_saveexec_b64 s[28:29], vcc
	s_xor_b64 s[28:29], exec, s[28:29]
	s_cbranch_execnz .LBB121_127
; %bb.58:
	s_or_b64 exec, exec, s[28:29]
                                        ; implicit-def: $vgpr6_vgpr7
	s_and_saveexec_b64 s[28:29], s[0:1]
	s_cbranch_execnz .LBB121_128
.LBB121_59:
	s_or_b64 exec, exec, s[28:29]
                                        ; implicit-def: $vgpr8_vgpr9
	s_and_saveexec_b64 s[0:1], s[2:3]
	s_cbranch_execnz .LBB121_129
.LBB121_60:
	s_or_b64 exec, exec, s[0:1]
                                        ; implicit-def: $vgpr10_vgpr11
	s_and_saveexec_b64 s[0:1], s[26:27]
	s_cbranch_execnz .LBB121_130
.LBB121_61:
	s_or_b64 exec, exec, s[0:1]
                                        ; implicit-def: $vgpr12_vgpr13
	s_and_saveexec_b64 s[0:1], s[8:9]
	s_cbranch_execnz .LBB121_131
.LBB121_62:
	s_or_b64 exec, exec, s[0:1]
                                        ; implicit-def: $vgpr14_vgpr15
	s_and_saveexec_b64 s[0:1], s[10:11]
	s_cbranch_execz .LBB121_64
.LBB121_63:
	global_load_dwordx2 v[14:15], v[18:19], off offset:2560
.LBB121_64:
	s_or_b64 exec, exec, s[0:1]
	v_mov_b32_e32 v20, 0
	v_mov_b32_e32 v35, 0
	s_and_saveexec_b64 s[0:1], s[14:15]
	s_cbranch_execz .LBB121_66
; %bb.65:
	ds_read_b64 v[18:19], v28 offset:2048
	s_waitcnt lgkmcnt(0)
	v_lshrrev_b64 v[18:19], s48, v[18:19]
	v_and_b32_e32 v35, s33, v18
.LBB121_66:
	s_or_b64 exec, exec, s[0:1]
	s_and_saveexec_b64 s[0:1], s[16:17]
	s_cbranch_execz .LBB121_68
; %bb.67:
	ds_read_b64 v[18:19], v28 offset:10240
	s_waitcnt lgkmcnt(0)
	v_lshrrev_b64 v[18:19], s48, v[18:19]
	v_and_b32_e32 v20, s33, v18
.LBB121_68:
	s_or_b64 exec, exec, s[0:1]
	v_mov_b32_e32 v18, 0
	v_mov_b32_e32 v34, 0
	s_and_saveexec_b64 s[0:1], s[18:19]
	s_cbranch_execz .LBB121_70
; %bb.69:
	ds_read_b64 v[36:37], v28 offset:18432
	s_waitcnt lgkmcnt(0)
	v_lshrrev_b64 v[36:37], s48, v[36:37]
	v_and_b32_e32 v34, s33, v36
.LBB121_70:
	s_or_b64 exec, exec, s[0:1]
	s_and_saveexec_b64 s[0:1], s[20:21]
	s_cbranch_execz .LBB121_72
; %bb.71:
	ds_read_b64 v[18:19], v28 offset:26624
	s_waitcnt lgkmcnt(0)
	v_lshrrev_b64 v[18:19], s48, v[18:19]
	v_and_b32_e32 v18, s33, v18
.LBB121_72:
	;; [unrolled: 20-line block ×3, first 2 shown]
	s_or_b64 exec, exec, s[0:1]
	s_barrier
	s_waitcnt vmcnt(0)
	ds_write_b64 v22, v[4:5] offset:2048
	ds_write_b64 v23, v[6:7] offset:2048
	;; [unrolled: 1-line block ×6, first 2 shown]
	s_waitcnt lgkmcnt(0)
	s_barrier
	s_and_saveexec_b64 s[0:1], s[14:15]
	s_cbranch_execnz .LBB121_132
; %bb.77:
	s_or_b64 exec, exec, s[0:1]
	s_and_saveexec_b64 s[0:1], s[16:17]
	s_cbranch_execnz .LBB121_133
.LBB121_78:
	s_or_b64 exec, exec, s[0:1]
	s_and_saveexec_b64 s[0:1], s[18:19]
	s_cbranch_execnz .LBB121_134
.LBB121_79:
	s_or_b64 exec, exec, s[0:1]
	s_and_saveexec_b64 s[0:1], s[20:21]
	s_cbranch_execnz .LBB121_135
.LBB121_80:
	s_or_b64 exec, exec, s[0:1]
	s_and_saveexec_b64 s[0:1], s[22:23]
	s_cbranch_execnz .LBB121_136
.LBB121_81:
	s_or_b64 exec, exec, s[0:1]
	s_and_saveexec_b64 s[0:1], s[24:25]
	s_cbranch_execz .LBB121_83
.LBB121_82:
	v_lshlrev_b32_e32 v3, 3, v3
	ds_read_b64 v[4:5], v3
	ds_read_b64 v[6:7], v28 offset:43008
	v_mov_b32_e32 v3, s43
	s_waitcnt lgkmcnt(1)
	v_lshlrev_b64 v[4:5], 3, v[4:5]
	v_add_co_u32_e32 v4, vcc, s42, v4
	v_addc_co_u32_e32 v3, vcc, v3, v5, vcc
	v_add_co_u32_e32 v4, vcc, v4, v33
	v_addc_co_u32_e32 v5, vcc, 0, v3, vcc
	s_waitcnt lgkmcnt(0)
	global_store_dwordx2 v[4:5], v[6:7], off
.LBB121_83:
	s_or_b64 exec, exec, s[0:1]
	s_add_i32 s7, s7, -1
	s_cmp_eq_u32 s6, s7
	s_cselect_b64 s[0:1], -1, 0
	s_and_b64 s[2:3], s[12:13], s[0:1]
	s_mov_b64 s[0:1], 0
	s_mov_b64 s[10:11], 0
                                        ; implicit-def: $vgpr4_vgpr5
	s_and_saveexec_b64 s[8:9], s[2:3]
	s_xor_b64 s[2:3], exec, s[8:9]
; %bb.84:
	v_add_co_u32_e32 v4, vcc, v16, v21
	s_mov_b64 s[10:11], exec
	v_mov_b32_e32 v3, 0
	v_addc_co_u32_e32 v5, vcc, 0, v17, vcc
; %bb.85:
	s_or_b64 exec, exec, s[2:3]
	s_and_b64 vcc, exec, s[0:1]
	s_cbranch_vccnz .LBB121_87
	s_branch .LBB121_124
.LBB121_86:
	s_mov_b64 s[10:11], 0
                                        ; implicit-def: $vgpr4_vgpr5
                                        ; implicit-def: $vgpr2_vgpr3
	s_cbranch_execz .LBB121_124
.LBB121_87:
	s_mov_b32 s35, 0
	s_lshl_b64 s[12:13], s[34:35], 3
	v_mbcnt_hi_u32_b32 v3, -1, v1
	s_add_u32 s0, s36, s12
	v_lshlrev_b32_e32 v18, 3, v3
	v_add_co_u32_e32 v5, vcc, s0, v18
	s_load_dword s7, s[4:5], 0x50
	s_load_dword s0, s[4:5], 0x5c
	v_and_b32_e32 v2, 0x3ff, v0
	s_addc_u32 s1, s37, s13
	v_and_b32_e32 v1, 0x3c0, v2
	v_mul_u32_u24_e32 v1, 6, v1
	v_mov_b32_e32 v4, s1
	v_addc_co_u32_e32 v4, vcc, 0, v4, vcc
	v_lshlrev_b32_e32 v19, 3, v1
	s_add_u32 s1, s4, 0x50
	v_add_co_u32_e32 v16, vcc, v5, v19
	s_addc_u32 s2, s5, 0
	s_waitcnt lgkmcnt(0)
	s_lshr_b32 s3, s0, 16
	v_addc_co_u32_e32 v17, vcc, 0, v4, vcc
	s_cmp_lt_u32 s6, s7
	global_load_dwordx2 v[4:5], v[16:17], off
	s_cselect_b32 s0, 12, 18
	s_add_u32 s0, s1, s0
	v_mov_b32_e32 v14, 0
	s_addc_u32 s1, s2, 0
	global_load_ushort v15, v14, s[0:1]
	v_mul_u32_u24_e32 v6, 5, v2
	v_lshlrev_b32_e32 v20, 2, v6
	v_bfe_u32 v1, v0, 10, 10
	v_bfe_u32 v0, v0, 20, 10
	ds_write2_b32 v20, v14, v14 offset0:16 offset1:17
	ds_write2_b32 v20, v14, v14 offset0:18 offset1:19
	ds_write_b32 v20, v14 offset:80
	v_mad_u32_u24 v21, v0, s3, v1
	global_load_dwordx2 v[12:13], v[16:17], off offset:512
	global_load_dwordx2 v[10:11], v[16:17], off offset:1024
	;; [unrolled: 1-line block ×5, first 2 shown]
	s_lshl_b32 s0, -1, s49
	s_not_b32 s16, s0
	s_waitcnt lgkmcnt(0)
	s_barrier
	s_waitcnt lgkmcnt(0)
	; wave barrier
	s_waitcnt vmcnt(6)
	v_xor_b32_e32 v5, 0x80000000, v5
	v_lshrrev_b64 v[16:17], s48, v[4:5]
	v_and_b32_e32 v22, s16, v16
	s_waitcnt vmcnt(5)
	v_mad_u64_u32 v[16:17], s[0:1], v21, v15, v[2:3]
	v_and_b32_e32 v21, 1, v22
	v_lshrrev_b32_e32 v27, 6, v16
	v_add_co_u32_e32 v16, vcc, -1, v21
	v_lshlrev_b32_e32 v15, 30, v22
	v_addc_co_u32_e64 v23, s[0:1], 0, -1, vcc
	v_lshl_add_u32 v17, v22, 4, v22
	v_cmp_ne_u32_e32 vcc, 0, v21
	v_cmp_gt_i64_e64 s[0:1], 0, v[14:15]
	v_not_b32_e32 v24, v15
	v_lshlrev_b32_e32 v15, 29, v22
	v_add_lshl_u32 v21, v27, v17, 2
	v_xor_b32_e32 v17, vcc_hi, v23
	v_xor_b32_e32 v16, vcc_lo, v16
	v_ashrrev_i32_e32 v23, 31, v24
	v_cmp_gt_i64_e32 vcc, 0, v[14:15]
	v_not_b32_e32 v24, v15
	v_lshlrev_b32_e32 v15, 28, v22
	v_and_b32_e32 v17, exec_hi, v17
	v_and_b32_e32 v16, exec_lo, v16
	v_xor_b32_e32 v25, s1, v23
	v_xor_b32_e32 v23, s0, v23
	v_ashrrev_i32_e32 v24, 31, v24
	v_cmp_gt_i64_e64 s[0:1], 0, v[14:15]
	v_not_b32_e32 v26, v15
	v_lshlrev_b32_e32 v15, 27, v22
	v_and_b32_e32 v17, v17, v25
	v_and_b32_e32 v16, v16, v23
	v_xor_b32_e32 v23, vcc_hi, v24
	v_xor_b32_e32 v24, vcc_lo, v24
	v_ashrrev_i32_e32 v25, 31, v26
	v_cmp_gt_i64_e32 vcc, 0, v[14:15]
	v_not_b32_e32 v15, v15
	v_and_b32_e32 v17, v17, v23
	v_and_b32_e32 v16, v16, v24
	v_xor_b32_e32 v23, s1, v25
	v_xor_b32_e32 v24, s0, v25
	v_ashrrev_i32_e32 v15, 31, v15
	v_and_b32_e32 v17, v17, v23
	v_and_b32_e32 v16, v16, v24
	v_xor_b32_e32 v23, vcc_hi, v15
	v_xor_b32_e32 v15, vcc_lo, v15
	v_and_b32_e32 v16, v16, v15
	v_lshlrev_b32_e32 v15, 26, v22
	v_cmp_gt_i64_e32 vcc, 0, v[14:15]
	v_not_b32_e32 v15, v15
	v_ashrrev_i32_e32 v15, 31, v15
	v_and_b32_e32 v17, v17, v23
	v_xor_b32_e32 v23, vcc_hi, v15
	v_xor_b32_e32 v15, vcc_lo, v15
	v_and_b32_e32 v16, v16, v15
	v_lshlrev_b32_e32 v15, 25, v22
	v_cmp_gt_i64_e32 vcc, 0, v[14:15]
	v_not_b32_e32 v15, v15
	v_ashrrev_i32_e32 v15, 31, v15
	;; [unrolled: 8-line block ×3, first 2 shown]
	v_xor_b32_e32 v22, vcc_hi, v15
	v_xor_b32_e32 v15, vcc_lo, v15
	v_and_b32_e32 v17, v17, v23
	v_and_b32_e32 v16, v16, v15
	;; [unrolled: 1-line block ×3, first 2 shown]
	v_mbcnt_lo_u32_b32 v15, v16, 0
	v_mbcnt_hi_u32_b32 v22, v17, v15
	v_cmp_eq_u32_e32 vcc, 0, v22
	v_cmp_ne_u64_e64 s[0:1], 0, v[16:17]
	s_and_b64 s[2:3], s[0:1], vcc
	s_and_saveexec_b64 s[0:1], s[2:3]
	s_cbranch_execz .LBB121_89
; %bb.88:
	v_bcnt_u32_b32 v15, v16, 0
	v_bcnt_u32_b32 v15, v17, v15
	ds_write_b32 v21, v15 offset:64
.LBB121_89:
	s_or_b64 exec, exec, s[0:1]
	s_waitcnt vmcnt(4)
	v_xor_b32_e32 v13, 0x80000000, v13
	v_lshrrev_b64 v[16:17], s48, v[12:13]
	v_and_b32_e32 v16, s16, v16
	v_lshl_add_u32 v15, v16, 4, v16
	v_add_lshl_u32 v24, v27, v15, 2
	v_and_b32_e32 v15, 1, v16
	v_add_co_u32_e32 v17, vcc, -1, v15
	v_addc_co_u32_e64 v25, s[0:1], 0, -1, vcc
	v_cmp_ne_u32_e32 vcc, 0, v15
	v_xor_b32_e32 v15, vcc_hi, v25
	v_and_b32_e32 v25, exec_hi, v15
	v_lshlrev_b32_e32 v15, 30, v16
	v_xor_b32_e32 v17, vcc_lo, v17
	v_cmp_gt_i64_e32 vcc, 0, v[14:15]
	v_not_b32_e32 v15, v15
	v_ashrrev_i32_e32 v15, 31, v15
	v_and_b32_e32 v17, exec_lo, v17
	v_xor_b32_e32 v26, vcc_hi, v15
	v_xor_b32_e32 v15, vcc_lo, v15
	v_and_b32_e32 v17, v17, v15
	v_lshlrev_b32_e32 v15, 29, v16
	v_cmp_gt_i64_e32 vcc, 0, v[14:15]
	v_not_b32_e32 v15, v15
	v_ashrrev_i32_e32 v15, 31, v15
	v_and_b32_e32 v25, v25, v26
	v_xor_b32_e32 v26, vcc_hi, v15
	v_xor_b32_e32 v15, vcc_lo, v15
	v_and_b32_e32 v17, v17, v15
	v_lshlrev_b32_e32 v15, 28, v16
	v_cmp_gt_i64_e32 vcc, 0, v[14:15]
	v_not_b32_e32 v15, v15
	v_ashrrev_i32_e32 v15, 31, v15
	v_and_b32_e32 v25, v25, v26
	;; [unrolled: 8-line block ×5, first 2 shown]
	v_xor_b32_e32 v26, vcc_hi, v15
	v_xor_b32_e32 v15, vcc_lo, v15
	v_and_b32_e32 v17, v17, v15
	v_lshlrev_b32_e32 v15, 24, v16
	v_cmp_gt_i64_e32 vcc, 0, v[14:15]
	v_not_b32_e32 v14, v15
	v_ashrrev_i32_e32 v14, 31, v14
	v_xor_b32_e32 v15, vcc_hi, v14
	v_xor_b32_e32 v14, vcc_lo, v14
	; wave barrier
	ds_read_b32 v23, v24 offset:64
	v_and_b32_e32 v25, v25, v26
	v_and_b32_e32 v14, v17, v14
	;; [unrolled: 1-line block ×3, first 2 shown]
	v_mbcnt_lo_u32_b32 v16, v14, 0
	v_mbcnt_hi_u32_b32 v25, v15, v16
	v_cmp_eq_u32_e32 vcc, 0, v25
	v_cmp_ne_u64_e64 s[0:1], 0, v[14:15]
	s_and_b64 s[2:3], s[0:1], vcc
	; wave barrier
	s_and_saveexec_b64 s[0:1], s[2:3]
	s_cbranch_execz .LBB121_91
; %bb.90:
	v_bcnt_u32_b32 v14, v14, 0
	v_bcnt_u32_b32 v14, v15, v14
	s_waitcnt lgkmcnt(0)
	v_add_u32_e32 v14, v23, v14
	ds_write_b32 v24, v14 offset:64
.LBB121_91:
	s_or_b64 exec, exec, s[0:1]
	s_waitcnt vmcnt(3)
	v_xor_b32_e32 v11, 0x80000000, v11
	v_lshrrev_b64 v[14:15], s48, v[10:11]
	v_and_b32_e32 v16, s16, v14
	v_and_b32_e32 v15, 1, v16
	v_add_co_u32_e32 v17, vcc, -1, v15
	v_addc_co_u32_e64 v29, s[0:1], 0, -1, vcc
	v_cmp_ne_u32_e32 vcc, 0, v15
	v_lshl_add_u32 v14, v16, 4, v16
	v_xor_b32_e32 v15, vcc_hi, v29
	v_add_lshl_u32 v28, v27, v14, 2
	v_mov_b32_e32 v14, 0
	v_and_b32_e32 v29, exec_hi, v15
	v_lshlrev_b32_e32 v15, 30, v16
	v_xor_b32_e32 v17, vcc_lo, v17
	v_cmp_gt_i64_e32 vcc, 0, v[14:15]
	v_not_b32_e32 v15, v15
	v_ashrrev_i32_e32 v15, 31, v15
	v_and_b32_e32 v17, exec_lo, v17
	v_xor_b32_e32 v30, vcc_hi, v15
	v_xor_b32_e32 v15, vcc_lo, v15
	v_and_b32_e32 v17, v17, v15
	v_lshlrev_b32_e32 v15, 29, v16
	v_cmp_gt_i64_e32 vcc, 0, v[14:15]
	v_not_b32_e32 v15, v15
	v_ashrrev_i32_e32 v15, 31, v15
	v_and_b32_e32 v29, v29, v30
	v_xor_b32_e32 v30, vcc_hi, v15
	v_xor_b32_e32 v15, vcc_lo, v15
	v_and_b32_e32 v17, v17, v15
	v_lshlrev_b32_e32 v15, 28, v16
	v_cmp_gt_i64_e32 vcc, 0, v[14:15]
	v_not_b32_e32 v15, v15
	v_ashrrev_i32_e32 v15, 31, v15
	v_and_b32_e32 v29, v29, v30
	v_xor_b32_e32 v30, vcc_hi, v15
	v_xor_b32_e32 v15, vcc_lo, v15
	v_and_b32_e32 v17, v17, v15
	v_lshlrev_b32_e32 v15, 27, v16
	v_cmp_gt_i64_e32 vcc, 0, v[14:15]
	v_not_b32_e32 v15, v15
	v_ashrrev_i32_e32 v15, 31, v15
	v_and_b32_e32 v29, v29, v30
	v_xor_b32_e32 v30, vcc_hi, v15
	v_xor_b32_e32 v15, vcc_lo, v15
	v_and_b32_e32 v17, v17, v15
	v_lshlrev_b32_e32 v15, 26, v16
	v_cmp_gt_i64_e32 vcc, 0, v[14:15]
	v_not_b32_e32 v15, v15
	v_ashrrev_i32_e32 v15, 31, v15
	v_and_b32_e32 v29, v29, v30
	v_xor_b32_e32 v30, vcc_hi, v15
	v_xor_b32_e32 v15, vcc_lo, v15
	v_and_b32_e32 v17, v17, v15
	v_lshlrev_b32_e32 v15, 25, v16
	v_cmp_gt_i64_e32 vcc, 0, v[14:15]
	v_not_b32_e32 v15, v15
	v_ashrrev_i32_e32 v15, 31, v15
	v_and_b32_e32 v29, v29, v30
	v_xor_b32_e32 v30, vcc_hi, v15
	v_xor_b32_e32 v15, vcc_lo, v15
	v_and_b32_e32 v29, v29, v30
	v_and_b32_e32 v30, v17, v15
	v_lshlrev_b32_e32 v15, 24, v16
	v_cmp_gt_i64_e32 vcc, 0, v[14:15]
	v_not_b32_e32 v15, v15
	v_ashrrev_i32_e32 v15, 31, v15
	v_xor_b32_e32 v16, vcc_hi, v15
	v_xor_b32_e32 v15, vcc_lo, v15
	; wave barrier
	ds_read_b32 v26, v28 offset:64
	v_and_b32_e32 v17, v29, v16
	v_and_b32_e32 v16, v30, v15
	v_mbcnt_lo_u32_b32 v15, v16, 0
	v_mbcnt_hi_u32_b32 v29, v17, v15
	v_cmp_eq_u32_e32 vcc, 0, v29
	v_cmp_ne_u64_e64 s[0:1], 0, v[16:17]
	s_and_b64 s[2:3], s[0:1], vcc
	; wave barrier
	s_and_saveexec_b64 s[0:1], s[2:3]
	s_cbranch_execz .LBB121_93
; %bb.92:
	v_bcnt_u32_b32 v15, v16, 0
	v_bcnt_u32_b32 v15, v17, v15
	s_waitcnt lgkmcnt(0)
	v_add_u32_e32 v15, v26, v15
	ds_write_b32 v28, v15 offset:64
.LBB121_93:
	s_or_b64 exec, exec, s[0:1]
	s_waitcnt vmcnt(2)
	v_xor_b32_e32 v9, 0x80000000, v9
	v_lshrrev_b64 v[16:17], s48, v[8:9]
	v_and_b32_e32 v16, s16, v16
	v_lshl_add_u32 v15, v16, 4, v16
	v_add_lshl_u32 v31, v27, v15, 2
	v_and_b32_e32 v15, 1, v16
	v_add_co_u32_e32 v17, vcc, -1, v15
	v_addc_co_u32_e64 v32, s[0:1], 0, -1, vcc
	v_cmp_ne_u32_e32 vcc, 0, v15
	v_xor_b32_e32 v15, vcc_hi, v32
	v_and_b32_e32 v32, exec_hi, v15
	v_lshlrev_b32_e32 v15, 30, v16
	v_xor_b32_e32 v17, vcc_lo, v17
	v_cmp_gt_i64_e32 vcc, 0, v[14:15]
	v_not_b32_e32 v15, v15
	v_ashrrev_i32_e32 v15, 31, v15
	v_and_b32_e32 v17, exec_lo, v17
	v_xor_b32_e32 v33, vcc_hi, v15
	v_xor_b32_e32 v15, vcc_lo, v15
	v_and_b32_e32 v17, v17, v15
	v_lshlrev_b32_e32 v15, 29, v16
	v_cmp_gt_i64_e32 vcc, 0, v[14:15]
	v_not_b32_e32 v15, v15
	v_ashrrev_i32_e32 v15, 31, v15
	v_and_b32_e32 v32, v32, v33
	v_xor_b32_e32 v33, vcc_hi, v15
	v_xor_b32_e32 v15, vcc_lo, v15
	v_and_b32_e32 v17, v17, v15
	v_lshlrev_b32_e32 v15, 28, v16
	v_cmp_gt_i64_e32 vcc, 0, v[14:15]
	v_not_b32_e32 v15, v15
	v_ashrrev_i32_e32 v15, 31, v15
	v_and_b32_e32 v32, v32, v33
	;; [unrolled: 8-line block ×5, first 2 shown]
	v_xor_b32_e32 v33, vcc_hi, v15
	v_xor_b32_e32 v15, vcc_lo, v15
	v_and_b32_e32 v17, v17, v15
	v_lshlrev_b32_e32 v15, 24, v16
	v_cmp_gt_i64_e32 vcc, 0, v[14:15]
	v_not_b32_e32 v14, v15
	v_ashrrev_i32_e32 v14, 31, v14
	v_xor_b32_e32 v15, vcc_hi, v14
	v_xor_b32_e32 v14, vcc_lo, v14
	; wave barrier
	ds_read_b32 v30, v31 offset:64
	v_and_b32_e32 v32, v32, v33
	v_and_b32_e32 v14, v17, v14
	;; [unrolled: 1-line block ×3, first 2 shown]
	v_mbcnt_lo_u32_b32 v16, v14, 0
	v_mbcnt_hi_u32_b32 v32, v15, v16
	v_cmp_eq_u32_e32 vcc, 0, v32
	v_cmp_ne_u64_e64 s[0:1], 0, v[14:15]
	s_and_b64 s[2:3], s[0:1], vcc
	; wave barrier
	s_and_saveexec_b64 s[0:1], s[2:3]
	s_cbranch_execz .LBB121_95
; %bb.94:
	v_bcnt_u32_b32 v14, v14, 0
	v_bcnt_u32_b32 v14, v15, v14
	s_waitcnt lgkmcnt(0)
	v_add_u32_e32 v14, v30, v14
	ds_write_b32 v31, v14 offset:64
.LBB121_95:
	s_or_b64 exec, exec, s[0:1]
	s_waitcnt vmcnt(1)
	v_xor_b32_e32 v7, 0x80000000, v7
	v_lshrrev_b64 v[14:15], s48, v[6:7]
	v_and_b32_e32 v16, s16, v14
	v_and_b32_e32 v15, 1, v16
	v_add_co_u32_e32 v17, vcc, -1, v15
	v_addc_co_u32_e64 v35, s[0:1], 0, -1, vcc
	v_cmp_ne_u32_e32 vcc, 0, v15
	v_lshl_add_u32 v14, v16, 4, v16
	v_xor_b32_e32 v15, vcc_hi, v35
	v_add_lshl_u32 v34, v27, v14, 2
	v_mov_b32_e32 v14, 0
	v_and_b32_e32 v35, exec_hi, v15
	v_lshlrev_b32_e32 v15, 30, v16
	v_xor_b32_e32 v17, vcc_lo, v17
	v_cmp_gt_i64_e32 vcc, 0, v[14:15]
	v_not_b32_e32 v15, v15
	v_ashrrev_i32_e32 v15, 31, v15
	v_and_b32_e32 v17, exec_lo, v17
	v_xor_b32_e32 v36, vcc_hi, v15
	v_xor_b32_e32 v15, vcc_lo, v15
	v_and_b32_e32 v17, v17, v15
	v_lshlrev_b32_e32 v15, 29, v16
	v_cmp_gt_i64_e32 vcc, 0, v[14:15]
	v_not_b32_e32 v15, v15
	v_ashrrev_i32_e32 v15, 31, v15
	v_and_b32_e32 v35, v35, v36
	v_xor_b32_e32 v36, vcc_hi, v15
	v_xor_b32_e32 v15, vcc_lo, v15
	v_and_b32_e32 v17, v17, v15
	v_lshlrev_b32_e32 v15, 28, v16
	v_cmp_gt_i64_e32 vcc, 0, v[14:15]
	v_not_b32_e32 v15, v15
	v_ashrrev_i32_e32 v15, 31, v15
	v_and_b32_e32 v35, v35, v36
	;; [unrolled: 8-line block ×5, first 2 shown]
	v_xor_b32_e32 v36, vcc_hi, v15
	v_xor_b32_e32 v15, vcc_lo, v15
	v_and_b32_e32 v35, v35, v36
	v_and_b32_e32 v36, v17, v15
	v_lshlrev_b32_e32 v15, 24, v16
	v_cmp_gt_i64_e32 vcc, 0, v[14:15]
	v_not_b32_e32 v15, v15
	v_ashrrev_i32_e32 v15, 31, v15
	v_xor_b32_e32 v16, vcc_hi, v15
	v_xor_b32_e32 v15, vcc_lo, v15
	; wave barrier
	ds_read_b32 v33, v34 offset:64
	v_and_b32_e32 v17, v35, v16
	v_and_b32_e32 v16, v36, v15
	v_mbcnt_lo_u32_b32 v15, v16, 0
	v_mbcnt_hi_u32_b32 v35, v17, v15
	v_cmp_eq_u32_e32 vcc, 0, v35
	v_cmp_ne_u64_e64 s[0:1], 0, v[16:17]
	s_and_b64 s[2:3], s[0:1], vcc
	; wave barrier
	s_and_saveexec_b64 s[0:1], s[2:3]
	s_cbranch_execz .LBB121_97
; %bb.96:
	v_bcnt_u32_b32 v15, v16, 0
	v_bcnt_u32_b32 v15, v17, v15
	s_waitcnt lgkmcnt(0)
	v_add_u32_e32 v15, v33, v15
	ds_write_b32 v34, v15 offset:64
.LBB121_97:
	s_or_b64 exec, exec, s[0:1]
	s_waitcnt vmcnt(0)
	v_xor_b32_e32 v1, 0x80000000, v1
	v_lshrrev_b64 v[16:17], s48, v[0:1]
	v_and_b32_e32 v16, s16, v16
	v_lshl_add_u32 v15, v16, 4, v16
	v_add_lshl_u32 v37, v27, v15, 2
	v_and_b32_e32 v15, 1, v16
	v_add_co_u32_e32 v17, vcc, -1, v15
	v_addc_co_u32_e64 v38, s[0:1], 0, -1, vcc
	v_cmp_ne_u32_e32 vcc, 0, v15
	v_xor_b32_e32 v15, vcc_hi, v38
	v_and_b32_e32 v38, exec_hi, v15
	v_lshlrev_b32_e32 v15, 30, v16
	v_xor_b32_e32 v17, vcc_lo, v17
	v_cmp_gt_i64_e32 vcc, 0, v[14:15]
	v_not_b32_e32 v15, v15
	v_ashrrev_i32_e32 v15, 31, v15
	v_and_b32_e32 v17, exec_lo, v17
	v_xor_b32_e32 v39, vcc_hi, v15
	v_xor_b32_e32 v15, vcc_lo, v15
	v_and_b32_e32 v17, v17, v15
	v_lshlrev_b32_e32 v15, 29, v16
	v_cmp_gt_i64_e32 vcc, 0, v[14:15]
	v_not_b32_e32 v15, v15
	v_ashrrev_i32_e32 v15, 31, v15
	v_and_b32_e32 v38, v38, v39
	v_xor_b32_e32 v39, vcc_hi, v15
	v_xor_b32_e32 v15, vcc_lo, v15
	v_and_b32_e32 v17, v17, v15
	v_lshlrev_b32_e32 v15, 28, v16
	v_cmp_gt_i64_e32 vcc, 0, v[14:15]
	v_not_b32_e32 v15, v15
	v_ashrrev_i32_e32 v15, 31, v15
	v_and_b32_e32 v38, v38, v39
	;; [unrolled: 8-line block ×5, first 2 shown]
	v_xor_b32_e32 v39, vcc_hi, v15
	v_xor_b32_e32 v15, vcc_lo, v15
	v_and_b32_e32 v17, v17, v15
	v_lshlrev_b32_e32 v15, 24, v16
	v_cmp_gt_i64_e32 vcc, 0, v[14:15]
	v_not_b32_e32 v14, v15
	v_ashrrev_i32_e32 v14, 31, v14
	v_xor_b32_e32 v15, vcc_hi, v14
	v_xor_b32_e32 v14, vcc_lo, v14
	; wave barrier
	ds_read_b32 v27, v37 offset:64
	v_and_b32_e32 v38, v38, v39
	v_and_b32_e32 v14, v17, v14
	;; [unrolled: 1-line block ×3, first 2 shown]
	v_mbcnt_lo_u32_b32 v16, v14, 0
	v_mbcnt_hi_u32_b32 v38, v15, v16
	v_cmp_eq_u32_e32 vcc, 0, v38
	v_cmp_ne_u64_e64 s[0:1], 0, v[14:15]
	v_add_u32_e32 v36, 64, v20
	s_and_b64 s[2:3], s[0:1], vcc
	; wave barrier
	s_and_saveexec_b64 s[0:1], s[2:3]
	s_cbranch_execz .LBB121_99
; %bb.98:
	v_bcnt_u32_b32 v14, v14, 0
	v_bcnt_u32_b32 v14, v15, v14
	s_waitcnt lgkmcnt(0)
	v_add_u32_e32 v14, v27, v14
	ds_write_b32 v37, v14 offset:64
.LBB121_99:
	s_or_b64 exec, exec, s[0:1]
	; wave barrier
	s_waitcnt lgkmcnt(0)
	s_barrier
	ds_read2_b32 v[16:17], v20 offset0:16 offset1:17
	ds_read2_b32 v[14:15], v36 offset0:2 offset1:3
	ds_read_b32 v39, v36 offset:16
	v_cmp_lt_u32_e64 s[8:9], 31, v3
	s_waitcnt lgkmcnt(1)
	v_add3_u32 v40, v17, v16, v14
	s_waitcnt lgkmcnt(0)
	v_add3_u32 v39, v40, v15, v39
	v_and_b32_e32 v40, 15, v3
	v_cmp_eq_u32_e32 vcc, 0, v40
	v_mov_b32_dpp v41, v39 row_shr:1 row_mask:0xf bank_mask:0xf
	v_cndmask_b32_e64 v41, v41, 0, vcc
	v_add_u32_e32 v39, v41, v39
	v_cmp_lt_u32_e64 s[0:1], 1, v40
	v_cmp_lt_u32_e64 s[2:3], 3, v40
	v_mov_b32_dpp v41, v39 row_shr:2 row_mask:0xf bank_mask:0xf
	v_cndmask_b32_e64 v41, 0, v41, s[0:1]
	v_add_u32_e32 v39, v39, v41
	v_cmp_lt_u32_e64 s[4:5], 7, v40
	s_nop 0
	v_mov_b32_dpp v41, v39 row_shr:4 row_mask:0xf bank_mask:0xf
	v_cndmask_b32_e64 v41, 0, v41, s[2:3]
	v_add_u32_e32 v39, v39, v41
	s_nop 1
	v_mov_b32_dpp v41, v39 row_shr:8 row_mask:0xf bank_mask:0xf
	v_cndmask_b32_e64 v40, 0, v41, s[4:5]
	v_add_u32_e32 v39, v39, v40
	v_bfe_i32 v41, v3, 4, 1
	s_nop 0
	v_mov_b32_dpp v40, v39 row_bcast:15 row_mask:0xf bank_mask:0xf
	v_and_b32_e32 v40, v41, v40
	v_add_u32_e32 v39, v39, v40
	v_and_b32_e32 v41, 63, v2
	s_nop 0
	v_mov_b32_dpp v40, v39 row_bcast:31 row_mask:0xf bank_mask:0xf
	v_cndmask_b32_e64 v40, 0, v40, s[8:9]
	v_add_u32_e32 v39, v39, v40
	v_lshrrev_b32_e32 v40, 6, v2
	v_cmp_eq_u32_e64 s[8:9], 63, v41
	s_and_saveexec_b64 s[14:15], s[8:9]
	s_cbranch_execz .LBB121_101
; %bb.100:
	v_lshlrev_b32_e32 v41, 2, v40
	ds_write_b32 v41, v39
.LBB121_101:
	s_or_b64 exec, exec, s[14:15]
	v_cmp_gt_u32_e64 s[8:9], 16, v2
	s_waitcnt lgkmcnt(0)
	s_barrier
	s_and_saveexec_b64 s[14:15], s[8:9]
	s_cbranch_execz .LBB121_103
; %bb.102:
	v_lshlrev_b32_e32 v41, 2, v2
	ds_read_b32 v42, v41
	s_waitcnt lgkmcnt(0)
	s_nop 0
	v_mov_b32_dpp v43, v42 row_shr:1 row_mask:0xf bank_mask:0xf
	v_cndmask_b32_e64 v43, v43, 0, vcc
	v_add_u32_e32 v42, v43, v42
	s_nop 1
	v_mov_b32_dpp v43, v42 row_shr:2 row_mask:0xf bank_mask:0xf
	v_cndmask_b32_e64 v43, 0, v43, s[0:1]
	v_add_u32_e32 v42, v42, v43
	s_nop 1
	v_mov_b32_dpp v43, v42 row_shr:4 row_mask:0xf bank_mask:0xf
	v_cndmask_b32_e64 v43, 0, v43, s[2:3]
	;; [unrolled: 4-line block ×3, first 2 shown]
	v_add_u32_e32 v42, v42, v43
	ds_write_b32 v41, v42
.LBB121_103:
	s_or_b64 exec, exec, s[14:15]
	v_cmp_lt_u32_e32 vcc, 63, v2
	v_mov_b32_e32 v41, 0
	s_waitcnt lgkmcnt(0)
	s_barrier
	s_and_saveexec_b64 s[0:1], vcc
	s_cbranch_execz .LBB121_105
; %bb.104:
	v_lshl_add_u32 v40, v40, 2, -4
	ds_read_b32 v41, v40
.LBB121_105:
	s_or_b64 exec, exec, s[0:1]
	v_add_u32_e32 v40, -1, v3
	v_and_b32_e32 v42, 64, v3
	v_cmp_lt_i32_e32 vcc, v40, v42
	v_cndmask_b32_e32 v40, v40, v3, vcc
	s_waitcnt lgkmcnt(0)
	v_add_u32_e32 v39, v41, v39
	v_lshlrev_b32_e32 v40, 2, v40
	ds_bpermute_b32 v39, v40, v39
	v_cmp_eq_u32_e32 vcc, 0, v3
	s_movk_i32 s2, 0xff
	s_movk_i32 s3, 0x100
	v_cmp_lt_u32_e64 s[0:1], s2, v2
	s_waitcnt lgkmcnt(0)
	v_cndmask_b32_e32 v3, v39, v41, vcc
	v_cmp_ne_u32_e32 vcc, 0, v2
	v_cndmask_b32_e32 v3, 0, v3, vcc
	v_add_u32_e32 v16, v3, v16
	v_add_u32_e32 v17, v16, v17
	;; [unrolled: 1-line block ×4, first 2 shown]
	ds_write2_b32 v20, v3, v16 offset0:16 offset1:17
	ds_write2_b32 v36, v17, v14 offset0:2 offset1:3
	ds_write_b32 v36, v15 offset:16
	s_waitcnt lgkmcnt(0)
	s_barrier
	ds_read_b32 v17, v21 offset:64
	ds_read_b32 v20, v24 offset:64
	;; [unrolled: 1-line block ×6, first 2 shown]
	v_cmp_gt_u32_e32 vcc, s3, v2
	v_pk_mov_b32 v[14:15], 0, 0
                                        ; implicit-def: $vgpr16
	s_and_saveexec_b64 s[4:5], vcc
	s_cbranch_execz .LBB121_109
; %bb.106:
	v_mul_u32_u24_e32 v14, 17, v2
	v_lshlrev_b32_e32 v16, 2, v14
	ds_read_b32 v14, v16 offset:64
	v_cmp_ne_u32_e64 s[2:3], s2, v2
	v_mov_b32_e32 v15, 0x1800
	s_and_saveexec_b64 s[8:9], s[2:3]
	s_cbranch_execz .LBB121_108
; %bb.107:
	ds_read_b32 v15, v16 offset:132
.LBB121_108:
	s_or_b64 exec, exec, s[8:9]
	s_waitcnt lgkmcnt(0)
	v_sub_u32_e32 v16, v15, v14
	v_mov_b32_e32 v15, 0
.LBB121_109:
	s_or_b64 exec, exec, s[4:5]
	v_add_u32_e32 v23, v25, v23
	v_add_u32_e32 v26, v29, v26
	s_waitcnt lgkmcnt(5)
	v_add_lshl_u32 v17, v17, v22, 3
	s_waitcnt lgkmcnt(4)
	v_add_lshl_u32 v20, v23, v20, 3
	v_add_u32_e32 v30, v32, v30
	s_waitcnt lgkmcnt(0)
	s_barrier
	ds_write_b64 v17, v[4:5] offset:2048
	ds_write_b64 v20, v[12:13] offset:2048
	v_add_lshl_u32 v12, v26, v28, 3
	v_add_u32_e32 v27, v38, v27
	v_add_u32_e32 v31, v35, v33
	ds_write_b64 v12, v[10:11] offset:2048
	v_add_lshl_u32 v10, v30, v24, 3
	ds_write_b64 v10, v[8:9] offset:2048
	v_add_lshl_u32 v8, v31, v21, 3
	v_add_lshl_u32 v9, v27, v3, 3
	ds_write_b64 v8, v[6:7] offset:2048
	ds_write_b64 v9, v[0:1] offset:2048
	s_waitcnt lgkmcnt(0)
	s_barrier
	s_and_saveexec_b64 s[2:3], s[0:1]
	s_xor_b64 s[0:1], exec, s[2:3]
; %bb.110:
	v_mov_b32_e32 v3, 0
; %bb.111:
	s_andn2_saveexec_b64 s[2:3], s[0:1]
	s_cbranch_execz .LBB121_121
; %bb.112:
	v_lshl_or_b32 v0, s6, 8, v2
	v_mov_b32_e32 v1, 0
	v_lshlrev_b64 v[4:5], 2, v[0:1]
	v_mov_b32_e32 v3, s31
	v_add_co_u32_e64 v4, s[0:1], s30, v4
	v_addc_co_u32_e64 v5, s[0:1], v3, v5, s[0:1]
	v_or_b32_e32 v0, 2.0, v16
	s_mov_b64 s[4:5], 0
	s_brev_b32 s17, 1
	s_mov_b32 s18, s6
	v_mov_b32_e32 v11, 0
	global_store_dword v[4:5], v0, off
                                        ; implicit-def: $sgpr0_sgpr1
	s_branch .LBB121_115
.LBB121_113:                            ;   in Loop: Header=BB121_115 Depth=1
	s_or_b64 exec, exec, s[14:15]
.LBB121_114:                            ;   in Loop: Header=BB121_115 Depth=1
	s_or_b64 exec, exec, s[8:9]
	v_and_b32_e32 v6, 0x3fffffff, v13
	v_add_u32_e32 v11, v6, v11
	v_cmp_eq_u32_e64 s[0:1], s17, v0
	s_and_b64 s[8:9], exec, s[0:1]
	s_or_b64 s[4:5], s[8:9], s[4:5]
	s_andn2_b64 exec, exec, s[4:5]
	s_cbranch_execz .LBB121_120
.LBB121_115:                            ; =>This Loop Header: Depth=1
                                        ;     Child Loop BB121_118 Depth 2
	s_or_b64 s[0:1], s[0:1], exec
	s_cmp_eq_u32 s18, 0
	s_cbranch_scc1 .LBB121_119
; %bb.116:                              ;   in Loop: Header=BB121_115 Depth=1
	s_add_i32 s18, s18, -1
	v_lshl_or_b32 v0, s18, 8, v2
	v_lshlrev_b64 v[6:7], 2, v[0:1]
	v_add_co_u32_e64 v6, s[0:1], s30, v6
	v_addc_co_u32_e64 v7, s[0:1], v3, v7, s[0:1]
	global_load_dword v13, v[6:7], off glc
	s_waitcnt vmcnt(0)
	v_and_b32_e32 v0, -2.0, v13
	v_cmp_eq_u32_e64 s[0:1], 0, v0
	s_and_saveexec_b64 s[8:9], s[0:1]
	s_cbranch_execz .LBB121_114
; %bb.117:                              ;   in Loop: Header=BB121_115 Depth=1
	s_mov_b64 s[14:15], 0
.LBB121_118:                            ;   Parent Loop BB121_115 Depth=1
                                        ; =>  This Inner Loop Header: Depth=2
	global_load_dword v13, v[6:7], off glc
	s_waitcnt vmcnt(0)
	v_and_b32_e32 v0, -2.0, v13
	v_cmp_ne_u32_e64 s[0:1], 0, v0
	s_or_b64 s[14:15], s[0:1], s[14:15]
	s_andn2_b64 exec, exec, s[14:15]
	s_cbranch_execnz .LBB121_118
	s_branch .LBB121_113
.LBB121_119:                            ;   in Loop: Header=BB121_115 Depth=1
                                        ; implicit-def: $sgpr18
	s_and_b64 s[8:9], exec, s[0:1]
	s_or_b64 s[4:5], s[8:9], s[4:5]
	s_andn2_b64 exec, exec, s[4:5]
	s_cbranch_execnz .LBB121_115
.LBB121_120:
	s_or_b64 exec, exec, s[4:5]
	v_add_u32_e32 v0, v11, v16
	v_or_b32_e32 v0, 0x80000000, v0
	global_store_dword v[4:5], v0, off
	v_lshlrev_b32_e32 v4, 3, v2
	global_load_dwordx2 v[0:1], v4, s[44:45]
	v_sub_co_u32_e64 v5, s[0:1], v11, v14
	v_subb_co_u32_e64 v6, s[0:1], 0, v15, s[0:1]
	v_mov_b32_e32 v3, 0
	s_waitcnt vmcnt(0)
	v_add_co_u32_e64 v0, s[0:1], v5, v0
	v_addc_co_u32_e64 v1, s[0:1], v6, v1, s[0:1]
	ds_write_b64 v4, v[0:1]
.LBB121_121:
	s_or_b64 exec, exec, s[2:3]
	v_lshlrev_b32_e32 v4, 3, v2
	s_waitcnt lgkmcnt(0)
	s_barrier
	ds_read2st64_b64 v[22:25], v4 offset0:20 offset1:36
	v_lshlrev_b32_e32 v5, 3, v2
	ds_read2st64_b64 v[26:29], v4 offset0:52 offset1:68
	ds_read_b64 v[6:7], v5 offset:2048
	v_mov_b32_e32 v42, s39
	s_waitcnt lgkmcnt(2)
	v_lshrrev_b64 v[0:1], s48, v[24:25]
	v_and_b32_e32 v0, s16, v0
	v_lshlrev_b32_e32 v21, 3, v0
	s_waitcnt lgkmcnt(1)
	v_lshrrev_b64 v[0:1], s48, v[28:29]
	v_and_b32_e32 v0, s16, v0
	v_lshlrev_b32_e32 v44, 3, v0
	s_waitcnt lgkmcnt(0)
	v_lshrrev_b64 v[0:1], s48, v[6:7]
	ds_read_b64 v[30:31], v44
	ds_read_b64 v[32:33], v21
	ds_read_b64 v[34:35], v4 offset:43008
	v_and_b32_e32 v0, s16, v0
	v_lshlrev_b32_e32 v11, 3, v0
	v_lshrrev_b64 v[0:1], s48, v[22:23]
	v_and_b32_e32 v0, s16, v0
	v_lshlrev_b32_e32 v13, 3, v0
	v_lshrrev_b64 v[0:1], s48, v[26:27]
	v_and_b32_e32 v0, s16, v0
	v_lshlrev_b32_e32 v45, 3, v0
	s_waitcnt lgkmcnt(0)
	v_lshrrev_b64 v[0:1], s48, v[34:35]
	v_and_b32_e32 v36, s16, v0
	ds_read_b64 v[0:1], v11
	v_lshlrev_b32_e32 v46, 3, v36
	ds_read_b64 v[36:37], v13
	ds_read_b64 v[38:39], v45
	;; [unrolled: 1-line block ×3, first 2 shown]
	v_xor_b32_e32 v7, 0x80000000, v7
	v_xor_b32_e32 v23, 0x80000000, v23
	s_waitcnt lgkmcnt(3)
	v_lshlrev_b64 v[0:1], 3, v[0:1]
	v_add_co_u32_e64 v43, s[0:1], s38, v0
	v_addc_co_u32_e64 v47, s[0:1], v42, v1, s[0:1]
	v_lshlrev_b64 v[0:1], 3, v[2:3]
	v_add_co_u32_e64 v42, s[0:1], v43, v0
	v_addc_co_u32_e64 v43, s[0:1], v47, v1, s[0:1]
	global_store_dwordx2 v[42:43], v[6:7], off
	s_waitcnt lgkmcnt(2)
	v_lshlrev_b64 v[6:7], 3, v[36:37]
	v_mov_b32_e32 v36, s39
	v_add_co_u32_e64 v6, s[0:1], s38, v6
	v_addc_co_u32_e64 v7, s[0:1], v36, v7, s[0:1]
	v_or_b32_e32 v36, 0x2000, v4
	v_add_co_u32_e64 v6, s[0:1], v6, v36
	v_addc_co_u32_e64 v7, s[0:1], 0, v7, s[0:1]
	global_store_dwordx2 v[6:7], v[22:23], off
	v_lshlrev_b64 v[6:7], 3, v[32:33]
	v_mov_b32_e32 v22, s39
	v_add_co_u32_e64 v6, s[0:1], s38, v6
	v_addc_co_u32_e64 v7, s[0:1], v22, v7, s[0:1]
	v_or_b32_e32 v32, 0x4000, v4
	v_add_co_u32_e64 v6, s[0:1], v6, v32
	v_xor_b32_e32 v25, 0x80000000, v25
	v_addc_co_u32_e64 v7, s[0:1], 0, v7, s[0:1]
	global_store_dwordx2 v[6:7], v[24:25], off
	s_waitcnt lgkmcnt(1)
	v_lshlrev_b64 v[6:7], 3, v[38:39]
	v_add_co_u32_e64 v6, s[0:1], s38, v6
	v_addc_co_u32_e64 v7, s[0:1], v22, v7, s[0:1]
	v_or_b32_e32 v33, 0x6000, v4
	v_add_co_u32_e64 v6, s[0:1], v6, v33
	v_xor_b32_e32 v27, 0x80000000, v27
	v_addc_co_u32_e64 v7, s[0:1], 0, v7, s[0:1]
	global_store_dwordx2 v[6:7], v[26:27], off
	v_lshlrev_b64 v[6:7], 3, v[30:31]
	v_add_co_u32_e64 v6, s[0:1], s38, v6
	v_addc_co_u32_e64 v7, s[0:1], v22, v7, s[0:1]
	v_or_b32_e32 v37, 0x8000, v4
	v_add_co_u32_e64 v6, s[0:1], v6, v37
	v_xor_b32_e32 v29, 0x80000000, v29
	v_addc_co_u32_e64 v7, s[0:1], 0, v7, s[0:1]
	global_store_dwordx2 v[6:7], v[28:29], off
	s_waitcnt lgkmcnt(0)
	v_lshlrev_b64 v[6:7], 3, v[40:41]
	v_add_co_u32_e64 v6, s[0:1], s38, v6
	v_addc_co_u32_e64 v7, s[0:1], v22, v7, s[0:1]
	v_or_b32_e32 v38, 0xa000, v4
	v_add_co_u32_e64 v6, s[0:1], v6, v38
	v_addc_co_u32_e64 v7, s[0:1], 0, v7, s[0:1]
	s_add_u32 s0, s40, s12
	v_xor_b32_e32 v35, 0x80000000, v35
	s_addc_u32 s1, s41, s13
	global_store_dwordx2 v[6:7], v[34:35], off
	v_mov_b32_e32 v6, s1
	v_add_co_u32_e64 v7, s[0:1], s0, v18
	v_addc_co_u32_e64 v18, s[0:1], 0, v6, s[0:1]
	v_add_co_u32_e64 v6, s[0:1], v7, v19
	v_addc_co_u32_e64 v7, s[0:1], 0, v18, s[0:1]
	global_load_dwordx2 v[18:19], v[6:7], off
	global_load_dwordx2 v[22:23], v[6:7], off offset:512
	global_load_dwordx2 v[24:25], v[6:7], off offset:1024
	global_load_dwordx2 v[26:27], v[6:7], off offset:1536
	global_load_dwordx2 v[28:29], v[6:7], off offset:2048
	global_load_dwordx2 v[30:31], v[6:7], off offset:2560
	s_barrier
	s_add_i32 s7, s7, -1
	s_cmp_eq_u32 s6, s7
	s_waitcnt vmcnt(5)
	ds_write_b64 v17, v[18:19] offset:2048
	s_waitcnt vmcnt(4)
	ds_write_b64 v20, v[22:23] offset:2048
	;; [unrolled: 2-line block ×6, first 2 shown]
	s_waitcnt lgkmcnt(0)
	s_barrier
	ds_read_b64 v[6:7], v11
	ds_read_b64 v[8:9], v5 offset:2048
	ds_read_b64 v[10:11], v13
	ds_read_b64 v[12:13], v4 offset:43008
	v_mov_b32_e32 v5, s43
	s_waitcnt lgkmcnt(3)
	v_lshlrev_b64 v[6:7], 3, v[6:7]
	v_add_co_u32_e64 v6, s[0:1], s42, v6
	v_addc_co_u32_e64 v5, s[0:1], v5, v7, s[0:1]
	v_add_co_u32_e64 v0, s[0:1], v6, v0
	v_addc_co_u32_e64 v1, s[0:1], v5, v1, s[0:1]
	s_waitcnt lgkmcnt(2)
	global_store_dwordx2 v[0:1], v[8:9], off
	ds_read2st64_b64 v[6:9], v4 offset0:20 offset1:36
	s_waitcnt lgkmcnt(2)
	v_lshlrev_b64 v[0:1], 3, v[10:11]
	ds_read_b64 v[10:11], v21
	v_mov_b32_e32 v5, s43
	v_add_co_u32_e64 v0, s[0:1], s42, v0
	v_addc_co_u32_e64 v1, s[0:1], v5, v1, s[0:1]
	v_add_co_u32_e64 v0, s[0:1], v0, v36
	v_addc_co_u32_e64 v1, s[0:1], 0, v1, s[0:1]
	s_waitcnt lgkmcnt(1)
	global_store_dwordx2 v[0:1], v[6:7], off
	s_waitcnt lgkmcnt(0)
	v_lshlrev_b64 v[6:7], 3, v[10:11]
	v_add_co_u32_e64 v6, s[0:1], s42, v6
	ds_read_b64 v[0:1], v45
	ds_read_b64 v[18:19], v44
	;; [unrolled: 1-line block ×3, first 2 shown]
	v_addc_co_u32_e64 v5, s[0:1], v5, v7, s[0:1]
	v_add_co_u32_e64 v6, s[0:1], v6, v32
	v_addc_co_u32_e64 v7, s[0:1], 0, v5, s[0:1]
	global_store_dwordx2 v[6:7], v[8:9], off
	ds_read2st64_b64 v[4:7], v4 offset0:52 offset1:68
	s_waitcnt lgkmcnt(3)
	v_lshlrev_b64 v[0:1], 3, v[0:1]
	v_mov_b32_e32 v8, s43
	v_add_co_u32_e64 v0, s[0:1], s42, v0
	v_addc_co_u32_e64 v1, s[0:1], v8, v1, s[0:1]
	v_add_co_u32_e64 v0, s[0:1], v0, v33
	v_addc_co_u32_e64 v1, s[0:1], 0, v1, s[0:1]
	s_waitcnt lgkmcnt(0)
	global_store_dwordx2 v[0:1], v[4:5], off
	v_lshlrev_b64 v[0:1], 3, v[18:19]
	v_mov_b32_e32 v4, s43
	v_add_co_u32_e64 v0, s[0:1], s42, v0
	v_addc_co_u32_e64 v1, s[0:1], v4, v1, s[0:1]
	v_add_co_u32_e64 v0, s[0:1], v0, v37
	v_addc_co_u32_e64 v1, s[0:1], 0, v1, s[0:1]
	global_store_dwordx2 v[0:1], v[6:7], off
	v_lshlrev_b64 v[0:1], 3, v[20:21]
	v_add_co_u32_e64 v0, s[0:1], s42, v0
	v_addc_co_u32_e64 v1, s[0:1], v4, v1, s[0:1]
	v_add_co_u32_e64 v0, s[0:1], v0, v38
	v_addc_co_u32_e64 v1, s[0:1], 0, v1, s[0:1]
	s_cselect_b64 s[0:1], -1, 0
	s_and_b64 s[2:3], vcc, s[0:1]
	global_store_dwordx2 v[0:1], v[12:13], off
                                        ; implicit-def: $vgpr4_vgpr5
	s_and_saveexec_b64 s[0:1], s[2:3]
; %bb.122:
	v_add_co_u32_e32 v4, vcc, v14, v16
	v_addc_co_u32_e32 v5, vcc, 0, v15, vcc
	s_or_b64 s[10:11], s[10:11], exec
; %bb.123:
	s_or_b64 exec, exec, s[0:1]
.LBB121_124:
	s_and_saveexec_b64 s[0:1], s[10:11]
	s_cbranch_execnz .LBB121_126
; %bb.125:
	s_endpgm
.LBB121_126:
	v_lshlrev_b32_e32 v6, 3, v2
	v_lshlrev_b64 v[0:1], 3, v[2:3]
	ds_read_b64 v[2:3], v6
	v_mov_b32_e32 v7, s47
	v_add_co_u32_e32 v0, vcc, s46, v0
	v_addc_co_u32_e32 v1, vcc, v7, v1, vcc
	s_waitcnt lgkmcnt(0)
	v_add_co_u32_e32 v2, vcc, v2, v4
	v_addc_co_u32_e32 v3, vcc, v3, v5, vcc
	global_store_dwordx2 v[0:1], v[2:3], off
	s_endpgm
.LBB121_127:
	global_load_dwordx2 v[4:5], v[18:19], off
	s_or_b64 exec, exec, s[28:29]
                                        ; implicit-def: $vgpr6_vgpr7
	s_and_saveexec_b64 s[28:29], s[0:1]
	s_cbranch_execz .LBB121_59
.LBB121_128:
	global_load_dwordx2 v[6:7], v[18:19], off offset:512
	s_or_b64 exec, exec, s[28:29]
                                        ; implicit-def: $vgpr8_vgpr9
	s_and_saveexec_b64 s[0:1], s[2:3]
	s_cbranch_execz .LBB121_60
.LBB121_129:
	global_load_dwordx2 v[8:9], v[18:19], off offset:1024
	s_or_b64 exec, exec, s[0:1]
                                        ; implicit-def: $vgpr10_vgpr11
	s_and_saveexec_b64 s[0:1], s[26:27]
	s_cbranch_execz .LBB121_61
.LBB121_130:
	global_load_dwordx2 v[10:11], v[18:19], off offset:1536
	s_or_b64 exec, exec, s[0:1]
                                        ; implicit-def: $vgpr12_vgpr13
	s_and_saveexec_b64 s[0:1], s[8:9]
	s_cbranch_execz .LBB121_62
.LBB121_131:
	global_load_dwordx2 v[12:13], v[18:19], off offset:2048
	s_or_b64 exec, exec, s[0:1]
                                        ; implicit-def: $vgpr14_vgpr15
	s_and_saveexec_b64 s[0:1], s[10:11]
	s_cbranch_execnz .LBB121_63
	s_branch .LBB121_64
.LBB121_132:
	v_lshlrev_b32_e32 v4, 3, v35
	ds_read_b64 v[4:5], v4
	ds_read_b64 v[6:7], v28 offset:2048
	v_mov_b32_e32 v8, s43
	s_waitcnt lgkmcnt(1)
	v_lshlrev_b64 v[4:5], 3, v[4:5]
	v_add_co_u32_e32 v4, vcc, s42, v4
	v_addc_co_u32_e32 v5, vcc, v8, v5, vcc
	v_add_co_u32_e32 v4, vcc, v4, v28
	v_addc_co_u32_e32 v5, vcc, 0, v5, vcc
	s_waitcnt lgkmcnt(0)
	global_store_dwordx2 v[4:5], v[6:7], off
	s_or_b64 exec, exec, s[0:1]
	s_and_saveexec_b64 s[0:1], s[16:17]
	s_cbranch_execz .LBB121_78
.LBB121_133:
	v_lshlrev_b32_e32 v4, 3, v20
	ds_read_b64 v[4:5], v4
	ds_read_b64 v[6:7], v28 offset:10240
	v_mov_b32_e32 v8, s43
	s_waitcnt lgkmcnt(1)
	v_lshlrev_b64 v[4:5], 3, v[4:5]
	v_add_co_u32_e32 v4, vcc, s42, v4
	v_addc_co_u32_e32 v5, vcc, v8, v5, vcc
	v_add_co_u32_e32 v4, vcc, v4, v29
	v_addc_co_u32_e32 v5, vcc, 0, v5, vcc
	s_waitcnt lgkmcnt(0)
	global_store_dwordx2 v[4:5], v[6:7], off
	s_or_b64 exec, exec, s[0:1]
	s_and_saveexec_b64 s[0:1], s[18:19]
	s_cbranch_execz .LBB121_79
.LBB121_134:
	v_lshlrev_b32_e32 v4, 3, v34
	ds_read_b64 v[4:5], v4
	ds_read_b64 v[6:7], v28 offset:18432
	v_mov_b32_e32 v8, s43
	s_waitcnt lgkmcnt(1)
	v_lshlrev_b64 v[4:5], 3, v[4:5]
	v_add_co_u32_e32 v4, vcc, s42, v4
	v_addc_co_u32_e32 v5, vcc, v8, v5, vcc
	v_add_co_u32_e32 v4, vcc, v4, v30
	v_addc_co_u32_e32 v5, vcc, 0, v5, vcc
	s_waitcnt lgkmcnt(0)
	global_store_dwordx2 v[4:5], v[6:7], off
	s_or_b64 exec, exec, s[0:1]
	s_and_saveexec_b64 s[0:1], s[20:21]
	s_cbranch_execz .LBB121_80
.LBB121_135:
	v_lshlrev_b32_e32 v4, 3, v18
	ds_read_b64 v[4:5], v4
	ds_read_b64 v[6:7], v28 offset:26624
	v_mov_b32_e32 v8, s43
	s_waitcnt lgkmcnt(1)
	v_lshlrev_b64 v[4:5], 3, v[4:5]
	v_add_co_u32_e32 v4, vcc, s42, v4
	v_addc_co_u32_e32 v5, vcc, v8, v5, vcc
	v_add_co_u32_e32 v4, vcc, v4, v31
	v_addc_co_u32_e32 v5, vcc, 0, v5, vcc
	s_waitcnt lgkmcnt(0)
	global_store_dwordx2 v[4:5], v[6:7], off
	s_or_b64 exec, exec, s[0:1]
	s_and_saveexec_b64 s[0:1], s[22:23]
	s_cbranch_execz .LBB121_81
.LBB121_136:
	v_lshlrev_b32_e32 v4, 3, v19
	ds_read_b64 v[4:5], v4
	ds_read_b64 v[6:7], v28 offset:34816
	v_mov_b32_e32 v8, s43
	s_waitcnt lgkmcnt(1)
	v_lshlrev_b64 v[4:5], 3, v[4:5]
	v_add_co_u32_e32 v4, vcc, s42, v4
	v_addc_co_u32_e32 v5, vcc, v8, v5, vcc
	v_add_co_u32_e32 v4, vcc, v4, v32
	v_addc_co_u32_e32 v5, vcc, 0, v5, vcc
	s_waitcnt lgkmcnt(0)
	global_store_dwordx2 v[4:5], v[6:7], off
	s_or_b64 exec, exec, s[0:1]
	s_and_saveexec_b64 s[0:1], s[24:25]
	s_cbranch_execnz .LBB121_82
	s_branch .LBB121_83
	.section	.rodata,"a",@progbits
	.p2align	6, 0x0
	.amdhsa_kernel _ZN7rocprim17ROCPRIM_304000_NS6detail25onesweep_iteration_kernelINS1_34wrapped_radix_sort_onesweep_configINS0_14default_configElN2at4cuda3cub6detail10OpaqueTypeILi8EEEEELb0EPlSC_PSA_SD_mNS0_19identity_decomposerEEEvT1_T2_T3_T4_jPT5_SK_PNS1_23onesweep_lookback_stateET6_jjj
		.amdhsa_group_segment_fixed_size 51200
		.amdhsa_private_segment_fixed_size 0
		.amdhsa_kernarg_size 336
		.amdhsa_user_sgpr_count 6
		.amdhsa_user_sgpr_private_segment_buffer 1
		.amdhsa_user_sgpr_dispatch_ptr 0
		.amdhsa_user_sgpr_queue_ptr 0
		.amdhsa_user_sgpr_kernarg_segment_ptr 1
		.amdhsa_user_sgpr_dispatch_id 0
		.amdhsa_user_sgpr_flat_scratch_init 0
		.amdhsa_user_sgpr_kernarg_preload_length 0
		.amdhsa_user_sgpr_kernarg_preload_offset 0
		.amdhsa_user_sgpr_private_segment_size 0
		.amdhsa_uses_dynamic_stack 0
		.amdhsa_system_sgpr_private_segment_wavefront_offset 0
		.amdhsa_system_sgpr_workgroup_id_x 1
		.amdhsa_system_sgpr_workgroup_id_y 0
		.amdhsa_system_sgpr_workgroup_id_z 0
		.amdhsa_system_sgpr_workgroup_info 0
		.amdhsa_system_vgpr_workitem_id 2
		.amdhsa_next_free_vgpr 48
		.amdhsa_next_free_sgpr 54
		.amdhsa_accum_offset 48
		.amdhsa_reserve_vcc 1
		.amdhsa_reserve_flat_scratch 0
		.amdhsa_float_round_mode_32 0
		.amdhsa_float_round_mode_16_64 0
		.amdhsa_float_denorm_mode_32 3
		.amdhsa_float_denorm_mode_16_64 3
		.amdhsa_dx10_clamp 1
		.amdhsa_ieee_mode 1
		.amdhsa_fp16_overflow 0
		.amdhsa_tg_split 0
		.amdhsa_exception_fp_ieee_invalid_op 0
		.amdhsa_exception_fp_denorm_src 0
		.amdhsa_exception_fp_ieee_div_zero 0
		.amdhsa_exception_fp_ieee_overflow 0
		.amdhsa_exception_fp_ieee_underflow 0
		.amdhsa_exception_fp_ieee_inexact 0
		.amdhsa_exception_int_div_zero 0
	.end_amdhsa_kernel
	.section	.text._ZN7rocprim17ROCPRIM_304000_NS6detail25onesweep_iteration_kernelINS1_34wrapped_radix_sort_onesweep_configINS0_14default_configElN2at4cuda3cub6detail10OpaqueTypeILi8EEEEELb0EPlSC_PSA_SD_mNS0_19identity_decomposerEEEvT1_T2_T3_T4_jPT5_SK_PNS1_23onesweep_lookback_stateET6_jjj,"axG",@progbits,_ZN7rocprim17ROCPRIM_304000_NS6detail25onesweep_iteration_kernelINS1_34wrapped_radix_sort_onesweep_configINS0_14default_configElN2at4cuda3cub6detail10OpaqueTypeILi8EEEEELb0EPlSC_PSA_SD_mNS0_19identity_decomposerEEEvT1_T2_T3_T4_jPT5_SK_PNS1_23onesweep_lookback_stateET6_jjj,comdat
.Lfunc_end121:
	.size	_ZN7rocprim17ROCPRIM_304000_NS6detail25onesweep_iteration_kernelINS1_34wrapped_radix_sort_onesweep_configINS0_14default_configElN2at4cuda3cub6detail10OpaqueTypeILi8EEEEELb0EPlSC_PSA_SD_mNS0_19identity_decomposerEEEvT1_T2_T3_T4_jPT5_SK_PNS1_23onesweep_lookback_stateET6_jjj, .Lfunc_end121-_ZN7rocprim17ROCPRIM_304000_NS6detail25onesweep_iteration_kernelINS1_34wrapped_radix_sort_onesweep_configINS0_14default_configElN2at4cuda3cub6detail10OpaqueTypeILi8EEEEELb0EPlSC_PSA_SD_mNS0_19identity_decomposerEEEvT1_T2_T3_T4_jPT5_SK_PNS1_23onesweep_lookback_stateET6_jjj
                                        ; -- End function
	.section	.AMDGPU.csdata,"",@progbits
; Kernel info:
; codeLenInByte = 11404
; NumSgprs: 58
; NumVgprs: 48
; NumAgprs: 0
; TotalNumVgprs: 48
; ScratchSize: 0
; MemoryBound: 0
; FloatMode: 240
; IeeeMode: 1
; LDSByteSize: 51200 bytes/workgroup (compile time only)
; SGPRBlocks: 7
; VGPRBlocks: 5
; NumSGPRsForWavesPerEU: 58
; NumVGPRsForWavesPerEU: 48
; AccumOffset: 48
; Occupancy: 4
; WaveLimiterHint : 1
; COMPUTE_PGM_RSRC2:SCRATCH_EN: 0
; COMPUTE_PGM_RSRC2:USER_SGPR: 6
; COMPUTE_PGM_RSRC2:TRAP_HANDLER: 0
; COMPUTE_PGM_RSRC2:TGID_X_EN: 1
; COMPUTE_PGM_RSRC2:TGID_Y_EN: 0
; COMPUTE_PGM_RSRC2:TGID_Z_EN: 0
; COMPUTE_PGM_RSRC2:TIDIG_COMP_CNT: 2
; COMPUTE_PGM_RSRC3_GFX90A:ACCUM_OFFSET: 11
; COMPUTE_PGM_RSRC3_GFX90A:TG_SPLIT: 0
	.section	.text._ZN7rocprim17ROCPRIM_304000_NS6detail28radix_sort_block_sort_kernelINS1_36wrapped_radix_sort_block_sort_configINS0_13kernel_configILj256ELj4ELj4294967295EEEfN2at4cuda3cub6detail10OpaqueTypeILi8EEEEELb1EPKfPfPKSB_PSB_NS0_19identity_decomposerEEEvT1_T2_T3_T4_jT5_jj,"axG",@progbits,_ZN7rocprim17ROCPRIM_304000_NS6detail28radix_sort_block_sort_kernelINS1_36wrapped_radix_sort_block_sort_configINS0_13kernel_configILj256ELj4ELj4294967295EEEfN2at4cuda3cub6detail10OpaqueTypeILi8EEEEELb1EPKfPfPKSB_PSB_NS0_19identity_decomposerEEEvT1_T2_T3_T4_jT5_jj,comdat
	.protected	_ZN7rocprim17ROCPRIM_304000_NS6detail28radix_sort_block_sort_kernelINS1_36wrapped_radix_sort_block_sort_configINS0_13kernel_configILj256ELj4ELj4294967295EEEfN2at4cuda3cub6detail10OpaqueTypeILi8EEEEELb1EPKfPfPKSB_PSB_NS0_19identity_decomposerEEEvT1_T2_T3_T4_jT5_jj ; -- Begin function _ZN7rocprim17ROCPRIM_304000_NS6detail28radix_sort_block_sort_kernelINS1_36wrapped_radix_sort_block_sort_configINS0_13kernel_configILj256ELj4ELj4294967295EEEfN2at4cuda3cub6detail10OpaqueTypeILi8EEEEELb1EPKfPfPKSB_PSB_NS0_19identity_decomposerEEEvT1_T2_T3_T4_jT5_jj
	.globl	_ZN7rocprim17ROCPRIM_304000_NS6detail28radix_sort_block_sort_kernelINS1_36wrapped_radix_sort_block_sort_configINS0_13kernel_configILj256ELj4ELj4294967295EEEfN2at4cuda3cub6detail10OpaqueTypeILi8EEEEELb1EPKfPfPKSB_PSB_NS0_19identity_decomposerEEEvT1_T2_T3_T4_jT5_jj
	.p2align	8
	.type	_ZN7rocprim17ROCPRIM_304000_NS6detail28radix_sort_block_sort_kernelINS1_36wrapped_radix_sort_block_sort_configINS0_13kernel_configILj256ELj4ELj4294967295EEEfN2at4cuda3cub6detail10OpaqueTypeILi8EEEEELb1EPKfPfPKSB_PSB_NS0_19identity_decomposerEEEvT1_T2_T3_T4_jT5_jj,@function
_ZN7rocprim17ROCPRIM_304000_NS6detail28radix_sort_block_sort_kernelINS1_36wrapped_radix_sort_block_sort_configINS0_13kernel_configILj256ELj4ELj4294967295EEEfN2at4cuda3cub6detail10OpaqueTypeILi8EEEEELb1EPKfPfPKSB_PSB_NS0_19identity_decomposerEEEvT1_T2_T3_T4_jT5_jj: ; @_ZN7rocprim17ROCPRIM_304000_NS6detail28radix_sort_block_sort_kernelINS1_36wrapped_radix_sort_block_sort_configINS0_13kernel_configILj256ELj4ELj4294967295EEEfN2at4cuda3cub6detail10OpaqueTypeILi8EEEEELb1EPKfPfPKSB_PSB_NS0_19identity_decomposerEEEvT1_T2_T3_T4_jT5_jj
; %bb.0:
	s_load_dword s2, s[4:5], 0x20
	s_load_dwordx8 s[36:43], s[4:5], 0x0
	s_lshl_b32 s28, s6, 10
	s_mov_b32 s29, 0
	v_mbcnt_lo_u32_b32 v1, -1, 0
	s_waitcnt lgkmcnt(0)
	s_lshr_b32 s0, s2, 10
	s_cmp_lg_u32 s6, s0
	s_cselect_b64 s[30:31], -1, 0
	s_lshl_b64 s[34:35], s[28:29], 2
	v_and_b32_e32 v8, 0x3ff, v0
	s_add_u32 s1, s36, s34
	v_mbcnt_hi_u32_b32 v1, -1, v1
	s_addc_u32 s3, s37, s35
	v_lshlrev_b32_e32 v9, 2, v8
	v_lshlrev_b32_e32 v2, 2, v1
	v_and_b32_e32 v10, 0x300, v9
	v_mov_b32_e32 v3, s3
	v_add_co_u32_e32 v2, vcc, s1, v2
	v_addc_co_u32_e32 v3, vcc, 0, v3, vcc
	v_lshlrev_b32_e32 v4, 2, v10
	v_add_co_u32_e32 v6, vcc, v2, v4
	s_cmp_eq_u32 s6, s0
	v_addc_co_u32_e32 v7, vcc, 0, v3, vcc
	v_lshlrev_b32_e32 v15, 3, v1
	v_lshlrev_b32_e32 v14, 3, v10
	v_add_u32_e32 v12, v1, v10
	s_cbranch_scc1 .LBB122_2
; %bb.1:
	s_lshl_b64 s[0:1], s[28:29], 3
	s_add_u32 s0, s40, s0
	s_addc_u32 s1, s41, s1
	v_mov_b32_e32 v11, s1
	v_add_co_u32_e32 v13, vcc, s0, v15
	v_addc_co_u32_e32 v11, vcc, 0, v11, vcc
	v_add_co_u32_e32 v16, vcc, v13, v14
	v_addc_co_u32_e32 v17, vcc, 0, v11, vcc
	global_load_dword v2, v[6:7], off
	global_load_dword v3, v[6:7], off offset:256
	global_load_dword v4, v[6:7], off offset:512
	;; [unrolled: 1-line block ×3, first 2 shown]
	global_load_dwordx2 v[20:21], v[16:17], off
	global_load_dwordx2 v[22:23], v[16:17], off offset:512
	global_load_dwordx2 v[24:25], v[16:17], off offset:1024
	;; [unrolled: 1-line block ×3, first 2 shown]
	v_add_u32_e32 v16, v1, v10
	v_add_u32_e32 v10, 64, v16
	;; [unrolled: 1-line block ×4, first 2 shown]
	s_sub_i32 s33, s2, s28
	s_cbranch_execz .LBB122_3
	s_branch .LBB122_17
.LBB122_2:
                                        ; implicit-def: $vgpr2_vgpr3_vgpr4_vgpr5
                                        ; implicit-def: $vgpr20_vgpr21
                                        ; implicit-def: $vgpr22_vgpr23
                                        ; implicit-def: $vgpr24_vgpr25
                                        ; implicit-def: $vgpr26_vgpr27
                                        ; implicit-def: $vgpr16
                                        ; implicit-def: $vgpr10
                                        ; implicit-def: $vgpr11
                                        ; implicit-def: $vgpr13
	s_sub_i32 s33, s2, s28
.LBB122_3:
	s_mov_b32 s0, -1
	s_mov_b32 s2, s0
	s_mov_b32 s3, s0
	;; [unrolled: 1-line block ×3, first 2 shown]
	s_waitcnt vmcnt(4)
	v_pk_mov_b32 v[4:5], s[2:3], s[2:3] op_sel:[0,1]
	v_cmp_gt_u32_e32 vcc, s33, v12
	v_pk_mov_b32 v[2:3], s[0:1], s[0:1] op_sel:[0,1]
	s_and_saveexec_b64 s[0:1], vcc
	s_cbranch_execz .LBB122_5
; %bb.4:
	global_load_dword v2, v[6:7], off
	v_mov_b32_e32 v3, -1
	v_mov_b32_e32 v4, v3
	v_mov_b32_e32 v5, v3
.LBB122_5:
	s_or_b64 exec, exec, s[0:1]
	v_add_u32_e32 v10, 64, v12
	v_cmp_gt_u32_e64 s[0:1], s33, v10
	s_and_saveexec_b64 s[2:3], s[0:1]
	s_cbranch_execz .LBB122_7
; %bb.6:
	global_load_dword v3, v[6:7], off offset:256
.LBB122_7:
	s_or_b64 exec, exec, s[2:3]
	v_add_u32_e32 v11, 0x80, v12
	v_cmp_gt_u32_e64 s[2:3], s33, v11
	s_and_saveexec_b64 s[6:7], s[2:3]
	s_cbranch_execz .LBB122_9
; %bb.8:
	global_load_dword v4, v[6:7], off offset:512
.LBB122_9:
	;; [unrolled: 8-line block ×3, first 2 shown]
	s_or_b64 exec, exec, s[8:9]
	s_lshl_b64 s[8:9], s[28:29], 3
	s_add_u32 s8, s40, s8
	s_addc_u32 s9, s41, s9
	v_mov_b32_e32 v6, s9
	v_add_co_u32_e64 v7, s[8:9], s8, v15
	v_addc_co_u32_e64 v15, s[8:9], 0, v6, s[8:9]
	v_add_co_u32_e64 v6, s[8:9], v7, v14
	v_addc_co_u32_e64 v7, s[8:9], 0, v15, s[8:9]
                                        ; implicit-def: $vgpr20_vgpr21
	s_and_saveexec_b64 s[8:9], vcc
	s_cbranch_execnz .LBB122_54
; %bb.12:
	s_or_b64 exec, exec, s[8:9]
                                        ; implicit-def: $vgpr22_vgpr23
	s_and_saveexec_b64 s[8:9], s[0:1]
	s_cbranch_execnz .LBB122_55
.LBB122_13:
	s_or_b64 exec, exec, s[8:9]
                                        ; implicit-def: $vgpr24_vgpr25
	s_and_saveexec_b64 s[0:1], s[2:3]
	s_cbranch_execnz .LBB122_56
.LBB122_14:
	s_or_b64 exec, exec, s[0:1]
                                        ; implicit-def: $vgpr26_vgpr27
	s_and_saveexec_b64 s[0:1], s[6:7]
	s_cbranch_execz .LBB122_16
.LBB122_15:
	global_load_dwordx2 v[26:27], v[6:7], off offset:1536
.LBB122_16:
	s_or_b64 exec, exec, s[0:1]
	v_mov_b32_e32 v16, v12
.LBB122_17:
	s_load_dwordx2 s[36:37], s[4:5], 0x28
	s_load_dword s0, s[4:5], 0x3c
	v_bfrev_b32_e32 v28, -2
	s_waitcnt vmcnt(0)
	v_cmp_gt_i32_e32 vcc, 0, v2
	v_cndmask_b32_e64 v6, v28, 0, vcc
	v_cmp_gt_i32_e32 vcc, 0, v3
	v_xor_b32_e32 v2, v6, v2
	v_cndmask_b32_e64 v6, v28, 0, vcc
	v_cmp_gt_i32_e32 vcc, 0, v4
	v_xor_b32_e32 v3, v6, v3
	;; [unrolled: 3-line block ×3, first 2 shown]
	v_cndmask_b32_e64 v4, v28, 0, vcc
	v_xor_b32_e32 v47, v4, v5
	s_waitcnt lgkmcnt(0)
	s_lshr_b32 s1, s0, 16
	v_bfe_u32 v4, v0, 10, 10
	v_bfe_u32 v0, v0, 20, 10
	s_and_b32 s0, s0, 0xffff
	v_mad_u32_u24 v0, v0, s1, v4
	v_mad_u64_u32 v[4:5], s[0:1], v0, s0, v[8:9]
	v_and_b32_e32 v0, 15, v1
	v_cmp_eq_u32_e64 s[0:1], 0, v0
	v_cmp_lt_u32_e64 s[2:3], 1, v0
	v_cmp_lt_u32_e64 s[4:5], 3, v0
	;; [unrolled: 1-line block ×3, first 2 shown]
	v_and_b32_e32 v0, 16, v1
	v_cmp_eq_u32_e64 s[8:9], 0, v0
	v_and_b32_e32 v0, 0x3c0, v8
	v_min_u32_e32 v0, 0xc0, v0
	v_or_b32_e32 v0, 63, v0
	v_lshrrev_b32_e32 v30, 6, v4
	v_cmp_eq_u32_e64 s[12:13], v0, v8
	v_add_u32_e32 v0, -1, v1
	v_and_b32_e32 v4, 64, v1
	v_cmp_lt_i32_e32 vcc, v0, v4
	v_cndmask_b32_e32 v0, v0, v1, vcc
	s_mov_b32 s26, 0
	v_lshlrev_b32_e32 v32, 2, v0
	v_lshrrev_b32_e32 v0, 4, v8
	v_and_b32_e32 v33, 60, v0
	v_and_b32_e32 v0, 3, v1
	v_lshlrev_b32_e32 v35, 2, v16
	v_lshlrev_b32_e32 v36, 2, v10
	;; [unrolled: 1-line block ×4, first 2 shown]
	s_mov_b32 s27, s26
	s_mov_b32 s44, s26
	;; [unrolled: 1-line block ×3, first 2 shown]
	s_add_i32 s40, s37, s36
	v_lshlrev_b32_e32 v29, 2, v9
	v_cmp_lt_u32_e64 s[10:11], 31, v1
	v_cmp_gt_u32_e64 s[14:15], 4, v8
	v_cmp_lt_u32_e64 s[16:17], 63, v8
	v_cmp_eq_u32_e64 s[18:19], 0, v1
	v_cmp_eq_u32_e64 s[20:21], 0, v8
	v_mul_i32_i24_e32 v31, -12, v8
	v_cmp_eq_u32_e64 s[22:23], 0, v0
	v_cmp_lt_u32_e64 s[24:25], 1, v0
	v_add_u32_e32 v34, -4, v33
	v_pk_mov_b32 v[4:5], s[26:27], s[26:27] op_sel:[0,1]
	v_pk_mov_b32 v[6:7], s[44:45], s[44:45] op_sel:[0,1]
	s_brev_b32 s41, 1
	v_add_u32_e32 v39, v35, v35
	v_add_u32_e32 v40, v36, v36
	v_add_u32_e32 v41, v37, v37
	v_add_u32_e32 v42, v38, v38
	v_mov_b32_e32 v18, 0
	s_branch .LBB122_19
.LBB122_18:                             ;   in Loop: Header=BB122_19 Depth=1
	v_lshl_add_u32 v20, v49, 2, v53
	s_barrier
	ds_write_b32 v53, v46
	ds_write_b32 v52, v45
	ds_write_b32 v51, v44
	ds_write_b32 v50, v43
	s_waitcnt lgkmcnt(0)
	s_barrier
	ds_read_b32 v2, v35
	ds_read_b32 v3, v36
	;; [unrolled: 1-line block ×4, first 2 shown]
	s_waitcnt lgkmcnt(0)
	s_barrier
	ds_write_b64 v20, v[16:17]
	v_lshl_add_u32 v20, v48, 2, v52
	ds_write_b64 v20, v[14:15]
	v_lshl_add_u32 v20, v1, 2, v51
	;; [unrolled: 2-line block ×3, first 2 shown]
	ds_write_b64 v20, v[10:11]
	s_waitcnt lgkmcnt(0)
	s_barrier
	ds_read_b64 v[20:21], v39
	ds_read_b64 v[22:23], v40
	;; [unrolled: 1-line block ×4, first 2 shown]
	s_add_i32 s37, s37, -8
	s_waitcnt lgkmcnt(0)
	s_barrier
	s_cbranch_execz .LBB122_35
.LBB122_19:                             ; =>This Inner Loop Header: Depth=1
	v_mov_b32_e32 v46, v2
	s_min_u32 s26, s37, 8
	v_cmp_ne_u32_e32 vcc, s41, v46
	s_lshl_b32 s26, -1, s26
	v_cndmask_b32_e32 v0, v28, v46, vcc
	s_not_b32 s44, s26
	v_lshrrev_b32_e32 v0, s36, v0
	v_and_b32_e32 v0, s44, v0
	v_lshl_add_u32 v1, v0, 2, v30
	v_pk_mov_b32 v[16:17], v[20:21], v[20:21] op_sel:[0,1]
	v_lshl_add_u32 v20, v1, 2, 16
	v_and_b32_e32 v1, 1, v0
	v_add_co_u32_e32 v2, vcc, -1, v1
	v_mov_b32_e32 v44, v19
	v_mov_b32_e32 v45, v3
	v_addc_co_u32_e64 v3, s[26:27], 0, -1, vcc
	v_cmp_ne_u32_e32 vcc, 0, v1
	v_lshlrev_b32_e32 v19, 30, v0
	v_xor_b32_e32 v1, vcc_hi, v3
	v_not_b32_e32 v3, v19
	v_xor_b32_e32 v2, vcc_lo, v2
	v_cmp_gt_i64_e32 vcc, 0, v[18:19]
	v_ashrrev_i32_e32 v3, 31, v3
	v_and_b32_e32 v1, exec_hi, v1
	v_xor_b32_e32 v19, vcc_hi, v3
	v_and_b32_e32 v2, exec_lo, v2
	v_xor_b32_e32 v3, vcc_lo, v3
	v_and_b32_e32 v1, v1, v19
	v_lshlrev_b32_e32 v19, 29, v0
	v_and_b32_e32 v2, v2, v3
	v_not_b32_e32 v3, v19
	v_cmp_gt_i64_e32 vcc, 0, v[18:19]
	v_ashrrev_i32_e32 v3, 31, v3
	v_xor_b32_e32 v19, vcc_hi, v3
	v_xor_b32_e32 v3, vcc_lo, v3
	v_and_b32_e32 v1, v1, v19
	v_lshlrev_b32_e32 v19, 28, v0
	v_and_b32_e32 v2, v2, v3
	v_not_b32_e32 v3, v19
	v_cmp_gt_i64_e32 vcc, 0, v[18:19]
	v_ashrrev_i32_e32 v3, 31, v3
	v_xor_b32_e32 v19, vcc_hi, v3
	;; [unrolled: 8-line block ×5, first 2 shown]
	v_and_b32_e32 v1, v1, v19
	v_lshlrev_b32_e32 v19, 24, v0
	v_not_b32_e32 v0, v19
	v_xor_b32_e32 v3, vcc_lo, v3
	v_cmp_gt_i64_e32 vcc, 0, v[18:19]
	v_ashrrev_i32_e32 v0, 31, v0
	v_and_b32_e32 v2, v2, v3
	v_xor_b32_e32 v3, vcc_hi, v0
	v_xor_b32_e32 v0, vcc_lo, v0
	v_and_b32_e32 v0, v2, v0
	v_and_b32_e32 v1, v1, v3
	v_mbcnt_lo_u32_b32 v2, v0, 0
	v_mbcnt_hi_u32_b32 v21, v1, v2
	v_cmp_eq_u32_e32 vcc, 0, v21
	v_cmp_ne_u64_e64 s[26:27], 0, v[0:1]
	v_mov_b32_e32 v43, v47
	v_pk_mov_b32 v[14:15], v[22:23], v[22:23] op_sel:[0,1]
	v_pk_mov_b32 v[12:13], v[24:25], v[24:25] op_sel:[0,1]
	;; [unrolled: 1-line block ×3, first 2 shown]
	s_and_b64 s[46:47], s[26:27], vcc
	ds_write2_b64 v29, v[4:5], v[6:7] offset0:2 offset1:3
	s_waitcnt lgkmcnt(0)
	s_barrier
	s_waitcnt lgkmcnt(0)
	; wave barrier
	s_and_saveexec_b64 s[26:27], s[46:47]
	s_cbranch_execz .LBB122_21
; %bb.20:                               ;   in Loop: Header=BB122_19 Depth=1
	v_bcnt_u32_b32 v0, v0, 0
	v_bcnt_u32_b32 v0, v1, v0
	ds_write_b32 v20, v0
.LBB122_21:                             ;   in Loop: Header=BB122_19 Depth=1
	s_or_b64 exec, exec, s[26:27]
	v_cmp_ne_u32_e32 vcc, s41, v45
	v_cndmask_b32_e32 v0, v28, v45, vcc
	v_lshrrev_b32_e32 v0, s36, v0
	v_and_b32_e32 v0, s44, v0
	v_lshlrev_b32_e32 v1, 2, v0
	v_add_lshl_u32 v1, v1, v30, 2
	; wave barrier
	v_add_u32_e32 v23, 16, v1
	ds_read_b32 v22, v1 offset:16
	v_and_b32_e32 v1, 1, v0
	v_add_co_u32_e32 v2, vcc, -1, v1
	v_addc_co_u32_e64 v3, s[26:27], 0, -1, vcc
	v_cmp_ne_u32_e32 vcc, 0, v1
	v_lshlrev_b32_e32 v19, 30, v0
	v_xor_b32_e32 v1, vcc_hi, v3
	v_not_b32_e32 v3, v19
	v_xor_b32_e32 v2, vcc_lo, v2
	v_cmp_gt_i64_e32 vcc, 0, v[18:19]
	v_ashrrev_i32_e32 v3, 31, v3
	v_and_b32_e32 v1, exec_hi, v1
	v_xor_b32_e32 v19, vcc_hi, v3
	v_and_b32_e32 v2, exec_lo, v2
	v_xor_b32_e32 v3, vcc_lo, v3
	v_and_b32_e32 v1, v1, v19
	v_lshlrev_b32_e32 v19, 29, v0
	v_and_b32_e32 v2, v2, v3
	v_not_b32_e32 v3, v19
	v_cmp_gt_i64_e32 vcc, 0, v[18:19]
	v_ashrrev_i32_e32 v3, 31, v3
	v_xor_b32_e32 v19, vcc_hi, v3
	v_xor_b32_e32 v3, vcc_lo, v3
	v_and_b32_e32 v1, v1, v19
	v_lshlrev_b32_e32 v19, 28, v0
	v_and_b32_e32 v2, v2, v3
	v_not_b32_e32 v3, v19
	v_cmp_gt_i64_e32 vcc, 0, v[18:19]
	v_ashrrev_i32_e32 v3, 31, v3
	v_xor_b32_e32 v19, vcc_hi, v3
	;; [unrolled: 8-line block ×5, first 2 shown]
	v_and_b32_e32 v1, v1, v19
	v_lshlrev_b32_e32 v19, 24, v0
	v_not_b32_e32 v0, v19
	v_xor_b32_e32 v3, vcc_lo, v3
	v_cmp_gt_i64_e32 vcc, 0, v[18:19]
	v_ashrrev_i32_e32 v0, 31, v0
	v_and_b32_e32 v2, v2, v3
	v_xor_b32_e32 v3, vcc_hi, v0
	v_xor_b32_e32 v0, vcc_lo, v0
	v_and_b32_e32 v0, v2, v0
	v_and_b32_e32 v1, v1, v3
	v_mbcnt_lo_u32_b32 v2, v0, 0
	v_mbcnt_hi_u32_b32 v24, v1, v2
	v_cmp_eq_u32_e32 vcc, 0, v24
	v_cmp_ne_u64_e64 s[26:27], 0, v[0:1]
	s_and_b64 s[46:47], s[26:27], vcc
	; wave barrier
	s_and_saveexec_b64 s[26:27], s[46:47]
	s_cbranch_execz .LBB122_23
; %bb.22:                               ;   in Loop: Header=BB122_19 Depth=1
	v_bcnt_u32_b32 v0, v0, 0
	v_bcnt_u32_b32 v0, v1, v0
	s_waitcnt lgkmcnt(0)
	v_add_u32_e32 v0, v22, v0
	ds_write_b32 v23, v0
.LBB122_23:                             ;   in Loop: Header=BB122_19 Depth=1
	s_or_b64 exec, exec, s[26:27]
	v_cmp_ne_u32_e32 vcc, s41, v44
	v_cndmask_b32_e32 v0, v28, v44, vcc
	v_lshrrev_b32_e32 v0, s36, v0
	v_and_b32_e32 v0, s44, v0
	v_lshlrev_b32_e32 v1, 2, v0
	v_add_lshl_u32 v1, v1, v30, 2
	; wave barrier
	v_add_u32_e32 v26, 16, v1
	ds_read_b32 v25, v1 offset:16
	v_and_b32_e32 v1, 1, v0
	v_add_co_u32_e32 v2, vcc, -1, v1
	v_addc_co_u32_e64 v3, s[26:27], 0, -1, vcc
	v_cmp_ne_u32_e32 vcc, 0, v1
	v_lshlrev_b32_e32 v19, 30, v0
	v_xor_b32_e32 v1, vcc_hi, v3
	v_not_b32_e32 v3, v19
	v_xor_b32_e32 v2, vcc_lo, v2
	v_cmp_gt_i64_e32 vcc, 0, v[18:19]
	v_ashrrev_i32_e32 v3, 31, v3
	v_and_b32_e32 v1, exec_hi, v1
	v_xor_b32_e32 v19, vcc_hi, v3
	v_and_b32_e32 v2, exec_lo, v2
	v_xor_b32_e32 v3, vcc_lo, v3
	v_and_b32_e32 v1, v1, v19
	v_lshlrev_b32_e32 v19, 29, v0
	v_and_b32_e32 v2, v2, v3
	v_not_b32_e32 v3, v19
	v_cmp_gt_i64_e32 vcc, 0, v[18:19]
	v_ashrrev_i32_e32 v3, 31, v3
	v_xor_b32_e32 v19, vcc_hi, v3
	v_xor_b32_e32 v3, vcc_lo, v3
	v_and_b32_e32 v1, v1, v19
	v_lshlrev_b32_e32 v19, 28, v0
	v_and_b32_e32 v2, v2, v3
	v_not_b32_e32 v3, v19
	v_cmp_gt_i64_e32 vcc, 0, v[18:19]
	v_ashrrev_i32_e32 v3, 31, v3
	v_xor_b32_e32 v19, vcc_hi, v3
	;; [unrolled: 8-line block ×5, first 2 shown]
	v_and_b32_e32 v1, v1, v19
	v_lshlrev_b32_e32 v19, 24, v0
	v_not_b32_e32 v0, v19
	v_xor_b32_e32 v3, vcc_lo, v3
	v_cmp_gt_i64_e32 vcc, 0, v[18:19]
	v_ashrrev_i32_e32 v0, 31, v0
	v_and_b32_e32 v2, v2, v3
	v_xor_b32_e32 v3, vcc_hi, v0
	v_xor_b32_e32 v0, vcc_lo, v0
	v_and_b32_e32 v0, v2, v0
	v_and_b32_e32 v1, v1, v3
	v_mbcnt_lo_u32_b32 v2, v0, 0
	v_mbcnt_hi_u32_b32 v27, v1, v2
	v_cmp_eq_u32_e32 vcc, 0, v27
	v_cmp_ne_u64_e64 s[26:27], 0, v[0:1]
	s_and_b64 s[46:47], s[26:27], vcc
	; wave barrier
	s_and_saveexec_b64 s[26:27], s[46:47]
	s_cbranch_execz .LBB122_25
; %bb.24:                               ;   in Loop: Header=BB122_19 Depth=1
	v_bcnt_u32_b32 v0, v0, 0
	v_bcnt_u32_b32 v0, v1, v0
	s_waitcnt lgkmcnt(0)
	v_add_u32_e32 v0, v25, v0
	ds_write_b32 v26, v0
.LBB122_25:                             ;   in Loop: Header=BB122_19 Depth=1
	s_or_b64 exec, exec, s[26:27]
	v_cmp_ne_u32_e32 vcc, s41, v43
	v_cndmask_b32_e32 v0, v28, v43, vcc
	v_lshrrev_b32_e32 v0, s36, v0
	v_and_b32_e32 v0, s44, v0
	v_lshlrev_b32_e32 v1, 2, v0
	v_add_lshl_u32 v1, v1, v30, 2
	; wave barrier
	v_add_u32_e32 v48, 16, v1
	ds_read_b32 v47, v1 offset:16
	v_and_b32_e32 v1, 1, v0
	v_add_co_u32_e32 v2, vcc, -1, v1
	v_addc_co_u32_e64 v3, s[26:27], 0, -1, vcc
	v_cmp_ne_u32_e32 vcc, 0, v1
	v_lshlrev_b32_e32 v19, 30, v0
	v_xor_b32_e32 v1, vcc_hi, v3
	v_not_b32_e32 v3, v19
	v_xor_b32_e32 v2, vcc_lo, v2
	v_cmp_gt_i64_e32 vcc, 0, v[18:19]
	v_ashrrev_i32_e32 v3, 31, v3
	v_and_b32_e32 v1, exec_hi, v1
	v_xor_b32_e32 v19, vcc_hi, v3
	v_and_b32_e32 v2, exec_lo, v2
	v_xor_b32_e32 v3, vcc_lo, v3
	v_and_b32_e32 v1, v1, v19
	v_lshlrev_b32_e32 v19, 29, v0
	v_and_b32_e32 v2, v2, v3
	v_not_b32_e32 v3, v19
	v_cmp_gt_i64_e32 vcc, 0, v[18:19]
	v_ashrrev_i32_e32 v3, 31, v3
	v_xor_b32_e32 v19, vcc_hi, v3
	v_xor_b32_e32 v3, vcc_lo, v3
	v_and_b32_e32 v1, v1, v19
	v_lshlrev_b32_e32 v19, 28, v0
	v_and_b32_e32 v2, v2, v3
	v_not_b32_e32 v3, v19
	v_cmp_gt_i64_e32 vcc, 0, v[18:19]
	v_ashrrev_i32_e32 v3, 31, v3
	v_xor_b32_e32 v19, vcc_hi, v3
	;; [unrolled: 8-line block ×5, first 2 shown]
	v_and_b32_e32 v1, v1, v19
	v_lshlrev_b32_e32 v19, 24, v0
	v_not_b32_e32 v0, v19
	v_xor_b32_e32 v3, vcc_lo, v3
	v_cmp_gt_i64_e32 vcc, 0, v[18:19]
	v_ashrrev_i32_e32 v0, 31, v0
	v_and_b32_e32 v2, v2, v3
	v_xor_b32_e32 v3, vcc_hi, v0
	v_xor_b32_e32 v0, vcc_lo, v0
	v_and_b32_e32 v0, v2, v0
	v_and_b32_e32 v1, v1, v3
	v_mbcnt_lo_u32_b32 v2, v0, 0
	v_mbcnt_hi_u32_b32 v19, v1, v2
	v_cmp_eq_u32_e32 vcc, 0, v19
	v_cmp_ne_u64_e64 s[26:27], 0, v[0:1]
	s_and_b64 s[44:45], s[26:27], vcc
	; wave barrier
	s_and_saveexec_b64 s[26:27], s[44:45]
	s_cbranch_execz .LBB122_27
; %bb.26:                               ;   in Loop: Header=BB122_19 Depth=1
	v_bcnt_u32_b32 v0, v0, 0
	v_bcnt_u32_b32 v0, v1, v0
	s_waitcnt lgkmcnt(0)
	v_add_u32_e32 v0, v47, v0
	ds_write_b32 v48, v0
.LBB122_27:                             ;   in Loop: Header=BB122_19 Depth=1
	s_or_b64 exec, exec, s[26:27]
	; wave barrier
	s_waitcnt lgkmcnt(0)
	s_barrier
	ds_read2_b64 v[0:3], v29 offset0:2 offset1:3
	s_waitcnt lgkmcnt(0)
	v_add_u32_e32 v49, v1, v0
	v_add3_u32 v3, v49, v2, v3
	s_nop 1
	v_mov_b32_dpp v49, v3 row_shr:1 row_mask:0xf bank_mask:0xf
	v_cndmask_b32_e64 v49, v49, 0, s[0:1]
	v_add_u32_e32 v3, v49, v3
	s_nop 1
	v_mov_b32_dpp v49, v3 row_shr:2 row_mask:0xf bank_mask:0xf
	v_cndmask_b32_e64 v49, 0, v49, s[2:3]
	v_add_u32_e32 v3, v3, v49
	;; [unrolled: 4-line block ×4, first 2 shown]
	s_nop 1
	v_mov_b32_dpp v49, v3 row_bcast:15 row_mask:0xf bank_mask:0xf
	v_cndmask_b32_e64 v49, v49, 0, s[8:9]
	v_add_u32_e32 v3, v3, v49
	s_nop 1
	v_mov_b32_dpp v49, v3 row_bcast:31 row_mask:0xf bank_mask:0xf
	v_cndmask_b32_e64 v49, 0, v49, s[10:11]
	v_add_u32_e32 v3, v3, v49
	s_and_saveexec_b64 s[26:27], s[12:13]
	s_cbranch_execz .LBB122_29
; %bb.28:                               ;   in Loop: Header=BB122_19 Depth=1
	ds_write_b32 v33, v3
.LBB122_29:                             ;   in Loop: Header=BB122_19 Depth=1
	s_or_b64 exec, exec, s[26:27]
	s_waitcnt lgkmcnt(0)
	s_barrier
	s_and_saveexec_b64 s[26:27], s[14:15]
	s_cbranch_execz .LBB122_31
; %bb.30:                               ;   in Loop: Header=BB122_19 Depth=1
	v_add_u32_e32 v49, v29, v31
	ds_read_b32 v50, v49
	s_waitcnt lgkmcnt(0)
	s_nop 0
	v_mov_b32_dpp v51, v50 row_shr:1 row_mask:0xf bank_mask:0xf
	v_cndmask_b32_e64 v51, v51, 0, s[22:23]
	v_add_u32_e32 v50, v51, v50
	s_nop 1
	v_mov_b32_dpp v51, v50 row_shr:2 row_mask:0xf bank_mask:0xf
	v_cndmask_b32_e64 v51, 0, v51, s[24:25]
	v_add_u32_e32 v50, v50, v51
	ds_write_b32 v49, v50
.LBB122_31:                             ;   in Loop: Header=BB122_19 Depth=1
	s_or_b64 exec, exec, s[26:27]
	v_mov_b32_e32 v49, 0
	s_waitcnt lgkmcnt(0)
	s_barrier
	s_and_saveexec_b64 s[26:27], s[16:17]
	s_cbranch_execz .LBB122_33
; %bb.32:                               ;   in Loop: Header=BB122_19 Depth=1
	ds_read_b32 v49, v34
.LBB122_33:                             ;   in Loop: Header=BB122_19 Depth=1
	s_or_b64 exec, exec, s[26:27]
	s_waitcnt lgkmcnt(0)
	v_add_u32_e32 v3, v49, v3
	ds_bpermute_b32 v3, v32, v3
	s_add_i32 s36, s36, 8
	s_cmp_ge_u32 s36, s40
	s_waitcnt lgkmcnt(0)
	v_cndmask_b32_e64 v3, v3, v49, s[18:19]
	v_cndmask_b32_e64 v50, v3, 0, s[20:21]
	v_add_u32_e32 v51, v50, v0
	v_add_u32_e32 v0, v51, v1
	;; [unrolled: 1-line block ×3, first 2 shown]
	ds_write2_b64 v29, v[50:51], v[0:1] offset0:2 offset1:3
	s_waitcnt lgkmcnt(0)
	s_barrier
	ds_read_b32 v0, v20
	ds_read_b32 v1, v23
	;; [unrolled: 1-line block ×4, first 2 shown]
	s_waitcnt lgkmcnt(0)
	v_add_u32_e32 v49, v0, v21
	v_add3_u32 v48, v24, v22, v1
	v_add3_u32 v1, v27, v25, v2
	v_add3_u32 v0, v19, v47, v3
	v_lshlrev_b32_e32 v53, 2, v49
	v_lshlrev_b32_e32 v52, 2, v48
	;; [unrolled: 1-line block ×4, first 2 shown]
	s_cbranch_scc0 .LBB122_18
; %bb.34:
                                        ; implicit-def: $vgpr47
                                        ; implicit-def: $vgpr19
                                        ; implicit-def: $vgpr3
                                        ; implicit-def: $vgpr2
                                        ; implicit-def: $sgpr36
                                        ; implicit-def: $vgpr20_vgpr21
                                        ; implicit-def: $vgpr22_vgpr23
                                        ; implicit-def: $vgpr24_vgpr25
                                        ; implicit-def: $vgpr26_vgpr27
.LBB122_35:
	s_barrier
	ds_write_b32 v53, v46
	ds_write_b32 v52, v45
	;; [unrolled: 1-line block ×4, first 2 shown]
	s_waitcnt lgkmcnt(0)
	s_barrier
	v_add_u32_e32 v2, v29, v31
	ds_read2st64_b32 v[18:19], v9 offset0:4 offset1:8
	ds_read_b32 v20, v2
	ds_read_b32 v21, v9 offset:3072
	v_lshl_add_u32 v2, v49, 2, v53
	s_waitcnt lgkmcnt(0)
	s_barrier
	ds_write_b64 v2, v[16:17]
	v_lshl_add_u32 v2, v48, 2, v52
	v_lshl_add_u32 v1, v1, 2, v51
	;; [unrolled: 1-line block ×3, first 2 shown]
	ds_write_b64 v2, v[14:15]
	ds_write_b64 v1, v[12:13]
	;; [unrolled: 1-line block ×3, first 2 shown]
	v_bfrev_b32_e32 v10, -2
	v_cmp_gt_i32_e32 vcc, 0, v20
	v_cndmask_b32_e64 v11, v10, 0, vcc
	v_cmp_gt_i32_e32 vcc, 0, v18
	v_add_u32_e32 v0, v9, v9
	v_xor_b32_e32 v16, v11, v20
	v_cndmask_b32_e64 v11, v10, 0, vcc
	v_cmp_gt_i32_e32 vcc, 0, v19
	s_waitcnt lgkmcnt(0)
	s_barrier
	ds_read2st64_b64 v[4:7], v0 offset1:4
	ds_read2st64_b64 v[0:3], v0 offset0:8 offset1:12
	v_xor_b32_e32 v15, v11, v18
	v_cndmask_b32_e64 v11, v10, 0, vcc
	v_cmp_gt_i32_e32 vcc, 0, v21
	s_add_u32 s0, s38, s34
	v_cndmask_b32_e64 v10, v10, 0, vcc
	s_addc_u32 s1, s39, s35
	v_xor_b32_e32 v14, v11, v19
	v_xor_b32_e32 v13, v10, v21
	v_mov_b32_e32 v11, s1
	v_add_co_u32_e32 v10, vcc, s0, v9
	v_addc_co_u32_e32 v11, vcc, 0, v11, vcc
	s_andn2_b64 vcc, exec, s[30:31]
	v_lshlrev_b32_e32 v12, 3, v8
	s_cbranch_vccnz .LBB122_37
; %bb.36:
	s_lshl_b64 s[0:1], s[28:29], 3
	s_add_u32 s0, s42, s0
	s_addc_u32 s1, s43, s1
	v_mov_b32_e32 v9, s1
	v_add_co_u32_e32 v17, vcc, s0, v12
	v_addc_co_u32_e32 v9, vcc, 0, v9, vcc
	v_add_co_u32_e32 v18, vcc, 0x1000, v17
	global_store_dword v[10:11], v16, off
	global_store_dword v[10:11], v15, off offset:1024
	global_store_dword v[10:11], v14, off offset:2048
	;; [unrolled: 1-line block ×3, first 2 shown]
	s_waitcnt lgkmcnt(1)
	global_store_dwordx2 v12, v[4:5], s[0:1]
	global_store_dwordx2 v12, v[6:7], s[0:1] offset:2048
	v_addc_co_u32_e32 v19, vcc, 0, v9, vcc
	s_mov_b64 s[6:7], -1
	s_waitcnt lgkmcnt(0)
	global_store_dwordx2 v[18:19], v[0:1], off
	s_cbranch_execz .LBB122_38
	s_branch .LBB122_51
.LBB122_37:
	s_mov_b64 s[6:7], 0
.LBB122_38:
	v_cmp_gt_u32_e32 vcc, s33, v8
	s_and_saveexec_b64 s[0:1], vcc
	s_cbranch_execz .LBB122_40
; %bb.39:
	global_store_dword v[10:11], v16, off
.LBB122_40:
	s_or_b64 exec, exec, s[0:1]
	v_add_u32_e32 v9, 0x100, v8
	v_cmp_gt_u32_e64 s[0:1], s33, v9
	s_and_saveexec_b64 s[2:3], s[0:1]
	s_cbranch_execz .LBB122_42
; %bb.41:
	global_store_dword v[10:11], v15, off offset:1024
.LBB122_42:
	s_or_b64 exec, exec, s[2:3]
	v_add_u32_e32 v9, 0x200, v8
	v_cmp_gt_u32_e64 s[2:3], s33, v9
	s_and_saveexec_b64 s[4:5], s[2:3]
	s_cbranch_execz .LBB122_44
; %bb.43:
	global_store_dword v[10:11], v14, off offset:2048
.LBB122_44:
	;; [unrolled: 8-line block ×3, first 2 shown]
	s_or_b64 exec, exec, s[4:5]
	s_lshl_b64 s[4:5], s[28:29], 3
	s_add_u32 s4, s42, s4
	s_addc_u32 s5, s43, s5
	v_mov_b32_e32 v9, s5
	v_add_co_u32_e64 v8, s[4:5], s4, v12
	v_addc_co_u32_e64 v9, s[4:5], 0, v9, s[4:5]
	s_and_saveexec_b64 s[4:5], vcc
	s_cbranch_execnz .LBB122_57
; %bb.47:
	s_or_b64 exec, exec, s[4:5]
	s_and_saveexec_b64 s[4:5], s[0:1]
	s_cbranch_execnz .LBB122_58
.LBB122_48:
	s_or_b64 exec, exec, s[4:5]
	s_and_saveexec_b64 s[0:1], s[2:3]
	s_cbranch_execz .LBB122_50
.LBB122_49:
	s_waitcnt lgkmcnt(1)
	v_add_co_u32_e32 v4, vcc, 0x1000, v8
	v_addc_co_u32_e32 v5, vcc, 0, v9, vcc
	s_waitcnt lgkmcnt(0)
	global_store_dwordx2 v[4:5], v[0:1], off
.LBB122_50:
	s_or_b64 exec, exec, s[0:1]
.LBB122_51:
	s_and_saveexec_b64 s[0:1], s[6:7]
	s_cbranch_execnz .LBB122_53
; %bb.52:
	s_endpgm
.LBB122_53:
	s_lshl_b64 s[0:1], s[28:29], 3
	s_add_u32 s0, s42, s0
	s_addc_u32 s1, s43, s1
	s_waitcnt lgkmcnt(0)
	v_mov_b32_e32 v0, s1
	v_add_co_u32_e32 v1, vcc, s0, v12
	v_addc_co_u32_e32 v4, vcc, 0, v0, vcc
	v_add_co_u32_e32 v0, vcc, 0x1000, v1
	v_addc_co_u32_e32 v1, vcc, 0, v4, vcc
	global_store_dwordx2 v[0:1], v[2:3], off offset:2048
	s_endpgm
.LBB122_54:
	global_load_dwordx2 v[20:21], v[6:7], off
	s_or_b64 exec, exec, s[8:9]
                                        ; implicit-def: $vgpr22_vgpr23
	s_and_saveexec_b64 s[8:9], s[0:1]
	s_cbranch_execz .LBB122_13
.LBB122_55:
	global_load_dwordx2 v[22:23], v[6:7], off offset:512
	s_or_b64 exec, exec, s[8:9]
                                        ; implicit-def: $vgpr24_vgpr25
	s_and_saveexec_b64 s[0:1], s[2:3]
	s_cbranch_execz .LBB122_14
.LBB122_56:
	global_load_dwordx2 v[24:25], v[6:7], off offset:1024
	s_or_b64 exec, exec, s[0:1]
                                        ; implicit-def: $vgpr26_vgpr27
	s_and_saveexec_b64 s[0:1], s[6:7]
	s_cbranch_execnz .LBB122_15
	s_branch .LBB122_16
.LBB122_57:
	s_waitcnt lgkmcnt(1)
	global_store_dwordx2 v[8:9], v[4:5], off
	s_or_b64 exec, exec, s[4:5]
	s_and_saveexec_b64 s[4:5], s[0:1]
	s_cbranch_execz .LBB122_48
.LBB122_58:
	s_waitcnt lgkmcnt(1)
	global_store_dwordx2 v[8:9], v[6:7], off offset:2048
	s_or_b64 exec, exec, s[4:5]
	s_and_saveexec_b64 s[0:1], s[2:3]
	s_cbranch_execnz .LBB122_49
	s_branch .LBB122_50
	.section	.rodata,"a",@progbits
	.p2align	6, 0x0
	.amdhsa_kernel _ZN7rocprim17ROCPRIM_304000_NS6detail28radix_sort_block_sort_kernelINS1_36wrapped_radix_sort_block_sort_configINS0_13kernel_configILj256ELj4ELj4294967295EEEfN2at4cuda3cub6detail10OpaqueTypeILi8EEEEELb1EPKfPfPKSB_PSB_NS0_19identity_decomposerEEEvT1_T2_T3_T4_jT5_jj
		.amdhsa_group_segment_fixed_size 8192
		.amdhsa_private_segment_fixed_size 0
		.amdhsa_kernarg_size 304
		.amdhsa_user_sgpr_count 6
		.amdhsa_user_sgpr_private_segment_buffer 1
		.amdhsa_user_sgpr_dispatch_ptr 0
		.amdhsa_user_sgpr_queue_ptr 0
		.amdhsa_user_sgpr_kernarg_segment_ptr 1
		.amdhsa_user_sgpr_dispatch_id 0
		.amdhsa_user_sgpr_flat_scratch_init 0
		.amdhsa_user_sgpr_kernarg_preload_length 0
		.amdhsa_user_sgpr_kernarg_preload_offset 0
		.amdhsa_user_sgpr_private_segment_size 0
		.amdhsa_uses_dynamic_stack 0
		.amdhsa_system_sgpr_private_segment_wavefront_offset 0
		.amdhsa_system_sgpr_workgroup_id_x 1
		.amdhsa_system_sgpr_workgroup_id_y 0
		.amdhsa_system_sgpr_workgroup_id_z 0
		.amdhsa_system_sgpr_workgroup_info 0
		.amdhsa_system_vgpr_workitem_id 2
		.amdhsa_next_free_vgpr 54
		.amdhsa_next_free_sgpr 48
		.amdhsa_accum_offset 56
		.amdhsa_reserve_vcc 1
		.amdhsa_reserve_flat_scratch 0
		.amdhsa_float_round_mode_32 0
		.amdhsa_float_round_mode_16_64 0
		.amdhsa_float_denorm_mode_32 3
		.amdhsa_float_denorm_mode_16_64 3
		.amdhsa_dx10_clamp 1
		.amdhsa_ieee_mode 1
		.amdhsa_fp16_overflow 0
		.amdhsa_tg_split 0
		.amdhsa_exception_fp_ieee_invalid_op 0
		.amdhsa_exception_fp_denorm_src 0
		.amdhsa_exception_fp_ieee_div_zero 0
		.amdhsa_exception_fp_ieee_overflow 0
		.amdhsa_exception_fp_ieee_underflow 0
		.amdhsa_exception_fp_ieee_inexact 0
		.amdhsa_exception_int_div_zero 0
	.end_amdhsa_kernel
	.section	.text._ZN7rocprim17ROCPRIM_304000_NS6detail28radix_sort_block_sort_kernelINS1_36wrapped_radix_sort_block_sort_configINS0_13kernel_configILj256ELj4ELj4294967295EEEfN2at4cuda3cub6detail10OpaqueTypeILi8EEEEELb1EPKfPfPKSB_PSB_NS0_19identity_decomposerEEEvT1_T2_T3_T4_jT5_jj,"axG",@progbits,_ZN7rocprim17ROCPRIM_304000_NS6detail28radix_sort_block_sort_kernelINS1_36wrapped_radix_sort_block_sort_configINS0_13kernel_configILj256ELj4ELj4294967295EEEfN2at4cuda3cub6detail10OpaqueTypeILi8EEEEELb1EPKfPfPKSB_PSB_NS0_19identity_decomposerEEEvT1_T2_T3_T4_jT5_jj,comdat
.Lfunc_end122:
	.size	_ZN7rocprim17ROCPRIM_304000_NS6detail28radix_sort_block_sort_kernelINS1_36wrapped_radix_sort_block_sort_configINS0_13kernel_configILj256ELj4ELj4294967295EEEfN2at4cuda3cub6detail10OpaqueTypeILi8EEEEELb1EPKfPfPKSB_PSB_NS0_19identity_decomposerEEEvT1_T2_T3_T4_jT5_jj, .Lfunc_end122-_ZN7rocprim17ROCPRIM_304000_NS6detail28radix_sort_block_sort_kernelINS1_36wrapped_radix_sort_block_sort_configINS0_13kernel_configILj256ELj4ELj4294967295EEEfN2at4cuda3cub6detail10OpaqueTypeILi8EEEEELb1EPKfPfPKSB_PSB_NS0_19identity_decomposerEEEvT1_T2_T3_T4_jT5_jj
                                        ; -- End function
	.section	.AMDGPU.csdata,"",@progbits
; Kernel info:
; codeLenInByte = 3996
; NumSgprs: 52
; NumVgprs: 54
; NumAgprs: 0
; TotalNumVgprs: 54
; ScratchSize: 0
; MemoryBound: 0
; FloatMode: 240
; IeeeMode: 1
; LDSByteSize: 8192 bytes/workgroup (compile time only)
; SGPRBlocks: 6
; VGPRBlocks: 6
; NumSGPRsForWavesPerEU: 52
; NumVGPRsForWavesPerEU: 54
; AccumOffset: 56
; Occupancy: 8
; WaveLimiterHint : 1
; COMPUTE_PGM_RSRC2:SCRATCH_EN: 0
; COMPUTE_PGM_RSRC2:USER_SGPR: 6
; COMPUTE_PGM_RSRC2:TRAP_HANDLER: 0
; COMPUTE_PGM_RSRC2:TGID_X_EN: 1
; COMPUTE_PGM_RSRC2:TGID_Y_EN: 0
; COMPUTE_PGM_RSRC2:TGID_Z_EN: 0
; COMPUTE_PGM_RSRC2:TIDIG_COMP_CNT: 2
; COMPUTE_PGM_RSRC3_GFX90A:ACCUM_OFFSET: 13
; COMPUTE_PGM_RSRC3_GFX90A:TG_SPLIT: 0
	.section	.text._ZN7rocprim17ROCPRIM_304000_NS6detail39device_merge_sort_compile_time_verifierINS1_36wrapped_merge_sort_block_sort_configINS1_28merge_sort_block_sort_configILj256ELj4ELNS0_20block_sort_algorithmE0EEEfN2at4cuda3cub6detail10OpaqueTypeILi8EEEEENS1_37wrapped_merge_sort_block_merge_configINS0_14default_configEfSC_EEEEvv,"axG",@progbits,_ZN7rocprim17ROCPRIM_304000_NS6detail39device_merge_sort_compile_time_verifierINS1_36wrapped_merge_sort_block_sort_configINS1_28merge_sort_block_sort_configILj256ELj4ELNS0_20block_sort_algorithmE0EEEfN2at4cuda3cub6detail10OpaqueTypeILi8EEEEENS1_37wrapped_merge_sort_block_merge_configINS0_14default_configEfSC_EEEEvv,comdat
	.protected	_ZN7rocprim17ROCPRIM_304000_NS6detail39device_merge_sort_compile_time_verifierINS1_36wrapped_merge_sort_block_sort_configINS1_28merge_sort_block_sort_configILj256ELj4ELNS0_20block_sort_algorithmE0EEEfN2at4cuda3cub6detail10OpaqueTypeILi8EEEEENS1_37wrapped_merge_sort_block_merge_configINS0_14default_configEfSC_EEEEvv ; -- Begin function _ZN7rocprim17ROCPRIM_304000_NS6detail39device_merge_sort_compile_time_verifierINS1_36wrapped_merge_sort_block_sort_configINS1_28merge_sort_block_sort_configILj256ELj4ELNS0_20block_sort_algorithmE0EEEfN2at4cuda3cub6detail10OpaqueTypeILi8EEEEENS1_37wrapped_merge_sort_block_merge_configINS0_14default_configEfSC_EEEEvv
	.globl	_ZN7rocprim17ROCPRIM_304000_NS6detail39device_merge_sort_compile_time_verifierINS1_36wrapped_merge_sort_block_sort_configINS1_28merge_sort_block_sort_configILj256ELj4ELNS0_20block_sort_algorithmE0EEEfN2at4cuda3cub6detail10OpaqueTypeILi8EEEEENS1_37wrapped_merge_sort_block_merge_configINS0_14default_configEfSC_EEEEvv
	.p2align	8
	.type	_ZN7rocprim17ROCPRIM_304000_NS6detail39device_merge_sort_compile_time_verifierINS1_36wrapped_merge_sort_block_sort_configINS1_28merge_sort_block_sort_configILj256ELj4ELNS0_20block_sort_algorithmE0EEEfN2at4cuda3cub6detail10OpaqueTypeILi8EEEEENS1_37wrapped_merge_sort_block_merge_configINS0_14default_configEfSC_EEEEvv,@function
_ZN7rocprim17ROCPRIM_304000_NS6detail39device_merge_sort_compile_time_verifierINS1_36wrapped_merge_sort_block_sort_configINS1_28merge_sort_block_sort_configILj256ELj4ELNS0_20block_sort_algorithmE0EEEfN2at4cuda3cub6detail10OpaqueTypeILi8EEEEENS1_37wrapped_merge_sort_block_merge_configINS0_14default_configEfSC_EEEEvv: ; @_ZN7rocprim17ROCPRIM_304000_NS6detail39device_merge_sort_compile_time_verifierINS1_36wrapped_merge_sort_block_sort_configINS1_28merge_sort_block_sort_configILj256ELj4ELNS0_20block_sort_algorithmE0EEEfN2at4cuda3cub6detail10OpaqueTypeILi8EEEEENS1_37wrapped_merge_sort_block_merge_configINS0_14default_configEfSC_EEEEvv
; %bb.0:
	s_endpgm
	.section	.rodata,"a",@progbits
	.p2align	6, 0x0
	.amdhsa_kernel _ZN7rocprim17ROCPRIM_304000_NS6detail39device_merge_sort_compile_time_verifierINS1_36wrapped_merge_sort_block_sort_configINS1_28merge_sort_block_sort_configILj256ELj4ELNS0_20block_sort_algorithmE0EEEfN2at4cuda3cub6detail10OpaqueTypeILi8EEEEENS1_37wrapped_merge_sort_block_merge_configINS0_14default_configEfSC_EEEEvv
		.amdhsa_group_segment_fixed_size 0
		.amdhsa_private_segment_fixed_size 0
		.amdhsa_kernarg_size 0
		.amdhsa_user_sgpr_count 4
		.amdhsa_user_sgpr_private_segment_buffer 1
		.amdhsa_user_sgpr_dispatch_ptr 0
		.amdhsa_user_sgpr_queue_ptr 0
		.amdhsa_user_sgpr_kernarg_segment_ptr 0
		.amdhsa_user_sgpr_dispatch_id 0
		.amdhsa_user_sgpr_flat_scratch_init 0
		.amdhsa_user_sgpr_kernarg_preload_length 0
		.amdhsa_user_sgpr_kernarg_preload_offset 0
		.amdhsa_user_sgpr_private_segment_size 0
		.amdhsa_uses_dynamic_stack 0
		.amdhsa_system_sgpr_private_segment_wavefront_offset 0
		.amdhsa_system_sgpr_workgroup_id_x 1
		.amdhsa_system_sgpr_workgroup_id_y 0
		.amdhsa_system_sgpr_workgroup_id_z 0
		.amdhsa_system_sgpr_workgroup_info 0
		.amdhsa_system_vgpr_workitem_id 0
		.amdhsa_next_free_vgpr 1
		.amdhsa_next_free_sgpr 0
		.amdhsa_accum_offset 4
		.amdhsa_reserve_vcc 0
		.amdhsa_reserve_flat_scratch 0
		.amdhsa_float_round_mode_32 0
		.amdhsa_float_round_mode_16_64 0
		.amdhsa_float_denorm_mode_32 3
		.amdhsa_float_denorm_mode_16_64 3
		.amdhsa_dx10_clamp 1
		.amdhsa_ieee_mode 1
		.amdhsa_fp16_overflow 0
		.amdhsa_tg_split 0
		.amdhsa_exception_fp_ieee_invalid_op 0
		.amdhsa_exception_fp_denorm_src 0
		.amdhsa_exception_fp_ieee_div_zero 0
		.amdhsa_exception_fp_ieee_overflow 0
		.amdhsa_exception_fp_ieee_underflow 0
		.amdhsa_exception_fp_ieee_inexact 0
		.amdhsa_exception_int_div_zero 0
	.end_amdhsa_kernel
	.section	.text._ZN7rocprim17ROCPRIM_304000_NS6detail39device_merge_sort_compile_time_verifierINS1_36wrapped_merge_sort_block_sort_configINS1_28merge_sort_block_sort_configILj256ELj4ELNS0_20block_sort_algorithmE0EEEfN2at4cuda3cub6detail10OpaqueTypeILi8EEEEENS1_37wrapped_merge_sort_block_merge_configINS0_14default_configEfSC_EEEEvv,"axG",@progbits,_ZN7rocprim17ROCPRIM_304000_NS6detail39device_merge_sort_compile_time_verifierINS1_36wrapped_merge_sort_block_sort_configINS1_28merge_sort_block_sort_configILj256ELj4ELNS0_20block_sort_algorithmE0EEEfN2at4cuda3cub6detail10OpaqueTypeILi8EEEEENS1_37wrapped_merge_sort_block_merge_configINS0_14default_configEfSC_EEEEvv,comdat
.Lfunc_end123:
	.size	_ZN7rocprim17ROCPRIM_304000_NS6detail39device_merge_sort_compile_time_verifierINS1_36wrapped_merge_sort_block_sort_configINS1_28merge_sort_block_sort_configILj256ELj4ELNS0_20block_sort_algorithmE0EEEfN2at4cuda3cub6detail10OpaqueTypeILi8EEEEENS1_37wrapped_merge_sort_block_merge_configINS0_14default_configEfSC_EEEEvv, .Lfunc_end123-_ZN7rocprim17ROCPRIM_304000_NS6detail39device_merge_sort_compile_time_verifierINS1_36wrapped_merge_sort_block_sort_configINS1_28merge_sort_block_sort_configILj256ELj4ELNS0_20block_sort_algorithmE0EEEfN2at4cuda3cub6detail10OpaqueTypeILi8EEEEENS1_37wrapped_merge_sort_block_merge_configINS0_14default_configEfSC_EEEEvv
                                        ; -- End function
	.section	.AMDGPU.csdata,"",@progbits
; Kernel info:
; codeLenInByte = 4
; NumSgprs: 4
; NumVgprs: 0
; NumAgprs: 0
; TotalNumVgprs: 0
; ScratchSize: 0
; MemoryBound: 0
; FloatMode: 240
; IeeeMode: 1
; LDSByteSize: 0 bytes/workgroup (compile time only)
; SGPRBlocks: 0
; VGPRBlocks: 0
; NumSGPRsForWavesPerEU: 4
; NumVGPRsForWavesPerEU: 1
; AccumOffset: 4
; Occupancy: 8
; WaveLimiterHint : 0
; COMPUTE_PGM_RSRC2:SCRATCH_EN: 0
; COMPUTE_PGM_RSRC2:USER_SGPR: 4
; COMPUTE_PGM_RSRC2:TRAP_HANDLER: 0
; COMPUTE_PGM_RSRC2:TGID_X_EN: 1
; COMPUTE_PGM_RSRC2:TGID_Y_EN: 0
; COMPUTE_PGM_RSRC2:TGID_Z_EN: 0
; COMPUTE_PGM_RSRC2:TIDIG_COMP_CNT: 0
; COMPUTE_PGM_RSRC3_GFX90A:ACCUM_OFFSET: 0
; COMPUTE_PGM_RSRC3_GFX90A:TG_SPLIT: 0
	.section	.text._ZN7rocprim17ROCPRIM_304000_NS6detail45device_block_merge_mergepath_partition_kernelINS1_37wrapped_merge_sort_block_merge_configINS0_14default_configEfN2at4cuda3cub6detail10OpaqueTypeILi8EEEEEPfjNS1_19radix_merge_compareILb1ELb0EfNS0_19identity_decomposerEEEEEvT0_T1_jPSH_T2_SH_,"axG",@progbits,_ZN7rocprim17ROCPRIM_304000_NS6detail45device_block_merge_mergepath_partition_kernelINS1_37wrapped_merge_sort_block_merge_configINS0_14default_configEfN2at4cuda3cub6detail10OpaqueTypeILi8EEEEEPfjNS1_19radix_merge_compareILb1ELb0EfNS0_19identity_decomposerEEEEEvT0_T1_jPSH_T2_SH_,comdat
	.protected	_ZN7rocprim17ROCPRIM_304000_NS6detail45device_block_merge_mergepath_partition_kernelINS1_37wrapped_merge_sort_block_merge_configINS0_14default_configEfN2at4cuda3cub6detail10OpaqueTypeILi8EEEEEPfjNS1_19radix_merge_compareILb1ELb0EfNS0_19identity_decomposerEEEEEvT0_T1_jPSH_T2_SH_ ; -- Begin function _ZN7rocprim17ROCPRIM_304000_NS6detail45device_block_merge_mergepath_partition_kernelINS1_37wrapped_merge_sort_block_merge_configINS0_14default_configEfN2at4cuda3cub6detail10OpaqueTypeILi8EEEEEPfjNS1_19radix_merge_compareILb1ELb0EfNS0_19identity_decomposerEEEEEvT0_T1_jPSH_T2_SH_
	.globl	_ZN7rocprim17ROCPRIM_304000_NS6detail45device_block_merge_mergepath_partition_kernelINS1_37wrapped_merge_sort_block_merge_configINS0_14default_configEfN2at4cuda3cub6detail10OpaqueTypeILi8EEEEEPfjNS1_19radix_merge_compareILb1ELb0EfNS0_19identity_decomposerEEEEEvT0_T1_jPSH_T2_SH_
	.p2align	8
	.type	_ZN7rocprim17ROCPRIM_304000_NS6detail45device_block_merge_mergepath_partition_kernelINS1_37wrapped_merge_sort_block_merge_configINS0_14default_configEfN2at4cuda3cub6detail10OpaqueTypeILi8EEEEEPfjNS1_19radix_merge_compareILb1ELb0EfNS0_19identity_decomposerEEEEEvT0_T1_jPSH_T2_SH_,@function
_ZN7rocprim17ROCPRIM_304000_NS6detail45device_block_merge_mergepath_partition_kernelINS1_37wrapped_merge_sort_block_merge_configINS0_14default_configEfN2at4cuda3cub6detail10OpaqueTypeILi8EEEEEPfjNS1_19radix_merge_compareILb1ELb0EfNS0_19identity_decomposerEEEEEvT0_T1_jPSH_T2_SH_: ; @_ZN7rocprim17ROCPRIM_304000_NS6detail45device_block_merge_mergepath_partition_kernelINS1_37wrapped_merge_sort_block_merge_configINS0_14default_configEfN2at4cuda3cub6detail10OpaqueTypeILi8EEEEEPfjNS1_19radix_merge_compareILb1ELb0EfNS0_19identity_decomposerEEEEEvT0_T1_jPSH_T2_SH_
; %bb.0:
	s_load_dwordx2 s[0:1], s[4:5], 0x8
	v_lshl_or_b32 v0, s6, 7, v0
	s_waitcnt lgkmcnt(0)
	v_cmp_gt_u32_e32 vcc, s1, v0
	s_and_saveexec_b64 s[2:3], vcc
	s_cbranch_execz .LBB124_6
; %bb.1:
	s_load_dword s1, s[4:5], 0x1c
	s_waitcnt lgkmcnt(0)
	s_lshr_b32 s2, s1, 9
	s_and_b32 s2, s2, 0x7ffffe
	s_add_i32 s3, s2, -1
	s_sub_i32 s2, 0, s2
	v_and_b32_e32 v1, s2, v0
	v_and_b32_e32 v2, s3, v0
	v_lshlrev_b32_e32 v1, 10, v1
	v_lshlrev_b32_e32 v3, 10, v2
	v_min_u32_e32 v2, s0, v1
	v_add_u32_e32 v1, s1, v1
	v_min_u32_e32 v4, s0, v1
	v_add_u32_e32 v1, s1, v4
	v_min_u32_e32 v1, s0, v1
	v_sub_u32_e32 v5, v1, v2
	v_min_u32_e32 v6, v5, v3
	v_sub_u32_e32 v3, v4, v2
	v_sub_u32_e32 v1, v1, v4
	v_sub_u32_e64 v1, v6, v1 clamp
	v_min_u32_e32 v7, v6, v3
	v_cmp_lt_u32_e32 vcc, v1, v7
	s_and_saveexec_b64 s[0:1], vcc
	s_cbranch_execz .LBB124_5
; %bb.2:
	s_load_dwordx2 s[2:3], s[4:5], 0x0
	v_mov_b32_e32 v5, 0
	v_mov_b32_e32 v3, v5
	v_lshlrev_b64 v[8:9], 2, v[2:3]
	v_lshlrev_b64 v[10:11], 2, v[4:5]
	s_waitcnt lgkmcnt(0)
	v_mov_b32_e32 v12, s3
	v_add_co_u32_e32 v3, vcc, s2, v8
	v_addc_co_u32_e32 v8, vcc, v12, v9, vcc
	v_add_co_u32_e32 v9, vcc, s2, v10
	v_addc_co_u32_e32 v10, vcc, v12, v11, vcc
	s_mov_b64 s[2:3], 0
	s_brev_b32 s6, 1
	v_bfrev_b32_e32 v11, 1
.LBB124_3:                              ; =>This Inner Loop Header: Depth=1
	v_add_u32_e32 v4, v7, v1
	v_lshrrev_b32_e32 v4, 1, v4
	v_lshlrev_b64 v[14:15], 2, v[4:5]
	v_mov_b32_e32 v13, v5
	v_xad_u32 v12, v4, -1, v6
	v_add_co_u32_e32 v14, vcc, v3, v14
	v_addc_co_u32_e32 v15, vcc, v8, v15, vcc
	v_lshlrev_b64 v[12:13], 2, v[12:13]
	v_add_co_u32_e32 v12, vcc, v9, v12
	global_load_dword v14, v[14:15], off
	v_addc_co_u32_e32 v13, vcc, v10, v13, vcc
	global_load_dword v12, v[12:13], off
	v_add_u32_e32 v13, 1, v4
	s_waitcnt vmcnt(1)
	v_cmp_ne_u32_e32 vcc, s6, v14
	v_cndmask_b32_e32 v14, 0, v14, vcc
	s_waitcnt vmcnt(0)
	v_cmp_ne_u32_e32 vcc, s6, v12
	v_cndmask_b32_e32 v12, 0, v12, vcc
	v_cmp_lt_i32_e32 vcc, -1, v14
	v_cndmask_b32_e32 v15, -1, v11, vcc
	v_cmp_lt_i32_e32 vcc, -1, v12
	v_cndmask_b32_e32 v16, -1, v11, vcc
	v_xor_b32_e32 v14, v15, v14
	v_xor_b32_e32 v12, v16, v12
	v_cmp_gt_u32_e32 vcc, v12, v14
	v_cndmask_b32_e32 v7, v7, v4, vcc
	v_cndmask_b32_e32 v1, v13, v1, vcc
	v_cmp_ge_u32_e32 vcc, v1, v7
	s_or_b64 s[2:3], vcc, s[2:3]
	s_andn2_b64 exec, exec, s[2:3]
	s_cbranch_execnz .LBB124_3
; %bb.4:
	s_or_b64 exec, exec, s[2:3]
.LBB124_5:
	s_or_b64 exec, exec, s[0:1]
	s_load_dwordx2 s[0:1], s[4:5], 0x10
	v_add_u32_e32 v2, v1, v2
	v_mov_b32_e32 v1, 0
	v_lshlrev_b64 v[0:1], 2, v[0:1]
	s_waitcnt lgkmcnt(0)
	v_mov_b32_e32 v3, s1
	v_add_co_u32_e32 v0, vcc, s0, v0
	v_addc_co_u32_e32 v1, vcc, v3, v1, vcc
	global_store_dword v[0:1], v2, off
.LBB124_6:
	s_endpgm
	.section	.rodata,"a",@progbits
	.p2align	6, 0x0
	.amdhsa_kernel _ZN7rocprim17ROCPRIM_304000_NS6detail45device_block_merge_mergepath_partition_kernelINS1_37wrapped_merge_sort_block_merge_configINS0_14default_configEfN2at4cuda3cub6detail10OpaqueTypeILi8EEEEEPfjNS1_19radix_merge_compareILb1ELb0EfNS0_19identity_decomposerEEEEEvT0_T1_jPSH_T2_SH_
		.amdhsa_group_segment_fixed_size 0
		.amdhsa_private_segment_fixed_size 0
		.amdhsa_kernarg_size 32
		.amdhsa_user_sgpr_count 6
		.amdhsa_user_sgpr_private_segment_buffer 1
		.amdhsa_user_sgpr_dispatch_ptr 0
		.amdhsa_user_sgpr_queue_ptr 0
		.amdhsa_user_sgpr_kernarg_segment_ptr 1
		.amdhsa_user_sgpr_dispatch_id 0
		.amdhsa_user_sgpr_flat_scratch_init 0
		.amdhsa_user_sgpr_kernarg_preload_length 0
		.amdhsa_user_sgpr_kernarg_preload_offset 0
		.amdhsa_user_sgpr_private_segment_size 0
		.amdhsa_uses_dynamic_stack 0
		.amdhsa_system_sgpr_private_segment_wavefront_offset 0
		.amdhsa_system_sgpr_workgroup_id_x 1
		.amdhsa_system_sgpr_workgroup_id_y 0
		.amdhsa_system_sgpr_workgroup_id_z 0
		.amdhsa_system_sgpr_workgroup_info 0
		.amdhsa_system_vgpr_workitem_id 0
		.amdhsa_next_free_vgpr 17
		.amdhsa_next_free_sgpr 7
		.amdhsa_accum_offset 20
		.amdhsa_reserve_vcc 1
		.amdhsa_reserve_flat_scratch 0
		.amdhsa_float_round_mode_32 0
		.amdhsa_float_round_mode_16_64 0
		.amdhsa_float_denorm_mode_32 3
		.amdhsa_float_denorm_mode_16_64 3
		.amdhsa_dx10_clamp 1
		.amdhsa_ieee_mode 1
		.amdhsa_fp16_overflow 0
		.amdhsa_tg_split 0
		.amdhsa_exception_fp_ieee_invalid_op 0
		.amdhsa_exception_fp_denorm_src 0
		.amdhsa_exception_fp_ieee_div_zero 0
		.amdhsa_exception_fp_ieee_overflow 0
		.amdhsa_exception_fp_ieee_underflow 0
		.amdhsa_exception_fp_ieee_inexact 0
		.amdhsa_exception_int_div_zero 0
	.end_amdhsa_kernel
	.section	.text._ZN7rocprim17ROCPRIM_304000_NS6detail45device_block_merge_mergepath_partition_kernelINS1_37wrapped_merge_sort_block_merge_configINS0_14default_configEfN2at4cuda3cub6detail10OpaqueTypeILi8EEEEEPfjNS1_19radix_merge_compareILb1ELb0EfNS0_19identity_decomposerEEEEEvT0_T1_jPSH_T2_SH_,"axG",@progbits,_ZN7rocprim17ROCPRIM_304000_NS6detail45device_block_merge_mergepath_partition_kernelINS1_37wrapped_merge_sort_block_merge_configINS0_14default_configEfN2at4cuda3cub6detail10OpaqueTypeILi8EEEEEPfjNS1_19radix_merge_compareILb1ELb0EfNS0_19identity_decomposerEEEEEvT0_T1_jPSH_T2_SH_,comdat
.Lfunc_end124:
	.size	_ZN7rocprim17ROCPRIM_304000_NS6detail45device_block_merge_mergepath_partition_kernelINS1_37wrapped_merge_sort_block_merge_configINS0_14default_configEfN2at4cuda3cub6detail10OpaqueTypeILi8EEEEEPfjNS1_19radix_merge_compareILb1ELb0EfNS0_19identity_decomposerEEEEEvT0_T1_jPSH_T2_SH_, .Lfunc_end124-_ZN7rocprim17ROCPRIM_304000_NS6detail45device_block_merge_mergepath_partition_kernelINS1_37wrapped_merge_sort_block_merge_configINS0_14default_configEfN2at4cuda3cub6detail10OpaqueTypeILi8EEEEEPfjNS1_19radix_merge_compareILb1ELb0EfNS0_19identity_decomposerEEEEEvT0_T1_jPSH_T2_SH_
                                        ; -- End function
	.section	.AMDGPU.csdata,"",@progbits
; Kernel info:
; codeLenInByte = 416
; NumSgprs: 11
; NumVgprs: 17
; NumAgprs: 0
; TotalNumVgprs: 17
; ScratchSize: 0
; MemoryBound: 0
; FloatMode: 240
; IeeeMode: 1
; LDSByteSize: 0 bytes/workgroup (compile time only)
; SGPRBlocks: 1
; VGPRBlocks: 2
; NumSGPRsForWavesPerEU: 11
; NumVGPRsForWavesPerEU: 17
; AccumOffset: 20
; Occupancy: 8
; WaveLimiterHint : 0
; COMPUTE_PGM_RSRC2:SCRATCH_EN: 0
; COMPUTE_PGM_RSRC2:USER_SGPR: 6
; COMPUTE_PGM_RSRC2:TRAP_HANDLER: 0
; COMPUTE_PGM_RSRC2:TGID_X_EN: 1
; COMPUTE_PGM_RSRC2:TGID_Y_EN: 0
; COMPUTE_PGM_RSRC2:TGID_Z_EN: 0
; COMPUTE_PGM_RSRC2:TIDIG_COMP_CNT: 0
; COMPUTE_PGM_RSRC3_GFX90A:ACCUM_OFFSET: 4
; COMPUTE_PGM_RSRC3_GFX90A:TG_SPLIT: 0
	.section	.text._ZN7rocprim17ROCPRIM_304000_NS6detail35device_block_merge_mergepath_kernelINS1_37wrapped_merge_sort_block_merge_configINS0_14default_configEfN2at4cuda3cub6detail10OpaqueTypeILi8EEEEEPfSC_PSA_SD_jNS1_19radix_merge_compareILb1ELb0EfNS0_19identity_decomposerEEEEEvT0_T1_T2_T3_T4_SL_jT5_PKSL_NS1_7vsmem_tE,"axG",@progbits,_ZN7rocprim17ROCPRIM_304000_NS6detail35device_block_merge_mergepath_kernelINS1_37wrapped_merge_sort_block_merge_configINS0_14default_configEfN2at4cuda3cub6detail10OpaqueTypeILi8EEEEEPfSC_PSA_SD_jNS1_19radix_merge_compareILb1ELb0EfNS0_19identity_decomposerEEEEEvT0_T1_T2_T3_T4_SL_jT5_PKSL_NS1_7vsmem_tE,comdat
	.protected	_ZN7rocprim17ROCPRIM_304000_NS6detail35device_block_merge_mergepath_kernelINS1_37wrapped_merge_sort_block_merge_configINS0_14default_configEfN2at4cuda3cub6detail10OpaqueTypeILi8EEEEEPfSC_PSA_SD_jNS1_19radix_merge_compareILb1ELb0EfNS0_19identity_decomposerEEEEEvT0_T1_T2_T3_T4_SL_jT5_PKSL_NS1_7vsmem_tE ; -- Begin function _ZN7rocprim17ROCPRIM_304000_NS6detail35device_block_merge_mergepath_kernelINS1_37wrapped_merge_sort_block_merge_configINS0_14default_configEfN2at4cuda3cub6detail10OpaqueTypeILi8EEEEEPfSC_PSA_SD_jNS1_19radix_merge_compareILb1ELb0EfNS0_19identity_decomposerEEEEEvT0_T1_T2_T3_T4_SL_jT5_PKSL_NS1_7vsmem_tE
	.globl	_ZN7rocprim17ROCPRIM_304000_NS6detail35device_block_merge_mergepath_kernelINS1_37wrapped_merge_sort_block_merge_configINS0_14default_configEfN2at4cuda3cub6detail10OpaqueTypeILi8EEEEEPfSC_PSA_SD_jNS1_19radix_merge_compareILb1ELb0EfNS0_19identity_decomposerEEEEEvT0_T1_T2_T3_T4_SL_jT5_PKSL_NS1_7vsmem_tE
	.p2align	8
	.type	_ZN7rocprim17ROCPRIM_304000_NS6detail35device_block_merge_mergepath_kernelINS1_37wrapped_merge_sort_block_merge_configINS0_14default_configEfN2at4cuda3cub6detail10OpaqueTypeILi8EEEEEPfSC_PSA_SD_jNS1_19radix_merge_compareILb1ELb0EfNS0_19identity_decomposerEEEEEvT0_T1_T2_T3_T4_SL_jT5_PKSL_NS1_7vsmem_tE,@function
_ZN7rocprim17ROCPRIM_304000_NS6detail35device_block_merge_mergepath_kernelINS1_37wrapped_merge_sort_block_merge_configINS0_14default_configEfN2at4cuda3cub6detail10OpaqueTypeILi8EEEEEPfSC_PSA_SD_jNS1_19radix_merge_compareILb1ELb0EfNS0_19identity_decomposerEEEEEvT0_T1_T2_T3_T4_SL_jT5_PKSL_NS1_7vsmem_tE: ; @_ZN7rocprim17ROCPRIM_304000_NS6detail35device_block_merge_mergepath_kernelINS1_37wrapped_merge_sort_block_merge_configINS0_14default_configEfN2at4cuda3cub6detail10OpaqueTypeILi8EEEEEPfSC_PSA_SD_jNS1_19radix_merge_compareILb1ELb0EfNS0_19identity_decomposerEEEEEvT0_T1_T2_T3_T4_SL_jT5_PKSL_NS1_7vsmem_tE
; %bb.0:
	s_load_dwordx2 s[26:27], s[4:5], 0x40
	s_load_dwordx4 s[16:19], s[4:5], 0x20
	s_add_u32 s2, s4, 64
	s_addc_u32 s3, s5, 0
	s_waitcnt lgkmcnt(0)
	s_mul_i32 s0, s27, s8
	s_add_i32 s0, s0, s7
	s_mul_i32 s0, s0, s26
	s_add_i32 s0, s0, s6
	s_cmp_ge_u32 s0, s18
	s_cbranch_scc1 .LBB125_83
; %bb.1:
	s_load_dwordx8 s[8:15], s[4:5], 0x0
	s_load_dwordx2 s[18:19], s[4:5], 0x30
	s_lshr_b32 s28, s16, 10
	s_cmp_lg_u32 s0, s28
	s_mov_b32 s1, 0
	s_cselect_b64 s[20:21], -1, 0
	s_lshl_b64 s[4:5], s[0:1], 2
	s_waitcnt lgkmcnt(0)
	s_add_u32 s4, s18, s4
	s_addc_u32 s5, s19, s5
	s_load_dwordx2 s[22:23], s[4:5], 0x0
	s_lshr_b32 s4, s17, 9
	s_and_b32 s4, s4, 0x7ffffe
	s_sub_i32 s4, 0, s4
	s_and_b32 s5, s0, s4
	s_lshl_b32 s7, s5, 10
	s_lshl_b32 s18, s0, 10
	;; [unrolled: 1-line block ×3, first 2 shown]
	s_sub_i32 s19, s18, s7
	s_add_i32 s5, s5, s17
	s_add_i32 s19, s5, s19
	s_waitcnt lgkmcnt(0)
	s_sub_i32 s24, s19, s22
	s_sub_i32 s19, s19, s23
	;; [unrolled: 1-line block ×3, first 2 shown]
	s_min_u32 s24, s16, s24
	s_addk_i32 s19, 0x400
	s_or_b32 s4, s0, s4
	s_min_u32 s7, s16, s5
	s_add_i32 s5, s5, s17
	s_cmp_eq_u32 s4, -1
	s_cselect_b32 s4, s5, s19
	s_cselect_b32 s5, s7, s23
	s_min_u32 s4, s4, s16
	s_mov_b32 s23, s1
	s_sub_i32 s19, s5, s22
	s_sub_i32 s30, s4, s24
	s_lshl_b64 s[4:5], s[22:23], 2
	s_add_u32 s7, s8, s4
	s_mov_b32 s25, s1
	s_addc_u32 s27, s9, s5
	s_lshl_b64 s[4:5], s[24:25], 2
	s_add_u32 s4, s8, s4
	s_addc_u32 s5, s9, s5
	s_cmp_lt_u32 s6, s26
	v_mov_b32_e32 v11, 0
	s_cselect_b32 s1, 12, 18
	global_load_dword v1, v11, s[2:3] offset:14
	s_add_u32 s2, s2, s1
	s_addc_u32 s3, s3, 0
	global_load_ushort v2, v11, s[2:3]
	v_cmp_gt_u32_e32 vcc, s19, v0
	s_cmp_eq_u32 s0, s28
	s_waitcnt vmcnt(1)
	v_lshrrev_b32_e32 v3, 16, v1
	v_and_b32_e32 v1, 0xffff, v1
	v_mul_lo_u32 v1, v1, v3
	s_waitcnt vmcnt(0)
	v_mul_lo_u32 v12, v1, v2
	v_add_u32_e32 v8, v12, v0
	v_lshlrev_b32_e32 v1, 2, v0
	v_add_u32_e32 v6, v8, v12
	s_cbranch_scc1 .LBB125_3
; %bb.2:
	v_mov_b32_e32 v2, s27
	v_add_co_u32_e64 v4, s[0:1], s7, v1
	v_subrev_u32_e32 v10, s19, v0
	v_addc_co_u32_e64 v5, s[0:1], 0, v2, s[0:1]
	v_lshlrev_b64 v[2:3], 2, v[10:11]
	v_mov_b32_e32 v7, s5
	v_add_co_u32_e64 v2, s[0:1], s4, v2
	v_addc_co_u32_e64 v3, s[0:1], v7, v3, s[0:1]
	v_mov_b32_e32 v9, v11
	v_cndmask_b32_e32 v3, v3, v5, vcc
	v_cndmask_b32_e32 v2, v2, v4, vcc
	v_lshlrev_b64 v[4:5], 2, v[8:9]
	global_load_dword v2, v[2:3], off
	v_mov_b32_e32 v3, s27
	v_add_co_u32_e32 v7, vcc, s7, v4
	v_subrev_u32_e32 v10, s19, v8
	v_addc_co_u32_e32 v3, vcc, v3, v5, vcc
	v_lshlrev_b64 v[4:5], 2, v[10:11]
	v_mov_b32_e32 v9, s5
	v_add_co_u32_e32 v4, vcc, s4, v4
	v_addc_co_u32_e32 v5, vcc, v9, v5, vcc
	v_cmp_gt_u32_e32 vcc, s19, v8
	v_cndmask_b32_e32 v5, v5, v3, vcc
	v_cndmask_b32_e32 v4, v4, v7, vcc
	v_mov_b32_e32 v7, v11
	global_load_dword v3, v[4:5], off
	v_lshlrev_b64 v[4:5], 2, v[6:7]
	v_mov_b32_e32 v7, s27
	v_add_co_u32_e32 v9, vcc, s7, v4
	v_subrev_u32_e32 v10, s19, v6
	v_addc_co_u32_e32 v7, vcc, v7, v5, vcc
	v_lshlrev_b64 v[4:5], 2, v[10:11]
	v_mov_b32_e32 v10, s5
	v_add_co_u32_e32 v4, vcc, s4, v4
	v_addc_co_u32_e32 v5, vcc, v10, v5, vcc
	v_cmp_gt_u32_e32 vcc, s19, v6
	v_add_u32_e32 v10, v6, v12
	v_cndmask_b32_e32 v5, v5, v7, vcc
	v_cndmask_b32_e32 v4, v4, v9, vcc
	v_lshlrev_b64 v[14:15], 2, v[10:11]
	global_load_dword v4, v[4:5], off
	v_mov_b32_e32 v5, s27
	v_add_co_u32_e32 v7, vcc, s7, v14
	v_addc_co_u32_e32 v5, vcc, v5, v15, vcc
	v_cmp_gt_u32_e32 vcc, s19, v10
	v_subrev_u32_e32 v10, s19, v10
	v_lshlrev_b64 v[10:11], 2, v[10:11]
	v_mov_b32_e32 v9, s5
	v_add_co_u32_e64 v10, s[0:1], s4, v10
	v_addc_co_u32_e64 v9, s[0:1], v9, v11, s[0:1]
	v_cndmask_b32_e32 v11, v9, v5, vcc
	v_cndmask_b32_e32 v10, v10, v7, vcc
	global_load_dword v5, v[10:11], off
	s_add_i32 s17, s30, s19
	s_cbranch_execz .LBB125_4
	s_branch .LBB125_11
.LBB125_3:
                                        ; implicit-def: $vgpr2_vgpr3_vgpr4_vgpr5
                                        ; implicit-def: $sgpr17
.LBB125_4:
	s_add_i32 s17, s30, s19
	v_cmp_gt_u32_e32 vcc, s17, v0
                                        ; implicit-def: $vgpr2_vgpr3_vgpr4_vgpr5
	s_and_saveexec_b64 s[0:1], vcc
	s_cbranch_execnz .LBB125_84
; %bb.5:
	s_or_b64 exec, exec, s[0:1]
	v_cmp_gt_u32_e32 vcc, s17, v8
	s_and_saveexec_b64 s[2:3], vcc
	s_cbranch_execnz .LBB125_85
.LBB125_6:
	s_or_b64 exec, exec, s[2:3]
	v_cmp_gt_u32_e32 vcc, s17, v6
	s_and_saveexec_b64 s[0:1], vcc
	s_cbranch_execz .LBB125_8
.LBB125_7:
	v_mov_b32_e32 v7, 0
	v_lshlrev_b64 v[8:9], 2, v[6:7]
	s_waitcnt vmcnt(1)
	v_mov_b32_e32 v4, s27
	v_add_co_u32_e32 v10, vcc, s7, v8
	v_addc_co_u32_e32 v4, vcc, v4, v9, vcc
	v_subrev_u32_e32 v8, s19, v6
	v_mov_b32_e32 v9, v7
	v_lshlrev_b64 v[8:9], 2, v[8:9]
	v_mov_b32_e32 v7, s5
	v_add_co_u32_e32 v8, vcc, s4, v8
	v_addc_co_u32_e32 v7, vcc, v7, v9, vcc
	v_cmp_gt_u32_e32 vcc, s19, v6
	v_cndmask_b32_e32 v9, v7, v4, vcc
	v_cndmask_b32_e32 v8, v8, v10, vcc
	global_load_dword v4, v[8:9], off
.LBB125_8:
	s_or_b64 exec, exec, s[0:1]
	v_add_u32_e32 v6, v6, v12
	v_cmp_gt_u32_e32 vcc, s17, v6
	s_and_saveexec_b64 s[2:3], vcc
	s_cbranch_execz .LBB125_10
; %bb.9:
	v_mov_b32_e32 v7, 0
	v_lshlrev_b64 v[8:9], 2, v[6:7]
	s_waitcnt vmcnt(0)
	v_mov_b32_e32 v5, s27
	v_add_co_u32_e32 v8, vcc, s7, v8
	v_addc_co_u32_e32 v5, vcc, v5, v9, vcc
	v_cmp_gt_u32_e32 vcc, s19, v6
	v_subrev_u32_e32 v6, s19, v6
	v_lshlrev_b64 v[6:7], 2, v[6:7]
	v_mov_b32_e32 v9, s5
	v_add_co_u32_e64 v6, s[0:1], s4, v6
	v_addc_co_u32_e64 v7, s[0:1], v9, v7, s[0:1]
	v_cndmask_b32_e32 v7, v7, v5, vcc
	v_cndmask_b32_e32 v6, v6, v8, vcc
	global_load_dword v5, v[6:7], off
.LBB125_10:
	s_or_b64 exec, exec, s[2:3]
.LBB125_11:
	v_min_u32_e32 v7, s17, v1
	v_sub_u32_e64 v6, v7, s30 clamp
	v_min_u32_e32 v8, s19, v7
	v_cmp_lt_u32_e32 vcc, v6, v8
	s_waitcnt vmcnt(0)
	ds_write2st64_b32 v1, v2, v3 offset1:4
	ds_write2st64_b32 v1, v4, v5 offset0:8 offset1:12
	s_waitcnt lgkmcnt(0)
	s_barrier
	s_and_saveexec_b64 s[0:1], vcc
	s_cbranch_execz .LBB125_15
; %bb.12:
	v_lshlrev_b32_e32 v9, 2, v7
	v_lshl_add_u32 v9, s19, 2, v9
	s_mov_b64 s[2:3], 0
	s_brev_b32 s4, 1
	v_bfrev_b32_e32 v10, 1
.LBB125_13:                             ; =>This Inner Loop Header: Depth=1
	v_add_u32_e32 v11, v8, v6
	v_lshrrev_b32_e32 v11, 1, v11
	v_not_b32_e32 v12, v11
	v_lshlrev_b32_e32 v13, 2, v11
	ds_read_b32 v13, v13
	v_lshl_add_u32 v12, v12, 2, v9
	ds_read_b32 v12, v12
	v_add_u32_e32 v14, 1, v11
	s_waitcnt lgkmcnt(1)
	v_cmp_ne_u32_e32 vcc, s4, v13
	v_cndmask_b32_e32 v13, 0, v13, vcc
	s_waitcnt lgkmcnt(0)
	v_cmp_ne_u32_e32 vcc, s4, v12
	v_cndmask_b32_e32 v12, 0, v12, vcc
	v_cmp_lt_i32_e32 vcc, -1, v13
	v_cndmask_b32_e32 v15, -1, v10, vcc
	v_cmp_lt_i32_e32 vcc, -1, v12
	v_cndmask_b32_e32 v16, -1, v10, vcc
	v_xor_b32_e32 v13, v15, v13
	v_xor_b32_e32 v12, v16, v12
	v_cmp_gt_u32_e32 vcc, v12, v13
	v_cndmask_b32_e32 v8, v8, v11, vcc
	v_cndmask_b32_e32 v6, v14, v6, vcc
	v_cmp_ge_u32_e32 vcc, v6, v8
	s_or_b64 s[2:3], vcc, s[2:3]
	s_andn2_b64 exec, exec, s[2:3]
	s_cbranch_execnz .LBB125_13
; %bb.14:
	s_or_b64 exec, exec, s[2:3]
.LBB125_15:
	s_or_b64 exec, exec, s[0:1]
	v_sub_u32_e32 v7, v7, v6
	v_add_u32_e32 v7, s19, v7
	v_cmp_ge_u32_e32 vcc, s19, v6
	v_cmp_ge_u32_e64 s[0:1], s17, v7
	s_or_b64 s[0:1], vcc, s[0:1]
                                        ; implicit-def: $vgpr12
                                        ; implicit-def: $vgpr13
                                        ; implicit-def: $vgpr11
                                        ; implicit-def: $vgpr10
	s_and_saveexec_b64 s[2:3], s[0:1]
	s_cbranch_execz .LBB125_35
; %bb.16:
	v_cmp_le_u32_e32 vcc, s19, v6
	v_cmp_gt_u32_e64 s[0:1], s19, v6
                                        ; implicit-def: $vgpr2
	s_and_saveexec_b64 s[4:5], s[0:1]
	s_cbranch_execz .LBB125_18
; %bb.17:
	v_lshlrev_b32_e32 v2, 2, v6
	ds_read_b32 v2, v2
.LBB125_18:
	s_or_b64 exec, exec, s[4:5]
	v_cmp_le_u32_e64 s[4:5], s17, v7
	v_cmp_gt_u32_e64 s[0:1], s17, v7
                                        ; implicit-def: $vgpr3
	s_and_saveexec_b64 s[6:7], s[0:1]
	s_cbranch_execz .LBB125_20
; %bb.19:
	v_lshlrev_b32_e32 v3, 2, v7
	ds_read_b32 v3, v3
.LBB125_20:
	s_or_b64 exec, exec, s[6:7]
	s_or_b64 s[6:7], vcc, s[4:5]
	s_mov_b64 s[0:1], -1
	s_xor_b64 s[8:9], s[6:7], -1
	s_and_saveexec_b64 s[6:7], s[8:9]
	s_cbranch_execz .LBB125_22
; %bb.21:
	s_brev_b32 s8, 1
	s_waitcnt lgkmcnt(0)
	v_cmp_ne_u32_e32 vcc, s8, v3
	v_cndmask_b32_e32 v4, 0, v3, vcc
	v_cmp_ne_u32_e32 vcc, s8, v2
	v_cndmask_b32_e32 v5, 0, v2, vcc
	v_bfrev_b32_e32 v8, 1
	v_cmp_lt_i32_e32 vcc, -1, v4
	v_cndmask_b32_e32 v9, -1, v8, vcc
	v_cmp_lt_i32_e32 vcc, -1, v5
	v_cndmask_b32_e32 v8, -1, v8, vcc
	v_xor_b32_e32 v5, v8, v5
	v_xor_b32_e32 v4, v9, v4
	v_cmp_le_u32_e32 vcc, v4, v5
	s_andn2_b64 s[4:5], s[4:5], exec
	s_and_b64 s[8:9], vcc, exec
	s_or_b64 s[4:5], s[4:5], s[8:9]
.LBB125_22:
	s_or_b64 exec, exec, s[6:7]
	v_mov_b32_e32 v4, s17
	v_mov_b32_e32 v5, s19
	v_cndmask_b32_e64 v10, v7, v6, s[4:5]
	v_cndmask_b32_e64 v4, v4, v5, s[4:5]
	v_add_u32_e32 v9, 1, v10
	v_add_u32_e32 v4, -1, v4
	v_min_u32_e32 v4, v9, v4
	v_lshlrev_b32_e32 v4, 2, v4
	ds_read_b32 v5, v4
	v_cndmask_b32_e64 v8, v9, v7, s[4:5]
	v_cndmask_b32_e64 v9, v6, v9, s[4:5]
	v_cmp_gt_u32_e32 vcc, s17, v8
	s_waitcnt lgkmcnt(0)
	v_cndmask_b32_e64 v4, v5, v3, s[4:5]
	v_cndmask_b32_e64 v5, v2, v5, s[4:5]
	s_and_saveexec_b64 s[6:7], vcc
	s_cbranch_execz .LBB125_26
; %bb.23:
	v_cmp_gt_u32_e32 vcc, s19, v9
	s_mov_b64 s[8:9], 0
	s_and_saveexec_b64 s[0:1], vcc
	s_cbranch_execz .LBB125_25
; %bb.24:
	s_brev_b32 s8, 1
	v_cmp_ne_u32_e32 vcc, s8, v4
	v_cndmask_b32_e32 v6, 0, v4, vcc
	v_cmp_ne_u32_e32 vcc, s8, v5
	v_cndmask_b32_e32 v7, 0, v5, vcc
	v_bfrev_b32_e32 v11, 1
	v_cmp_lt_i32_e32 vcc, -1, v6
	v_cndmask_b32_e32 v12, -1, v11, vcc
	v_cmp_lt_i32_e32 vcc, -1, v7
	v_cndmask_b32_e32 v11, -1, v11, vcc
	v_xor_b32_e32 v6, v12, v6
	v_xor_b32_e32 v7, v11, v7
	v_cmp_le_u32_e32 vcc, v6, v7
	s_and_b64 s[8:9], vcc, exec
.LBB125_25:
	s_or_b64 exec, exec, s[0:1]
	s_orn2_b64 s[0:1], s[8:9], exec
.LBB125_26:
	s_or_b64 exec, exec, s[6:7]
	v_mov_b32_e32 v6, s17
	v_mov_b32_e32 v7, s19
	v_cndmask_b32_e64 v11, v8, v9, s[0:1]
	v_cndmask_b32_e64 v6, v6, v7, s[0:1]
	v_add_u32_e32 v12, 1, v11
	v_add_u32_e32 v6, -1, v6
	v_min_u32_e32 v6, v12, v6
	v_lshlrev_b32_e32 v6, 2, v6
	ds_read_b32 v7, v6
	v_cndmask_b32_e64 v8, v12, v8, s[0:1]
	v_cndmask_b32_e64 v9, v9, v12, s[0:1]
	v_cmp_gt_u32_e32 vcc, s17, v8
	s_mov_b64 s[6:7], -1
	s_waitcnt lgkmcnt(0)
	v_cndmask_b32_e64 v6, v7, v4, s[0:1]
	v_cndmask_b32_e64 v7, v5, v7, s[0:1]
	s_mov_b64 s[8:9], -1
	s_and_saveexec_b64 s[26:27], vcc
	s_cbranch_execz .LBB125_30
; %bb.27:
	v_cmp_gt_u32_e32 vcc, s19, v9
	s_mov_b64 s[28:29], 0
	s_and_saveexec_b64 s[8:9], vcc
	s_cbranch_execz .LBB125_29
; %bb.28:
	s_brev_b32 s28, 1
	v_cmp_ne_u32_e32 vcc, s28, v6
	v_cndmask_b32_e32 v12, 0, v6, vcc
	v_cmp_ne_u32_e32 vcc, s28, v7
	v_cndmask_b32_e32 v13, 0, v7, vcc
	v_bfrev_b32_e32 v14, 1
	v_cmp_lt_i32_e32 vcc, -1, v12
	v_cndmask_b32_e32 v15, -1, v14, vcc
	v_cmp_lt_i32_e32 vcc, -1, v13
	v_cndmask_b32_e32 v14, -1, v14, vcc
	v_xor_b32_e32 v12, v15, v12
	v_xor_b32_e32 v13, v14, v13
	v_cmp_le_u32_e32 vcc, v12, v13
	s_and_b64 s[28:29], vcc, exec
.LBB125_29:
	s_or_b64 exec, exec, s[8:9]
	s_orn2_b64 s[8:9], s[28:29], exec
.LBB125_30:
	s_or_b64 exec, exec, s[26:27]
	v_mov_b32_e32 v12, s17
	v_mov_b32_e32 v14, s19
	v_cndmask_b32_e64 v13, v8, v9, s[8:9]
	v_cndmask_b32_e64 v12, v12, v14, s[8:9]
	v_add_u32_e32 v16, 1, v13
	v_add_u32_e32 v12, -1, v12
	v_min_u32_e32 v12, v16, v12
	v_lshlrev_b32_e32 v12, 2, v12
	ds_read_b32 v12, v12
	v_cndmask_b32_e64 v8, v16, v8, s[8:9]
	v_cndmask_b32_e64 v9, v9, v16, s[8:9]
	v_cmp_gt_u32_e32 vcc, s17, v8
	s_waitcnt lgkmcnt(0)
	v_cndmask_b32_e64 v14, v12, v6, s[8:9]
	v_cndmask_b32_e64 v15, v7, v12, s[8:9]
	s_and_saveexec_b64 s[26:27], vcc
	s_cbranch_execz .LBB125_34
; %bb.31:
	v_cmp_gt_u32_e32 vcc, s19, v9
	s_mov_b64 s[28:29], 0
	s_and_saveexec_b64 s[6:7], vcc
	s_cbranch_execz .LBB125_33
; %bb.32:
	s_brev_b32 s28, 1
	v_cmp_ne_u32_e32 vcc, s28, v14
	v_cndmask_b32_e32 v12, 0, v14, vcc
	v_cmp_ne_u32_e32 vcc, s28, v15
	v_cndmask_b32_e32 v16, 0, v15, vcc
	v_bfrev_b32_e32 v17, 1
	v_cmp_lt_i32_e32 vcc, -1, v12
	v_cndmask_b32_e32 v18, -1, v17, vcc
	v_cmp_lt_i32_e32 vcc, -1, v16
	v_cndmask_b32_e32 v17, -1, v17, vcc
	v_xor_b32_e32 v12, v18, v12
	v_xor_b32_e32 v16, v17, v16
	v_cmp_le_u32_e32 vcc, v12, v16
	s_and_b64 s[28:29], vcc, exec
.LBB125_33:
	s_or_b64 exec, exec, s[6:7]
	s_orn2_b64 s[6:7], s[28:29], exec
.LBB125_34:
	s_or_b64 exec, exec, s[26:27]
	v_cndmask_b32_e64 v2, v3, v2, s[4:5]
	v_cndmask_b32_e64 v3, v4, v5, s[0:1]
	;; [unrolled: 1-line block ×5, first 2 shown]
.LBB125_35:
	s_or_b64 exec, exec, s[2:3]
	s_lshl_b64 s[0:1], s[22:23], 3
	s_add_u32 s26, s12, s0
	s_addc_u32 s27, s13, s1
	s_lshl_b64 s[0:1], s[24:25], 3
	s_add_u32 s28, s12, s0
	v_cndmask_b32_e64 v6, 0, 1, s[20:21]
	s_addc_u32 s29, s13, s1
	v_cmp_gt_u32_e64 s[4:5], s19, v0
	v_cmp_ne_u32_e64 s[0:1], 1, v6
	s_andn2_b64 vcc, exec, s[20:21]
	v_cmp_le_u32_e64 s[2:3], s19, v0
	s_barrier
	s_cbranch_vccnz .LBB125_37
; %bb.36:
	v_subrev_u32_e32 v6, s19, v0
	v_mov_b32_e32 v7, 0
	v_lshlrev_b64 v[8:9], 3, v[6:7]
	v_mov_b32_e32 v6, s29
	v_add_co_u32_e32 v8, vcc, s28, v8
	v_addc_co_u32_e32 v6, vcc, v6, v9, vcc
	v_lshlrev_b32_e32 v20, 3, v0
	v_mov_b32_e32 v9, s27
	v_add_co_u32_e32 v21, vcc, s26, v20
	v_addc_co_u32_e32 v22, vcc, 0, v9, vcc
	v_cndmask_b32_e64 v9, v6, v22, s[4:5]
	v_cndmask_b32_e64 v8, v8, v21, s[4:5]
	v_or_b32_e32 v16, 0x100, v0
	s_movk_i32 s4, 0x800
	v_add_co_u32_e32 v17, vcc, s4, v21
	v_subrev_u32_e32 v6, s19, v16
	v_addc_co_u32_e32 v18, vcc, 0, v22, vcc
	v_lshlrev_b64 v[14:15], 3, v[6:7]
	v_mov_b32_e32 v6, s29
	v_add_co_u32_e32 v14, vcc, s28, v14
	v_addc_co_u32_e32 v6, vcc, v6, v15, vcc
	v_cmp_gt_u32_e32 vcc, s19, v16
	v_cndmask_b32_e32 v15, v6, v18, vcc
	v_or_b32_e32 v18, 0x200, v0
	s_movk_i32 s4, 0x1000
	v_cndmask_b32_e32 v14, v14, v17, vcc
	v_add_co_u32_e32 v19, vcc, s4, v21
	v_subrev_u32_e32 v6, s19, v18
	global_load_dwordx2 v[16:17], v[14:15], off
	v_addc_co_u32_e32 v23, vcc, 0, v22, vcc
	v_lshlrev_b64 v[14:15], 3, v[6:7]
	v_mov_b32_e32 v6, s29
	v_add_co_u32_e32 v14, vcc, s28, v14
	v_addc_co_u32_e32 v6, vcc, v6, v15, vcc
	v_cmp_gt_u32_e32 vcc, s19, v18
	global_load_dwordx2 v[8:9], v[8:9], off
	v_cndmask_b32_e32 v15, v6, v23, vcc
	v_cndmask_b32_e32 v14, v14, v19, vcc
	global_load_dwordx2 v[18:19], v[14:15], off
	v_or_b32_e32 v14, 0x300, v0
	s_movk_i32 s4, 0x1800
	v_add_co_u32_e32 v21, vcc, s4, v21
	v_subrev_u32_e32 v6, s19, v14
	v_addc_co_u32_e32 v22, vcc, 0, v22, vcc
	v_lshlrev_b64 v[6:7], 3, v[6:7]
	v_mov_b32_e32 v23, s29
	v_add_co_u32_e32 v6, vcc, s28, v6
	v_addc_co_u32_e32 v7, vcc, v23, v7, vcc
	v_cmp_gt_u32_e32 vcc, s19, v14
	v_or_b32_e32 v15, 0x1800, v20
	v_cndmask_b32_e32 v7, v7, v22, vcc
	v_cndmask_b32_e32 v6, v6, v21, vcc
	s_mov_b64 s[4:5], -1
	s_waitcnt vmcnt(1)
	ds_write2st64_b64 v20, v[8:9], v[16:17] offset1:4
	s_waitcnt vmcnt(0)
	ds_write_b64 v20, v[18:19] offset:4096
	s_cbranch_execz .LBB125_38
	s_branch .LBB125_57
.LBB125_37:
	s_mov_b64 s[4:5], 0
                                        ; implicit-def: $vgpr15
                                        ; implicit-def: $vgpr6_vgpr7
.LBB125_38:
	s_mov_b64 s[6:7], 0
                                        ; implicit-def: $vgpr6_vgpr7
	s_and_saveexec_b64 s[8:9], s[2:3]
	s_xor_b64 s[2:3], exec, s[8:9]
	s_cbranch_execnz .LBB125_86
; %bb.39:
	s_andn2_saveexec_b64 s[2:3], s[2:3]
	s_cbranch_execnz .LBB125_89
.LBB125_40:
	s_or_b64 exec, exec, s[2:3]
	v_add_u32_e32 v14, v1, v1
	s_and_saveexec_b64 s[2:3], s[6:7]
	s_cbranch_execz .LBB125_42
.LBB125_41:
	global_load_dwordx2 v[6:7], v[6:7], off
	s_waitcnt vmcnt(0)
	ds_write_b64 v14, v[6:7]
.LBB125_42:
	s_or_b64 exec, exec, s[2:3]
	v_or_b32_e32 v6, 0x100, v0
	v_cmp_le_u32_e32 vcc, s19, v6
	s_mov_b64 s[6:7], -1
	v_pk_mov_b32 v[8:9], s[22:23], s[22:23] op_sel:[0,1]
	s_and_saveexec_b64 s[2:3], vcc
; %bb.43:
	v_subrev_u32_e32 v6, s19, v6
	v_cmp_gt_u32_e32 vcc, s30, v6
	v_pk_mov_b32 v[8:9], s[24:25], s[24:25] op_sel:[0,1]
	s_orn2_b64 s[6:7], vcc, exec
; %bb.44:
	s_or_b64 exec, exec, s[2:3]
	s_and_saveexec_b64 s[2:3], s[6:7]
	s_cbranch_execz .LBB125_46
; %bb.45:
	v_lshlrev_b64 v[8:9], 3, v[8:9]
	v_mov_b32_e32 v7, s13
	v_add_co_u32_e32 v8, vcc, s12, v8
	v_addc_co_u32_e32 v9, vcc, v7, v9, vcc
	v_mov_b32_e32 v7, 0
	v_lshlrev_b64 v[6:7], 3, v[6:7]
	v_add_co_u32_e32 v6, vcc, v8, v6
	v_addc_co_u32_e32 v7, vcc, v9, v7, vcc
	global_load_dwordx2 v[6:7], v[6:7], off
	s_waitcnt vmcnt(0)
	ds_write_b64 v14, v[6:7] offset:2048
.LBB125_46:
	s_or_b64 exec, exec, s[2:3]
	v_or_b32_e32 v6, 0x200, v0
	v_cmp_le_u32_e32 vcc, s19, v6
	s_mov_b64 s[6:7], -1
	v_pk_mov_b32 v[8:9], s[22:23], s[22:23] op_sel:[0,1]
	s_and_saveexec_b64 s[2:3], vcc
; %bb.47:
	v_subrev_u32_e32 v6, s19, v6
	v_cmp_gt_u32_e32 vcc, s30, v6
	v_pk_mov_b32 v[8:9], s[24:25], s[24:25] op_sel:[0,1]
	s_orn2_b64 s[6:7], vcc, exec
; %bb.48:
	s_or_b64 exec, exec, s[2:3]
	s_and_saveexec_b64 s[2:3], s[6:7]
	s_cbranch_execz .LBB125_50
; %bb.49:
	v_lshlrev_b64 v[8:9], 3, v[8:9]
	v_mov_b32_e32 v7, s13
	v_add_co_u32_e32 v8, vcc, s12, v8
	v_addc_co_u32_e32 v9, vcc, v7, v9, vcc
	v_mov_b32_e32 v7, 0
	v_lshlrev_b64 v[6:7], 3, v[6:7]
	v_add_co_u32_e32 v6, vcc, v8, v6
	v_addc_co_u32_e32 v7, vcc, v9, v7, vcc
	global_load_dwordx2 v[6:7], v[6:7], off
	s_waitcnt vmcnt(0)
	ds_write_b64 v14, v[6:7] offset:4096
.LBB125_50:
	s_or_b64 exec, exec, s[2:3]
	v_or_b32_e32 v8, 0x300, v0
	v_cmp_le_u32_e32 vcc, s19, v8
                                        ; implicit-def: $vgpr15
                                        ; implicit-def: $vgpr6_vgpr7
	s_and_saveexec_b64 s[2:3], vcc
	s_xor_b64 s[2:3], exec, s[2:3]
	s_cbranch_execz .LBB125_54
; %bb.51:
	v_subrev_u32_e32 v8, s19, v8
	v_cmp_gt_u32_e32 vcc, s30, v8
	s_mov_b64 s[8:9], s[4:5]
                                        ; implicit-def: $vgpr15
                                        ; implicit-def: $vgpr6_vgpr7
	s_and_saveexec_b64 s[6:7], vcc
; %bb.52:
	v_mov_b32_e32 v9, 0
	v_lshlrev_b64 v[6:7], 3, v[8:9]
	v_mov_b32_e32 v8, s29
	v_add_co_u32_e32 v6, vcc, s28, v6
	v_or_b32_e32 v15, 0x1800, v14
	v_addc_co_u32_e32 v7, vcc, v8, v7, vcc
	s_or_b64 s[8:9], s[4:5], exec
; %bb.53:
	s_or_b64 exec, exec, s[6:7]
	s_andn2_b64 s[4:5], s[4:5], exec
	s_and_b64 s[6:7], s[8:9], exec
	s_or_b64 s[4:5], s[4:5], s[6:7]
                                        ; implicit-def: $vgpr8
                                        ; implicit-def: $vgpr14
.LBB125_54:
	s_andn2_saveexec_b64 s[2:3], s[2:3]
; %bb.55:
	v_lshlrev_b32_e32 v6, 3, v8
	v_mov_b32_e32 v7, s27
	v_add_co_u32_e32 v6, vcc, s26, v6
	v_addc_co_u32_e32 v7, vcc, 0, v7, vcc
	v_or_b32_e32 v15, 0x1800, v14
	s_or_b64 s[4:5], s[4:5], exec
; %bb.56:
	s_or_b64 exec, exec, s[2:3]
.LBB125_57:
	s_and_saveexec_b64 s[2:3], s[4:5]
	s_cbranch_execz .LBB125_59
; %bb.58:
	global_load_dwordx2 v[6:7], v[6:7], off
	s_waitcnt vmcnt(0)
	ds_write_b64 v15, v[6:7]
.LBB125_59:
	s_or_b64 exec, exec, s[2:3]
	s_and_b64 vcc, exec, s[0:1]
	v_add_u32_e32 v6, s18, v1
	s_waitcnt lgkmcnt(0)
	s_barrier
	s_cbranch_vccnz .LBB125_61
; %bb.60:
	v_lshlrev_b32_e32 v14, 3, v10
	v_lshlrev_b32_e32 v16, 3, v11
	;; [unrolled: 1-line block ×3, first 2 shown]
	ds_read_b64 v[14:15], v14
	ds_read_b64 v[16:17], v16
	;; [unrolled: 1-line block ×3, first 2 shown]
	v_mov_b32_e32 v7, 0
	v_lshlrev_b64 v[8:9], 3, v[6:7]
	v_mov_b32_e32 v20, s15
	v_add_co_u32_e32 v8, vcc, s14, v8
	v_addc_co_u32_e32 v9, vcc, v20, v9, vcc
	s_mov_b64 s[0:1], -1
	s_waitcnt lgkmcnt(1)
	global_store_dwordx4 v[8:9], v[14:17], off
	s_waitcnt lgkmcnt(0)
	global_store_dwordx2 v[8:9], v[18:19], off offset:16
	s_cbranch_execz .LBB125_62
	s_branch .LBB125_71
.LBB125_61:
	s_mov_b64 s[0:1], 0
.LBB125_62:
	v_cmp_gt_u32_e32 vcc, s17, v1
	s_and_saveexec_b64 s[2:3], vcc
	s_cbranch_execz .LBB125_64
; %bb.63:
	v_lshlrev_b32_e32 v10, 3, v10
	ds_read_b64 v[14:15], v10
	v_mov_b32_e32 v7, 0
	v_lshlrev_b64 v[8:9], 3, v[6:7]
	v_mov_b32_e32 v7, s15
	v_add_co_u32_e32 v8, vcc, s14, v8
	v_addc_co_u32_e32 v9, vcc, v7, v9, vcc
	s_waitcnt lgkmcnt(0)
	global_store_dwordx2 v[8:9], v[14:15], off
.LBB125_64:
	s_or_b64 exec, exec, s[2:3]
	v_or_b32_e32 v7, 1, v1
	v_cmp_gt_u32_e32 vcc, s17, v7
	s_and_saveexec_b64 s[2:3], vcc
	s_cbranch_execz .LBB125_66
; %bb.65:
	v_lshlrev_b32_e32 v10, 3, v11
	ds_read_b64 v[10:11], v10
	v_mov_b32_e32 v7, 0
	v_lshlrev_b64 v[8:9], 3, v[6:7]
	v_mov_b32_e32 v7, s15
	v_add_co_u32_e32 v8, vcc, s14, v8
	v_addc_co_u32_e32 v9, vcc, v7, v9, vcc
	s_waitcnt lgkmcnt(0)
	global_store_dwordx2 v[8:9], v[10:11], off offset:8
.LBB125_66:
	s_or_b64 exec, exec, s[2:3]
	v_or_b32_e32 v7, 2, v1
	v_cmp_gt_u32_e32 vcc, s17, v7
	s_and_saveexec_b64 s[2:3], vcc
	s_cbranch_execz .LBB125_68
; %bb.67:
	v_lshlrev_b32_e32 v10, 3, v13
	ds_read_b64 v[10:11], v10
	v_mov_b32_e32 v7, 0
	v_lshlrev_b64 v[8:9], 3, v[6:7]
	v_mov_b32_e32 v7, s15
	v_add_co_u32_e32 v8, vcc, s14, v8
	v_addc_co_u32_e32 v9, vcc, v7, v9, vcc
	s_waitcnt lgkmcnt(0)
	global_store_dwordx2 v[8:9], v[10:11], off offset:16
.LBB125_68:
	s_or_b64 exec, exec, s[2:3]
	v_or_b32_e32 v7, 3, v1
	v_cmp_gt_u32_e32 vcc, s17, v7
	s_and_saveexec_b64 s[2:3], vcc
; %bb.69:
	v_mov_b32_e32 v7, 0
	s_or_b64 s[0:1], s[0:1], exec
; %bb.70:
	s_or_b64 exec, exec, s[2:3]
.LBB125_71:
	s_and_saveexec_b64 s[2:3], s[0:1]
	s_cbranch_execz .LBB125_73
; %bb.72:
	v_lshlrev_b32_e32 v8, 3, v12
	ds_read_b64 v[8:9], v8
	v_lshlrev_b64 v[6:7], 3, v[6:7]
	v_mov_b32_e32 v10, s15
	v_add_co_u32_e32 v6, vcc, s14, v6
	v_addc_co_u32_e32 v7, vcc, v10, v7, vcc
	s_waitcnt lgkmcnt(0)
	global_store_dwordx2 v[6:7], v[8:9], off offset:24
.LBB125_73:
	s_or_b64 exec, exec, s[2:3]
	v_lshrrev_b32_e32 v6, 3, v0
	v_lshlrev_b32_e32 v7, 2, v1
	v_lshl_add_u32 v7, v6, 2, v7
	s_barrier
	s_barrier
	ds_write2_b32 v7, v2, v3 offset1:1
	ds_write2_b32 v7, v4, v5 offset0:2 offset1:3
	v_and_b32_e32 v2, 28, v6
	v_or_b32_e32 v6, 0x100, v0
	v_add_u32_e32 v7, v1, v2
	v_lshrrev_b32_e32 v2, 3, v6
	v_and_b32_e32 v2, 60, v2
	v_or_b32_e32 v5, 0x200, v0
	s_mov_b32 s19, 0
	v_add_u32_e32 v8, v1, v2
	v_lshrrev_b32_e32 v2, 3, v5
	s_lshl_b64 s[0:1], s[18:19], 2
	v_and_b32_e32 v2, 0x5c, v2
	v_or_b32_e32 v4, 0x300, v0
	s_add_u32 s0, s10, s0
	v_add_u32_e32 v9, v1, v2
	v_lshrrev_b32_e32 v2, 3, v4
	s_addc_u32 s1, s11, s1
	v_and_b32_e32 v2, 0x7c, v2
	v_add_u32_e32 v10, v1, v2
	v_mov_b32_e32 v3, s1
	v_add_co_u32_e32 v2, vcc, s0, v1
	v_addc_co_u32_e32 v3, vcc, 0, v3, vcc
	s_and_b64 vcc, exec, s[20:21]
	s_waitcnt lgkmcnt(0)
	s_cbranch_vccz .LBB125_75
; %bb.74:
	s_barrier
	ds_read_b32 v11, v7
	ds_read_b32 v12, v8 offset:1024
	ds_read_b32 v13, v9 offset:2048
	;; [unrolled: 1-line block ×3, first 2 shown]
	s_waitcnt lgkmcnt(3)
	global_store_dword v[2:3], v11, off
	s_waitcnt lgkmcnt(2)
	global_store_dword v[2:3], v12, off offset:1024
	s_waitcnt lgkmcnt(1)
	global_store_dword v[2:3], v13, off offset:2048
	s_mov_b64 s[0:1], -1
	s_cbranch_execz .LBB125_76
	s_branch .LBB125_81
.LBB125_75:
	s_mov_b64 s[0:1], 0
                                        ; implicit-def: $vgpr1
.LBB125_76:
	s_barrier
	s_waitcnt lgkmcnt(0)
	ds_read_b32 v11, v8 offset:1024
	ds_read_b32 v8, v9 offset:2048
	;; [unrolled: 1-line block ×3, first 2 shown]
	s_sub_i32 s2, s16, s18
	v_cmp_gt_u32_e32 vcc, s2, v0
	s_and_saveexec_b64 s[0:1], vcc
	s_cbranch_execnz .LBB125_90
; %bb.77:
	s_or_b64 exec, exec, s[0:1]
	v_cmp_gt_u32_e32 vcc, s2, v6
	s_and_saveexec_b64 s[0:1], vcc
	s_cbranch_execnz .LBB125_91
.LBB125_78:
	s_or_b64 exec, exec, s[0:1]
	v_cmp_gt_u32_e32 vcc, s2, v5
	s_and_saveexec_b64 s[0:1], vcc
	s_cbranch_execz .LBB125_80
.LBB125_79:
	s_waitcnt lgkmcnt(1)
	global_store_dword v[2:3], v8, off offset:2048
.LBB125_80:
	s_or_b64 exec, exec, s[0:1]
	v_cmp_gt_u32_e64 s[0:1], s2, v4
.LBB125_81:
	s_and_saveexec_b64 s[2:3], s[0:1]
	s_cbranch_execz .LBB125_83
; %bb.82:
	s_waitcnt lgkmcnt(0)
	global_store_dword v[2:3], v1, off offset:3072
.LBB125_83:
	s_endpgm
.LBB125_84:
	s_waitcnt vmcnt(3)
	v_mov_b32_e32 v2, s27
	s_waitcnt vmcnt(1)
	v_add_co_u32_e32 v4, vcc, s7, v1
	v_mov_b32_e32 v3, 0
	s_waitcnt vmcnt(0)
	v_addc_co_u32_e32 v5, vcc, 0, v2, vcc
	v_subrev_u32_e32 v2, s19, v0
	v_lshlrev_b64 v[2:3], 2, v[2:3]
	v_mov_b32_e32 v7, s5
	v_add_co_u32_e32 v2, vcc, s4, v2
	v_addc_co_u32_e32 v3, vcc, v7, v3, vcc
	v_cmp_gt_u32_e32 vcc, s19, v0
	v_cndmask_b32_e32 v3, v3, v5, vcc
	v_cndmask_b32_e32 v2, v2, v4, vcc
	global_load_dword v2, v[2:3], off
	s_or_b64 exec, exec, s[0:1]
	v_cmp_gt_u32_e32 vcc, s17, v8
	s_and_saveexec_b64 s[2:3], vcc
	s_cbranch_execz .LBB125_6
.LBB125_85:
	v_mov_b32_e32 v9, 0
	v_lshlrev_b64 v[10:11], 2, v[8:9]
	s_waitcnt vmcnt(2)
	v_mov_b32_e32 v3, s27
	v_add_co_u32_e32 v7, vcc, s7, v10
	v_addc_co_u32_e32 v3, vcc, v3, v11, vcc
	v_cmp_gt_u32_e32 vcc, s19, v8
	v_subrev_u32_e32 v8, s19, v8
	v_lshlrev_b64 v[8:9], 2, v[8:9]
	v_mov_b32_e32 v10, s5
	v_add_co_u32_e64 v8, s[0:1], s4, v8
	v_addc_co_u32_e64 v9, s[0:1], v10, v9, s[0:1]
	v_cndmask_b32_e32 v9, v9, v3, vcc
	v_cndmask_b32_e32 v8, v8, v7, vcc
	global_load_dword v3, v[8:9], off
	s_or_b64 exec, exec, s[2:3]
	v_cmp_gt_u32_e32 vcc, s17, v6
	s_and_saveexec_b64 s[0:1], vcc
	s_cbranch_execnz .LBB125_7
	s_branch .LBB125_8
.LBB125_86:
	v_subrev_u32_e32 v8, s19, v0
	v_cmp_gt_u32_e32 vcc, s30, v8
                                        ; implicit-def: $vgpr6_vgpr7
	s_and_saveexec_b64 s[8:9], vcc
	s_xor_b64 s[8:9], exec, s[8:9]
; %bb.87:
	v_mov_b32_e32 v9, 0
	v_lshlrev_b64 v[6:7], 3, v[8:9]
	v_mov_b32_e32 v8, s29
	v_add_co_u32_e32 v6, vcc, s28, v6
	s_mov_b64 s[6:7], exec
	v_addc_co_u32_e32 v7, vcc, v8, v7, vcc
; %bb.88:
	s_or_b64 exec, exec, s[8:9]
	s_and_b64 s[6:7], s[6:7], exec
	s_andn2_saveexec_b64 s[2:3], s[2:3]
	s_cbranch_execz .LBB125_40
.LBB125_89:
	v_lshlrev_b32_e32 v6, 3, v0
	v_mov_b32_e32 v7, s27
	v_add_co_u32_e32 v6, vcc, s26, v6
	v_addc_co_u32_e32 v7, vcc, 0, v7, vcc
	s_or_b64 s[6:7], s[6:7], exec
	s_or_b64 exec, exec, s[2:3]
	v_add_u32_e32 v14, v1, v1
	s_and_saveexec_b64 s[2:3], s[6:7]
	s_cbranch_execnz .LBB125_41
	s_branch .LBB125_42
.LBB125_90:
	ds_read_b32 v0, v7
	s_waitcnt lgkmcnt(0)
	global_store_dword v[2:3], v0, off
	s_or_b64 exec, exec, s[0:1]
	v_cmp_gt_u32_e32 vcc, s2, v6
	s_and_saveexec_b64 s[0:1], vcc
	s_cbranch_execz .LBB125_78
.LBB125_91:
	s_waitcnt lgkmcnt(2)
	global_store_dword v[2:3], v11, off offset:1024
	s_or_b64 exec, exec, s[0:1]
	v_cmp_gt_u32_e32 vcc, s2, v5
	s_and_saveexec_b64 s[0:1], vcc
	s_cbranch_execnz .LBB125_79
	s_branch .LBB125_80
	.section	.rodata,"a",@progbits
	.p2align	6, 0x0
	.amdhsa_kernel _ZN7rocprim17ROCPRIM_304000_NS6detail35device_block_merge_mergepath_kernelINS1_37wrapped_merge_sort_block_merge_configINS0_14default_configEfN2at4cuda3cub6detail10OpaqueTypeILi8EEEEEPfSC_PSA_SD_jNS1_19radix_merge_compareILb1ELb0EfNS0_19identity_decomposerEEEEEvT0_T1_T2_T3_T4_SL_jT5_PKSL_NS1_7vsmem_tE
		.amdhsa_group_segment_fixed_size 8208
		.amdhsa_private_segment_fixed_size 0
		.amdhsa_kernarg_size 320
		.amdhsa_user_sgpr_count 6
		.amdhsa_user_sgpr_private_segment_buffer 1
		.amdhsa_user_sgpr_dispatch_ptr 0
		.amdhsa_user_sgpr_queue_ptr 0
		.amdhsa_user_sgpr_kernarg_segment_ptr 1
		.amdhsa_user_sgpr_dispatch_id 0
		.amdhsa_user_sgpr_flat_scratch_init 0
		.amdhsa_user_sgpr_kernarg_preload_length 0
		.amdhsa_user_sgpr_kernarg_preload_offset 0
		.amdhsa_user_sgpr_private_segment_size 0
		.amdhsa_uses_dynamic_stack 0
		.amdhsa_system_sgpr_private_segment_wavefront_offset 0
		.amdhsa_system_sgpr_workgroup_id_x 1
		.amdhsa_system_sgpr_workgroup_id_y 1
		.amdhsa_system_sgpr_workgroup_id_z 1
		.amdhsa_system_sgpr_workgroup_info 0
		.amdhsa_system_vgpr_workitem_id 0
		.amdhsa_next_free_vgpr 24
		.amdhsa_next_free_sgpr 31
		.amdhsa_accum_offset 24
		.amdhsa_reserve_vcc 1
		.amdhsa_reserve_flat_scratch 0
		.amdhsa_float_round_mode_32 0
		.amdhsa_float_round_mode_16_64 0
		.amdhsa_float_denorm_mode_32 3
		.amdhsa_float_denorm_mode_16_64 3
		.amdhsa_dx10_clamp 1
		.amdhsa_ieee_mode 1
		.amdhsa_fp16_overflow 0
		.amdhsa_tg_split 0
		.amdhsa_exception_fp_ieee_invalid_op 0
		.amdhsa_exception_fp_denorm_src 0
		.amdhsa_exception_fp_ieee_div_zero 0
		.amdhsa_exception_fp_ieee_overflow 0
		.amdhsa_exception_fp_ieee_underflow 0
		.amdhsa_exception_fp_ieee_inexact 0
		.amdhsa_exception_int_div_zero 0
	.end_amdhsa_kernel
	.section	.text._ZN7rocprim17ROCPRIM_304000_NS6detail35device_block_merge_mergepath_kernelINS1_37wrapped_merge_sort_block_merge_configINS0_14default_configEfN2at4cuda3cub6detail10OpaqueTypeILi8EEEEEPfSC_PSA_SD_jNS1_19radix_merge_compareILb1ELb0EfNS0_19identity_decomposerEEEEEvT0_T1_T2_T3_T4_SL_jT5_PKSL_NS1_7vsmem_tE,"axG",@progbits,_ZN7rocprim17ROCPRIM_304000_NS6detail35device_block_merge_mergepath_kernelINS1_37wrapped_merge_sort_block_merge_configINS0_14default_configEfN2at4cuda3cub6detail10OpaqueTypeILi8EEEEEPfSC_PSA_SD_jNS1_19radix_merge_compareILb1ELb0EfNS0_19identity_decomposerEEEEEvT0_T1_T2_T3_T4_SL_jT5_PKSL_NS1_7vsmem_tE,comdat
.Lfunc_end125:
	.size	_ZN7rocprim17ROCPRIM_304000_NS6detail35device_block_merge_mergepath_kernelINS1_37wrapped_merge_sort_block_merge_configINS0_14default_configEfN2at4cuda3cub6detail10OpaqueTypeILi8EEEEEPfSC_PSA_SD_jNS1_19radix_merge_compareILb1ELb0EfNS0_19identity_decomposerEEEEEvT0_T1_T2_T3_T4_SL_jT5_PKSL_NS1_7vsmem_tE, .Lfunc_end125-_ZN7rocprim17ROCPRIM_304000_NS6detail35device_block_merge_mergepath_kernelINS1_37wrapped_merge_sort_block_merge_configINS0_14default_configEfN2at4cuda3cub6detail10OpaqueTypeILi8EEEEEPfSC_PSA_SD_jNS1_19radix_merge_compareILb1ELb0EfNS0_19identity_decomposerEEEEEvT0_T1_T2_T3_T4_SL_jT5_PKSL_NS1_7vsmem_tE
                                        ; -- End function
	.section	.AMDGPU.csdata,"",@progbits
; Kernel info:
; codeLenInByte = 3828
; NumSgprs: 35
; NumVgprs: 24
; NumAgprs: 0
; TotalNumVgprs: 24
; ScratchSize: 0
; MemoryBound: 1
; FloatMode: 240
; IeeeMode: 1
; LDSByteSize: 8208 bytes/workgroup (compile time only)
; SGPRBlocks: 4
; VGPRBlocks: 2
; NumSGPRsForWavesPerEU: 35
; NumVGPRsForWavesPerEU: 24
; AccumOffset: 24
; Occupancy: 7
; WaveLimiterHint : 1
; COMPUTE_PGM_RSRC2:SCRATCH_EN: 0
; COMPUTE_PGM_RSRC2:USER_SGPR: 6
; COMPUTE_PGM_RSRC2:TRAP_HANDLER: 0
; COMPUTE_PGM_RSRC2:TGID_X_EN: 1
; COMPUTE_PGM_RSRC2:TGID_Y_EN: 1
; COMPUTE_PGM_RSRC2:TGID_Z_EN: 1
; COMPUTE_PGM_RSRC2:TIDIG_COMP_CNT: 0
; COMPUTE_PGM_RSRC3_GFX90A:ACCUM_OFFSET: 5
; COMPUTE_PGM_RSRC3_GFX90A:TG_SPLIT: 0
	.section	.text._ZN7rocprim17ROCPRIM_304000_NS6detail33device_block_merge_oddeven_kernelINS1_37wrapped_merge_sort_block_merge_configINS0_14default_configEfN2at4cuda3cub6detail10OpaqueTypeILi8EEEEEPfSC_PSA_SD_jNS1_19radix_merge_compareILb1ELb0EfNS0_19identity_decomposerEEEEEvT0_T1_T2_T3_T4_SL_T5_,"axG",@progbits,_ZN7rocprim17ROCPRIM_304000_NS6detail33device_block_merge_oddeven_kernelINS1_37wrapped_merge_sort_block_merge_configINS0_14default_configEfN2at4cuda3cub6detail10OpaqueTypeILi8EEEEEPfSC_PSA_SD_jNS1_19radix_merge_compareILb1ELb0EfNS0_19identity_decomposerEEEEEvT0_T1_T2_T3_T4_SL_T5_,comdat
	.protected	_ZN7rocprim17ROCPRIM_304000_NS6detail33device_block_merge_oddeven_kernelINS1_37wrapped_merge_sort_block_merge_configINS0_14default_configEfN2at4cuda3cub6detail10OpaqueTypeILi8EEEEEPfSC_PSA_SD_jNS1_19radix_merge_compareILb1ELb0EfNS0_19identity_decomposerEEEEEvT0_T1_T2_T3_T4_SL_T5_ ; -- Begin function _ZN7rocprim17ROCPRIM_304000_NS6detail33device_block_merge_oddeven_kernelINS1_37wrapped_merge_sort_block_merge_configINS0_14default_configEfN2at4cuda3cub6detail10OpaqueTypeILi8EEEEEPfSC_PSA_SD_jNS1_19radix_merge_compareILb1ELb0EfNS0_19identity_decomposerEEEEEvT0_T1_T2_T3_T4_SL_T5_
	.globl	_ZN7rocprim17ROCPRIM_304000_NS6detail33device_block_merge_oddeven_kernelINS1_37wrapped_merge_sort_block_merge_configINS0_14default_configEfN2at4cuda3cub6detail10OpaqueTypeILi8EEEEEPfSC_PSA_SD_jNS1_19radix_merge_compareILb1ELb0EfNS0_19identity_decomposerEEEEEvT0_T1_T2_T3_T4_SL_T5_
	.p2align	8
	.type	_ZN7rocprim17ROCPRIM_304000_NS6detail33device_block_merge_oddeven_kernelINS1_37wrapped_merge_sort_block_merge_configINS0_14default_configEfN2at4cuda3cub6detail10OpaqueTypeILi8EEEEEPfSC_PSA_SD_jNS1_19radix_merge_compareILb1ELb0EfNS0_19identity_decomposerEEEEEvT0_T1_T2_T3_T4_SL_T5_,@function
_ZN7rocprim17ROCPRIM_304000_NS6detail33device_block_merge_oddeven_kernelINS1_37wrapped_merge_sort_block_merge_configINS0_14default_configEfN2at4cuda3cub6detail10OpaqueTypeILi8EEEEEPfSC_PSA_SD_jNS1_19radix_merge_compareILb1ELb0EfNS0_19identity_decomposerEEEEEvT0_T1_T2_T3_T4_SL_T5_: ; @_ZN7rocprim17ROCPRIM_304000_NS6detail33device_block_merge_oddeven_kernelINS1_37wrapped_merge_sort_block_merge_configINS0_14default_configEfN2at4cuda3cub6detail10OpaqueTypeILi8EEEEEPfSC_PSA_SD_jNS1_19radix_merge_compareILb1ELb0EfNS0_19identity_decomposerEEEEEvT0_T1_T2_T3_T4_SL_T5_
; %bb.0:
	s_load_dwordx2 s[16:17], s[4:5], 0x20
	s_waitcnt lgkmcnt(0)
	s_lshr_b32 s2, s16, 8
	s_cmp_lg_u32 s6, s2
	s_cselect_b64 s[0:1], -1, 0
	s_cmp_eq_u32 s6, s2
	s_cselect_b64 s[18:19], -1, 0
	s_lshl_b32 s20, s6, 8
	s_sub_i32 s2, s16, s20
	v_cmp_gt_u32_e64 s[2:3], s2, v0
	s_or_b64 s[0:1], s[0:1], s[2:3]
	s_and_saveexec_b64 s[8:9], s[0:1]
	s_cbranch_execz .LBB126_26
; %bb.1:
	s_load_dwordx8 s[8:15], s[4:5], 0x0
	s_mov_b32 s21, 0
	s_lshl_b64 s[0:1], s[20:21], 2
	v_lshlrev_b32_e32 v4, 3, v0
	v_lshlrev_b32_e32 v1, 2, v0
	s_waitcnt lgkmcnt(0)
	s_add_u32 s0, s8, s0
	s_addc_u32 s1, s9, s1
	s_lshl_b64 s[4:5], s[20:21], 3
	s_add_u32 s4, s12, s4
	s_addc_u32 s5, s13, s5
	global_load_dwordx2 v[2:3], v4, s[4:5]
	global_load_dword v6, v1, s[0:1]
	s_lshr_b32 s0, s17, 8
	s_sub_i32 s1, 0, s0
	s_and_b32 s1, s6, s1
	s_and_b32 s0, s1, s0
	s_lshl_b32 s22, s1, 8
	s_sub_i32 s6, 0, s17
	s_cmp_eq_u32 s0, 0
	s_cselect_b64 s[0:1], -1, 0
	s_and_b64 s[4:5], s[0:1], exec
	s_cselect_b32 s21, s17, s6
	s_add_i32 s21, s21, s22
	s_cmp_lt_u32 s21, s16
	v_add_u32_e32 v4, s20, v0
	s_cbranch_scc1 .LBB126_6
; %bb.2:
	s_and_b64 vcc, exec, s[18:19]
	s_cbranch_vccz .LBB126_7
; %bb.3:
	v_cmp_gt_u32_e32 vcc, s16, v4
	s_mov_b64 s[6:7], 0
	s_mov_b64 s[4:5], 0
                                        ; implicit-def: $vgpr0_vgpr1
	s_and_saveexec_b64 s[12:13], vcc
	s_cbranch_execz .LBB126_5
; %bb.4:
	v_mov_b32_e32 v5, 0
	v_lshlrev_b64 v[0:1], 3, v[4:5]
	v_mov_b32_e32 v7, s15
	v_add_co_u32_e32 v0, vcc, s14, v0
	v_addc_co_u32_e32 v1, vcc, v7, v1, vcc
	v_lshlrev_b64 v[8:9], 2, v[4:5]
	v_mov_b32_e32 v5, s11
	v_add_co_u32_e32 v8, vcc, s10, v8
	s_mov_b64 s[4:5], exec
	v_addc_co_u32_e32 v9, vcc, v5, v9, vcc
	s_waitcnt vmcnt(0)
	global_store_dword v[8:9], v6, off
.LBB126_5:
	s_or_b64 exec, exec, s[12:13]
	s_and_b64 vcc, exec, s[6:7]
	s_cbranch_vccnz .LBB126_8
	s_branch .LBB126_9
.LBB126_6:
	s_mov_b64 s[4:5], 0
                                        ; implicit-def: $vgpr0_vgpr1
	s_cbranch_execnz .LBB126_10
	s_branch .LBB126_24
.LBB126_7:
	s_mov_b64 s[4:5], 0
                                        ; implicit-def: $vgpr0_vgpr1
	s_cbranch_execz .LBB126_9
.LBB126_8:
	v_mov_b32_e32 v5, 0
	v_lshlrev_b64 v[0:1], 2, v[4:5]
	v_mov_b32_e32 v7, s11
	v_add_co_u32_e32 v0, vcc, s10, v0
	v_addc_co_u32_e32 v1, vcc, v7, v1, vcc
	s_waitcnt vmcnt(0)
	global_store_dword v[0:1], v6, off
	v_lshlrev_b64 v[0:1], 3, v[4:5]
	v_mov_b32_e32 v5, s15
	v_add_co_u32_e32 v0, vcc, s14, v0
	v_addc_co_u32_e32 v1, vcc, v5, v1, vcc
	s_or_b64 s[4:5], s[4:5], exec
.LBB126_9:
	s_branch .LBB126_24
.LBB126_10:
	s_min_u32 s12, s21, s16
	s_add_i32 s6, s12, s17
	s_min_u32 s13, s6, s16
	s_min_u32 s6, s22, s12
	s_add_i32 s22, s22, s12
	v_subrev_u32_e32 v0, s22, v4
	v_add_u32_e32 v4, s6, v0
	s_and_b64 vcc, exec, s[18:19]
	s_cbranch_vccz .LBB126_18
; %bb.11:
                                        ; implicit-def: $vgpr0_vgpr1
	s_and_saveexec_b64 s[6:7], s[2:3]
	s_cbranch_execz .LBB126_17
; %bb.12:
	s_cmp_ge_u32 s21, s13
	v_mov_b32_e32 v5, s12
	s_cbranch_scc1 .LBB126_16
; %bb.13:
	s_brev_b32 s16, 1
	s_waitcnt vmcnt(0)
	v_cmp_ne_u32_e32 vcc, s16, v6
	v_cndmask_b32_e32 v0, 0, v6, vcc
	v_bfrev_b32_e32 v7, 1
	v_cmp_lt_i32_e32 vcc, -1, v0
	v_cndmask_b32_e32 v1, -1, v7, vcc
	v_xor_b32_e32 v8, v1, v0
	s_mov_b64 s[2:3], 0
	v_mov_b32_e32 v9, s13
	v_mov_b32_e32 v5, s12
	;; [unrolled: 1-line block ×4, first 2 shown]
.LBB126_14:                             ; =>This Inner Loop Header: Depth=1
	v_add_u32_e32 v0, v5, v9
	v_lshrrev_b32_e32 v0, 1, v0
	v_lshlrev_b64 v[12:13], 2, v[0:1]
	v_add_co_u32_e32 v12, vcc, s8, v12
	v_addc_co_u32_e32 v13, vcc, v10, v13, vcc
	global_load_dword v11, v[12:13], off
	v_add_u32_e32 v12, 1, v0
	s_waitcnt vmcnt(0)
	v_cmp_ne_u32_e32 vcc, s16, v11
	v_cndmask_b32_e32 v11, 0, v11, vcc
	v_cmp_lt_i32_e32 vcc, -1, v11
	v_cndmask_b32_e32 v13, -1, v7, vcc
	v_xor_b32_e32 v11, v13, v11
	v_cmp_gt_u32_e32 vcc, v11, v8
	v_cndmask_b32_e64 v13, 0, 1, vcc
	v_cmp_le_u32_e32 vcc, v8, v11
	v_cndmask_b32_e64 v11, 0, 1, vcc
	v_cndmask_b32_e64 v11, v11, v13, s[0:1]
	v_and_b32_e32 v11, 1, v11
	v_cmp_eq_u32_e32 vcc, 1, v11
	v_cndmask_b32_e32 v9, v0, v9, vcc
	v_cndmask_b32_e32 v5, v5, v12, vcc
	v_cmp_ge_u32_e32 vcc, v5, v9
	s_or_b64 s[2:3], vcc, s[2:3]
	s_andn2_b64 exec, exec, s[2:3]
	s_cbranch_execnz .LBB126_14
; %bb.15:
	s_or_b64 exec, exec, s[2:3]
.LBB126_16:
	v_add_u32_e32 v0, v5, v4
	v_mov_b32_e32 v1, 0
	v_lshlrev_b64 v[8:9], 2, v[0:1]
	v_mov_b32_e32 v5, s11
	v_add_co_u32_e32 v8, vcc, s10, v8
	v_addc_co_u32_e32 v9, vcc, v5, v9, vcc
	v_lshlrev_b64 v[0:1], 3, v[0:1]
	v_mov_b32_e32 v5, s15
	v_add_co_u32_e32 v0, vcc, s14, v0
	s_waitcnt vmcnt(0)
	global_store_dword v[8:9], v6, off
	v_addc_co_u32_e32 v1, vcc, v5, v1, vcc
	s_or_b64 s[4:5], s[4:5], exec
.LBB126_17:
	s_or_b64 exec, exec, s[6:7]
	s_branch .LBB126_24
.LBB126_18:
                                        ; implicit-def: $vgpr0_vgpr1
	s_cbranch_execz .LBB126_24
; %bb.19:
	s_cmp_ge_u32 s21, s13
	v_mov_b32_e32 v5, s12
	s_cbranch_scc1 .LBB126_23
; %bb.20:
	s_brev_b32 s4, 1
	s_waitcnt vmcnt(0)
	v_cmp_ne_u32_e32 vcc, s4, v6
	v_cndmask_b32_e32 v0, 0, v6, vcc
	v_bfrev_b32_e32 v7, 1
	v_cmp_lt_i32_e32 vcc, -1, v0
	v_cndmask_b32_e32 v1, -1, v7, vcc
	v_xor_b32_e32 v8, v1, v0
	s_mov_b64 s[2:3], 0
	v_mov_b32_e32 v9, s13
	v_mov_b32_e32 v5, s12
	;; [unrolled: 1-line block ×4, first 2 shown]
.LBB126_21:                             ; =>This Inner Loop Header: Depth=1
	v_add_u32_e32 v0, v5, v9
	v_lshrrev_b32_e32 v0, 1, v0
	v_lshlrev_b64 v[12:13], 2, v[0:1]
	v_add_co_u32_e32 v12, vcc, s8, v12
	v_addc_co_u32_e32 v13, vcc, v10, v13, vcc
	global_load_dword v11, v[12:13], off
	v_add_u32_e32 v12, 1, v0
	s_waitcnt vmcnt(0)
	v_cmp_ne_u32_e32 vcc, s4, v11
	v_cndmask_b32_e32 v11, 0, v11, vcc
	v_cmp_lt_i32_e32 vcc, -1, v11
	v_cndmask_b32_e32 v13, -1, v7, vcc
	v_xor_b32_e32 v11, v13, v11
	v_cmp_gt_u32_e32 vcc, v11, v8
	v_cndmask_b32_e64 v13, 0, 1, vcc
	v_cmp_le_u32_e32 vcc, v8, v11
	v_cndmask_b32_e64 v11, 0, 1, vcc
	v_cndmask_b32_e64 v11, v11, v13, s[0:1]
	v_and_b32_e32 v11, 1, v11
	v_cmp_eq_u32_e32 vcc, 1, v11
	v_cndmask_b32_e32 v9, v0, v9, vcc
	v_cndmask_b32_e32 v5, v5, v12, vcc
	v_cmp_ge_u32_e32 vcc, v5, v9
	s_or_b64 s[2:3], vcc, s[2:3]
	s_andn2_b64 exec, exec, s[2:3]
	s_cbranch_execnz .LBB126_21
; %bb.22:
	s_or_b64 exec, exec, s[2:3]
.LBB126_23:
	v_add_u32_e32 v0, v5, v4
	v_mov_b32_e32 v1, 0
	v_lshlrev_b64 v[4:5], 2, v[0:1]
	v_mov_b32_e32 v7, s11
	v_add_co_u32_e32 v4, vcc, s10, v4
	v_addc_co_u32_e32 v5, vcc, v7, v5, vcc
	v_lshlrev_b64 v[0:1], 3, v[0:1]
	s_waitcnt vmcnt(0)
	global_store_dword v[4:5], v6, off
	v_mov_b32_e32 v4, s15
	v_add_co_u32_e32 v0, vcc, s14, v0
	v_addc_co_u32_e32 v1, vcc, v4, v1, vcc
	s_mov_b64 s[4:5], -1
.LBB126_24:
	s_and_b64 exec, exec, s[4:5]
	s_cbranch_execz .LBB126_26
; %bb.25:
	s_waitcnt vmcnt(1)
	global_store_dwordx2 v[0:1], v[2:3], off
.LBB126_26:
	s_endpgm
	.section	.rodata,"a",@progbits
	.p2align	6, 0x0
	.amdhsa_kernel _ZN7rocprim17ROCPRIM_304000_NS6detail33device_block_merge_oddeven_kernelINS1_37wrapped_merge_sort_block_merge_configINS0_14default_configEfN2at4cuda3cub6detail10OpaqueTypeILi8EEEEEPfSC_PSA_SD_jNS1_19radix_merge_compareILb1ELb0EfNS0_19identity_decomposerEEEEEvT0_T1_T2_T3_T4_SL_T5_
		.amdhsa_group_segment_fixed_size 0
		.amdhsa_private_segment_fixed_size 0
		.amdhsa_kernarg_size 44
		.amdhsa_user_sgpr_count 6
		.amdhsa_user_sgpr_private_segment_buffer 1
		.amdhsa_user_sgpr_dispatch_ptr 0
		.amdhsa_user_sgpr_queue_ptr 0
		.amdhsa_user_sgpr_kernarg_segment_ptr 1
		.amdhsa_user_sgpr_dispatch_id 0
		.amdhsa_user_sgpr_flat_scratch_init 0
		.amdhsa_user_sgpr_kernarg_preload_length 0
		.amdhsa_user_sgpr_kernarg_preload_offset 0
		.amdhsa_user_sgpr_private_segment_size 0
		.amdhsa_uses_dynamic_stack 0
		.amdhsa_system_sgpr_private_segment_wavefront_offset 0
		.amdhsa_system_sgpr_workgroup_id_x 1
		.amdhsa_system_sgpr_workgroup_id_y 0
		.amdhsa_system_sgpr_workgroup_id_z 0
		.amdhsa_system_sgpr_workgroup_info 0
		.amdhsa_system_vgpr_workitem_id 0
		.amdhsa_next_free_vgpr 14
		.amdhsa_next_free_sgpr 23
		.amdhsa_accum_offset 16
		.amdhsa_reserve_vcc 1
		.amdhsa_reserve_flat_scratch 0
		.amdhsa_float_round_mode_32 0
		.amdhsa_float_round_mode_16_64 0
		.amdhsa_float_denorm_mode_32 3
		.amdhsa_float_denorm_mode_16_64 3
		.amdhsa_dx10_clamp 1
		.amdhsa_ieee_mode 1
		.amdhsa_fp16_overflow 0
		.amdhsa_tg_split 0
		.amdhsa_exception_fp_ieee_invalid_op 0
		.amdhsa_exception_fp_denorm_src 0
		.amdhsa_exception_fp_ieee_div_zero 0
		.amdhsa_exception_fp_ieee_overflow 0
		.amdhsa_exception_fp_ieee_underflow 0
		.amdhsa_exception_fp_ieee_inexact 0
		.amdhsa_exception_int_div_zero 0
	.end_amdhsa_kernel
	.section	.text._ZN7rocprim17ROCPRIM_304000_NS6detail33device_block_merge_oddeven_kernelINS1_37wrapped_merge_sort_block_merge_configINS0_14default_configEfN2at4cuda3cub6detail10OpaqueTypeILi8EEEEEPfSC_PSA_SD_jNS1_19radix_merge_compareILb1ELb0EfNS0_19identity_decomposerEEEEEvT0_T1_T2_T3_T4_SL_T5_,"axG",@progbits,_ZN7rocprim17ROCPRIM_304000_NS6detail33device_block_merge_oddeven_kernelINS1_37wrapped_merge_sort_block_merge_configINS0_14default_configEfN2at4cuda3cub6detail10OpaqueTypeILi8EEEEEPfSC_PSA_SD_jNS1_19radix_merge_compareILb1ELb0EfNS0_19identity_decomposerEEEEEvT0_T1_T2_T3_T4_SL_T5_,comdat
.Lfunc_end126:
	.size	_ZN7rocprim17ROCPRIM_304000_NS6detail33device_block_merge_oddeven_kernelINS1_37wrapped_merge_sort_block_merge_configINS0_14default_configEfN2at4cuda3cub6detail10OpaqueTypeILi8EEEEEPfSC_PSA_SD_jNS1_19radix_merge_compareILb1ELb0EfNS0_19identity_decomposerEEEEEvT0_T1_T2_T3_T4_SL_T5_, .Lfunc_end126-_ZN7rocprim17ROCPRIM_304000_NS6detail33device_block_merge_oddeven_kernelINS1_37wrapped_merge_sort_block_merge_configINS0_14default_configEfN2at4cuda3cub6detail10OpaqueTypeILi8EEEEEPfSC_PSA_SD_jNS1_19radix_merge_compareILb1ELb0EfNS0_19identity_decomposerEEEEEvT0_T1_T2_T3_T4_SL_T5_
                                        ; -- End function
	.section	.AMDGPU.csdata,"",@progbits
; Kernel info:
; codeLenInByte = 960
; NumSgprs: 27
; NumVgprs: 14
; NumAgprs: 0
; TotalNumVgprs: 14
; ScratchSize: 0
; MemoryBound: 0
; FloatMode: 240
; IeeeMode: 1
; LDSByteSize: 0 bytes/workgroup (compile time only)
; SGPRBlocks: 3
; VGPRBlocks: 1
; NumSGPRsForWavesPerEU: 27
; NumVGPRsForWavesPerEU: 14
; AccumOffset: 16
; Occupancy: 8
; WaveLimiterHint : 0
; COMPUTE_PGM_RSRC2:SCRATCH_EN: 0
; COMPUTE_PGM_RSRC2:USER_SGPR: 6
; COMPUTE_PGM_RSRC2:TRAP_HANDLER: 0
; COMPUTE_PGM_RSRC2:TGID_X_EN: 1
; COMPUTE_PGM_RSRC2:TGID_Y_EN: 0
; COMPUTE_PGM_RSRC2:TGID_Z_EN: 0
; COMPUTE_PGM_RSRC2:TIDIG_COMP_CNT: 0
; COMPUTE_PGM_RSRC3_GFX90A:ACCUM_OFFSET: 3
; COMPUTE_PGM_RSRC3_GFX90A:TG_SPLIT: 0
	.section	.text._ZN7rocprim17ROCPRIM_304000_NS6detail16transform_kernelINS1_24wrapped_transform_configINS0_14default_configEfEEfPfS6_NS0_8identityIfEEEEvT1_mT2_T3_,"axG",@progbits,_ZN7rocprim17ROCPRIM_304000_NS6detail16transform_kernelINS1_24wrapped_transform_configINS0_14default_configEfEEfPfS6_NS0_8identityIfEEEEvT1_mT2_T3_,comdat
	.protected	_ZN7rocprim17ROCPRIM_304000_NS6detail16transform_kernelINS1_24wrapped_transform_configINS0_14default_configEfEEfPfS6_NS0_8identityIfEEEEvT1_mT2_T3_ ; -- Begin function _ZN7rocprim17ROCPRIM_304000_NS6detail16transform_kernelINS1_24wrapped_transform_configINS0_14default_configEfEEfPfS6_NS0_8identityIfEEEEvT1_mT2_T3_
	.globl	_ZN7rocprim17ROCPRIM_304000_NS6detail16transform_kernelINS1_24wrapped_transform_configINS0_14default_configEfEEfPfS6_NS0_8identityIfEEEEvT1_mT2_T3_
	.p2align	8
	.type	_ZN7rocprim17ROCPRIM_304000_NS6detail16transform_kernelINS1_24wrapped_transform_configINS0_14default_configEfEEfPfS6_NS0_8identityIfEEEEvT1_mT2_T3_,@function
_ZN7rocprim17ROCPRIM_304000_NS6detail16transform_kernelINS1_24wrapped_transform_configINS0_14default_configEfEEfPfS6_NS0_8identityIfEEEEvT1_mT2_T3_: ; @_ZN7rocprim17ROCPRIM_304000_NS6detail16transform_kernelINS1_24wrapped_transform_configINS0_14default_configEfEEfPfS6_NS0_8identityIfEEEEvT1_mT2_T3_
; %bb.0:
	s_load_dword s7, s[4:5], 0x20
	s_load_dwordx4 s[0:3], s[4:5], 0x0
	s_load_dwordx2 s[8:9], s[4:5], 0x10
	s_lshl_b32 s10, s6, 11
	s_mov_b32 s11, 0
	s_waitcnt lgkmcnt(0)
	s_add_i32 s7, s7, -1
	s_lshl_b64 s[4:5], s[10:11], 2
	s_add_u32 s0, s0, s4
	s_addc_u32 s1, s1, s5
	v_lshlrev_b32_e32 v1, 2, v0
	v_mov_b32_e32 v2, s1
	v_add_co_u32_e32 v4, vcc, s0, v1
	s_cmp_lg_u32 s6, s7
	v_addc_co_u32_e32 v5, vcc, 0, v2, vcc
	s_cbranch_scc0 .LBB127_2
; %bb.1:
	v_add_co_u32_e32 v2, vcc, 0x1000, v4
	global_load_dword v6, v[4:5], off
	v_addc_co_u32_e32 v3, vcc, 0, v5, vcc
	global_load_dword v3, v[2:3], off
	s_add_u32 s0, s8, s4
	s_addc_u32 s1, s9, s5
	s_mov_b64 s[6:7], -1
	s_waitcnt vmcnt(1)
	global_store_dword v1, v6, s[0:1]
	s_cbranch_execz .LBB127_3
	s_branch .LBB127_10
.LBB127_2:
	s_mov_b64 s[6:7], 0
                                        ; implicit-def: $vgpr3
.LBB127_3:
	s_sub_i32 s10, s2, s10
	v_cmp_gt_u32_e64 s[0:1], s10, v0
                                        ; implicit-def: $vgpr2_vgpr3
	s_and_saveexec_b64 s[2:3], s[0:1]
	s_cbranch_execz .LBB127_5
; %bb.4:
	global_load_dword v2, v[4:5], off
.LBB127_5:
	s_or_b64 exec, exec, s[2:3]
	v_or_b32_e32 v0, 0x400, v0
	v_cmp_gt_u32_e64 s[2:3], s10, v0
	s_and_saveexec_b64 s[10:11], s[2:3]
	s_cbranch_execnz .LBB127_13
; %bb.6:
	s_or_b64 exec, exec, s[10:11]
	s_and_saveexec_b64 s[10:11], s[0:1]
	s_cbranch_execnz .LBB127_14
.LBB127_7:
	s_or_b64 exec, exec, s[10:11]
	s_and_saveexec_b64 s[0:1], s[2:3]
.LBB127_8:
	s_or_b64 s[6:7], s[6:7], exec
.LBB127_9:
	s_or_b64 exec, exec, s[0:1]
.LBB127_10:
	s_and_saveexec_b64 s[0:1], s[6:7]
	s_cbranch_execnz .LBB127_12
; %bb.11:
	s_endpgm
.LBB127_12:
	s_add_u32 s0, s8, s4
	s_addc_u32 s1, s9, s5
	v_mov_b32_e32 v0, s1
	v_add_co_u32_e32 v1, vcc, s0, v1
	s_waitcnt vmcnt(0)
	v_addc_co_u32_e32 v2, vcc, 0, v0, vcc
	v_add_co_u32_e32 v0, vcc, 0x1000, v1
	v_addc_co_u32_e32 v1, vcc, 0, v2, vcc
	global_store_dword v[0:1], v3, off
	s_endpgm
.LBB127_13:
	v_add_co_u32_e32 v4, vcc, 0x1000, v4
	v_addc_co_u32_e32 v5, vcc, 0, v5, vcc
	global_load_dword v3, v[4:5], off
	s_or_b64 exec, exec, s[10:11]
	s_and_saveexec_b64 s[10:11], s[0:1]
	s_cbranch_execz .LBB127_7
.LBB127_14:
	s_add_u32 s0, s8, s4
	s_addc_u32 s1, s9, s5
	s_waitcnt vmcnt(0)
	global_store_dword v1, v2, s[0:1]
	s_or_b64 exec, exec, s[10:11]
	s_and_saveexec_b64 s[0:1], s[2:3]
	s_cbranch_execnz .LBB127_8
	s_branch .LBB127_9
	.section	.rodata,"a",@progbits
	.p2align	6, 0x0
	.amdhsa_kernel _ZN7rocprim17ROCPRIM_304000_NS6detail16transform_kernelINS1_24wrapped_transform_configINS0_14default_configEfEEfPfS6_NS0_8identityIfEEEEvT1_mT2_T3_
		.amdhsa_group_segment_fixed_size 0
		.amdhsa_private_segment_fixed_size 0
		.amdhsa_kernarg_size 288
		.amdhsa_user_sgpr_count 6
		.amdhsa_user_sgpr_private_segment_buffer 1
		.amdhsa_user_sgpr_dispatch_ptr 0
		.amdhsa_user_sgpr_queue_ptr 0
		.amdhsa_user_sgpr_kernarg_segment_ptr 1
		.amdhsa_user_sgpr_dispatch_id 0
		.amdhsa_user_sgpr_flat_scratch_init 0
		.amdhsa_user_sgpr_kernarg_preload_length 0
		.amdhsa_user_sgpr_kernarg_preload_offset 0
		.amdhsa_user_sgpr_private_segment_size 0
		.amdhsa_uses_dynamic_stack 0
		.amdhsa_system_sgpr_private_segment_wavefront_offset 0
		.amdhsa_system_sgpr_workgroup_id_x 1
		.amdhsa_system_sgpr_workgroup_id_y 0
		.amdhsa_system_sgpr_workgroup_id_z 0
		.amdhsa_system_sgpr_workgroup_info 0
		.amdhsa_system_vgpr_workitem_id 0
		.amdhsa_next_free_vgpr 7
		.amdhsa_next_free_sgpr 12
		.amdhsa_accum_offset 8
		.amdhsa_reserve_vcc 1
		.amdhsa_reserve_flat_scratch 0
		.amdhsa_float_round_mode_32 0
		.amdhsa_float_round_mode_16_64 0
		.amdhsa_float_denorm_mode_32 3
		.amdhsa_float_denorm_mode_16_64 3
		.amdhsa_dx10_clamp 1
		.amdhsa_ieee_mode 1
		.amdhsa_fp16_overflow 0
		.amdhsa_tg_split 0
		.amdhsa_exception_fp_ieee_invalid_op 0
		.amdhsa_exception_fp_denorm_src 0
		.amdhsa_exception_fp_ieee_div_zero 0
		.amdhsa_exception_fp_ieee_overflow 0
		.amdhsa_exception_fp_ieee_underflow 0
		.amdhsa_exception_fp_ieee_inexact 0
		.amdhsa_exception_int_div_zero 0
	.end_amdhsa_kernel
	.section	.text._ZN7rocprim17ROCPRIM_304000_NS6detail16transform_kernelINS1_24wrapped_transform_configINS0_14default_configEfEEfPfS6_NS0_8identityIfEEEEvT1_mT2_T3_,"axG",@progbits,_ZN7rocprim17ROCPRIM_304000_NS6detail16transform_kernelINS1_24wrapped_transform_configINS0_14default_configEfEEfPfS6_NS0_8identityIfEEEEvT1_mT2_T3_,comdat
.Lfunc_end127:
	.size	_ZN7rocprim17ROCPRIM_304000_NS6detail16transform_kernelINS1_24wrapped_transform_configINS0_14default_configEfEEfPfS6_NS0_8identityIfEEEEvT1_mT2_T3_, .Lfunc_end127-_ZN7rocprim17ROCPRIM_304000_NS6detail16transform_kernelINS1_24wrapped_transform_configINS0_14default_configEfEEfPfS6_NS0_8identityIfEEEEvT1_mT2_T3_
                                        ; -- End function
	.section	.AMDGPU.csdata,"",@progbits
; Kernel info:
; codeLenInByte = 352
; NumSgprs: 16
; NumVgprs: 7
; NumAgprs: 0
; TotalNumVgprs: 7
; ScratchSize: 0
; MemoryBound: 0
; FloatMode: 240
; IeeeMode: 1
; LDSByteSize: 0 bytes/workgroup (compile time only)
; SGPRBlocks: 1
; VGPRBlocks: 0
; NumSGPRsForWavesPerEU: 16
; NumVGPRsForWavesPerEU: 7
; AccumOffset: 8
; Occupancy: 8
; WaveLimiterHint : 1
; COMPUTE_PGM_RSRC2:SCRATCH_EN: 0
; COMPUTE_PGM_RSRC2:USER_SGPR: 6
; COMPUTE_PGM_RSRC2:TRAP_HANDLER: 0
; COMPUTE_PGM_RSRC2:TGID_X_EN: 1
; COMPUTE_PGM_RSRC2:TGID_Y_EN: 0
; COMPUTE_PGM_RSRC2:TGID_Z_EN: 0
; COMPUTE_PGM_RSRC2:TIDIG_COMP_CNT: 0
; COMPUTE_PGM_RSRC3_GFX90A:ACCUM_OFFSET: 1
; COMPUTE_PGM_RSRC3_GFX90A:TG_SPLIT: 0
	.section	.text._ZN7rocprim17ROCPRIM_304000_NS6detail26onesweep_histograms_kernelINS1_34wrapped_radix_sort_onesweep_configINS0_14default_configEfN2at4cuda3cub6detail10OpaqueTypeILi8EEEEELb1EPKfmNS0_19identity_decomposerEEEvT1_PT2_SG_SG_T3_jj,"axG",@progbits,_ZN7rocprim17ROCPRIM_304000_NS6detail26onesweep_histograms_kernelINS1_34wrapped_radix_sort_onesweep_configINS0_14default_configEfN2at4cuda3cub6detail10OpaqueTypeILi8EEEEELb1EPKfmNS0_19identity_decomposerEEEvT1_PT2_SG_SG_T3_jj,comdat
	.protected	_ZN7rocprim17ROCPRIM_304000_NS6detail26onesweep_histograms_kernelINS1_34wrapped_radix_sort_onesweep_configINS0_14default_configEfN2at4cuda3cub6detail10OpaqueTypeILi8EEEEELb1EPKfmNS0_19identity_decomposerEEEvT1_PT2_SG_SG_T3_jj ; -- Begin function _ZN7rocprim17ROCPRIM_304000_NS6detail26onesweep_histograms_kernelINS1_34wrapped_radix_sort_onesweep_configINS0_14default_configEfN2at4cuda3cub6detail10OpaqueTypeILi8EEEEELb1EPKfmNS0_19identity_decomposerEEEvT1_PT2_SG_SG_T3_jj
	.globl	_ZN7rocprim17ROCPRIM_304000_NS6detail26onesweep_histograms_kernelINS1_34wrapped_radix_sort_onesweep_configINS0_14default_configEfN2at4cuda3cub6detail10OpaqueTypeILi8EEEEELb1EPKfmNS0_19identity_decomposerEEEvT1_PT2_SG_SG_T3_jj
	.p2align	8
	.type	_ZN7rocprim17ROCPRIM_304000_NS6detail26onesweep_histograms_kernelINS1_34wrapped_radix_sort_onesweep_configINS0_14default_configEfN2at4cuda3cub6detail10OpaqueTypeILi8EEEEELb1EPKfmNS0_19identity_decomposerEEEvT1_PT2_SG_SG_T3_jj,@function
_ZN7rocprim17ROCPRIM_304000_NS6detail26onesweep_histograms_kernelINS1_34wrapped_radix_sort_onesweep_configINS0_14default_configEfN2at4cuda3cub6detail10OpaqueTypeILi8EEEEELb1EPKfmNS0_19identity_decomposerEEEvT1_PT2_SG_SG_T3_jj: ; @_ZN7rocprim17ROCPRIM_304000_NS6detail26onesweep_histograms_kernelINS1_34wrapped_radix_sort_onesweep_configINS0_14default_configEfN2at4cuda3cub6detail10OpaqueTypeILi8EEEEELb1EPKfmNS0_19identity_decomposerEEEvT1_PT2_SG_SG_T3_jj
; %bb.0:
	s_load_dwordx8 s[12:19], s[4:5], 0x0
	s_load_dwordx2 s[20:21], s[4:5], 0x24
	s_mov_b32 s7, 0
	s_mul_i32 s1, s6, 0x3000
	s_mul_hi_u32 s0, s6, 0x3000
	s_waitcnt lgkmcnt(0)
	v_pk_mov_b32 v[2:3], s[18:19], s[18:19] op_sel:[0,1]
	v_cmp_ge_u64_e32 vcc, s[6:7], v[2:3]
	s_add_u32 s12, s12, s1
	s_addc_u32 s13, s13, s0
	s_mov_b64 s[0:1], -1
	v_lshlrev_b32_e32 v1, 2, v0
	s_cbranch_vccz .LBB128_52
; %bb.1:
	s_mul_i32 s0, s18, 0xfffff400
	s_add_i32 s16, s0, s16
	v_mov_b32_e32 v2, s13
	v_add_co_u32_e32 v8, vcc, s12, v1
	v_addc_co_u32_e32 v9, vcc, 0, v2, vcc
	v_cmp_gt_u32_e64 s[10:11], s16, v0
                                        ; implicit-def: $vgpr2_vgpr3_vgpr4_vgpr5_vgpr6_vgpr7
	s_and_saveexec_b64 s[0:1], s[10:11]
	s_cbranch_execz .LBB128_3
; %bb.2:
	global_load_dword v2, v[8:9], off
.LBB128_3:
	s_or_b64 exec, exec, s[0:1]
	v_or_b32_e32 v10, 0x200, v0
	v_cmp_gt_u32_e64 s[8:9], s16, v10
	s_and_saveexec_b64 s[0:1], s[8:9]
	s_cbranch_execz .LBB128_5
; %bb.4:
	global_load_dword v3, v[8:9], off offset:2048
.LBB128_5:
	s_or_b64 exec, exec, s[0:1]
	v_or_b32_e32 v10, 0x400, v0
	v_cmp_gt_u32_e64 s[6:7], s16, v10
	s_and_saveexec_b64 s[0:1], s[6:7]
	s_cbranch_execz .LBB128_7
; %bb.6:
	v_add_co_u32_e32 v10, vcc, 0x1000, v8
	v_addc_co_u32_e32 v11, vcc, 0, v9, vcc
	global_load_dword v4, v[10:11], off
.LBB128_7:
	s_or_b64 exec, exec, s[0:1]
	v_or_b32_e32 v10, 0x600, v0
	v_cmp_gt_u32_e64 s[4:5], s16, v10
	s_and_saveexec_b64 s[0:1], s[4:5]
	s_cbranch_execz .LBB128_9
; %bb.8:
	v_add_co_u32_e32 v10, vcc, 0x1000, v8
	v_addc_co_u32_e32 v11, vcc, 0, v9, vcc
	global_load_dword v5, v[10:11], off offset:2048
.LBB128_9:
	s_or_b64 exec, exec, s[0:1]
	v_or_b32_e32 v10, 0x800, v0
	v_cmp_gt_u32_e64 s[2:3], s16, v10
	s_and_saveexec_b64 s[0:1], s[2:3]
	s_cbranch_execz .LBB128_11
; %bb.10:
	v_add_co_u32_e32 v10, vcc, 0x2000, v8
	v_addc_co_u32_e32 v11, vcc, 0, v9, vcc
	global_load_dword v6, v[10:11], off
.LBB128_11:
	s_or_b64 exec, exec, s[0:1]
	v_or_b32_e32 v10, 0xa00, v0
	v_cmp_gt_u32_e64 s[0:1], s16, v10
	s_and_saveexec_b64 s[16:17], s[0:1]
	s_cbranch_execz .LBB128_13
; %bb.12:
	v_add_co_u32_e32 v8, vcc, 0x2000, v8
	v_addc_co_u32_e32 v9, vcc, 0, v9, vcc
	global_load_dword v7, v[8:9], off offset:2048
.LBB128_13:
	s_or_b64 exec, exec, s[16:17]
	v_mov_b32_e32 v8, 0
	s_mov_b64 s[16:17], -1
	ds_write2st64_b32 v1, v8, v8 offset1:8
	ds_write2st64_b32 v1, v8, v8 offset0:16 offset1:24
	s_and_saveexec_b64 s[18:19], s[16:17]
	s_cbranch_execz .LBB128_15
; %bb.14:
	ds_write_b32 v1, v8 offset:8192
.LBB128_15:
	s_or_b64 exec, exec, s[18:19]
	s_and_saveexec_b64 s[18:19], s[16:17]
	s_cbranch_execz .LBB128_17
; %bb.16:
	v_mov_b32_e32 v8, 0
	ds_write_b32 v1, v8 offset:10240
.LBB128_17:
	s_or_b64 exec, exec, s[18:19]
	v_cmp_gt_u32_e64 s[16:17], 7, 6
	v_cmp_gt_u32_e64 s[22:23], 7, 5
	s_and_saveexec_b64 s[18:19], s[22:23]
	s_cbranch_execz .LBB128_19
; %bb.18:
	v_mov_b32_e32 v8, 0
	ds_write_b32 v1, v8 offset:12288
.LBB128_19:
	s_or_b64 exec, exec, s[18:19]
	s_and_saveexec_b64 s[18:19], s[16:17]
	s_cbranch_execz .LBB128_21
; %bb.20:
	v_mov_b32_e32 v8, 0
	ds_write_b32 v1, v8 offset:14336
.LBB128_21:
	s_or_b64 exec, exec, s[18:19]
	s_cmp_gt_u32 s21, s20
	s_cselect_b64 s[16:17], -1, 0
	s_cmp_le_u32 s21, s20
	s_waitcnt lgkmcnt(0)
	s_barrier
	s_cbranch_scc1 .LBB128_46
; %bb.22:
	v_bfrev_b32_e32 v8, -2
	s_waitcnt vmcnt(0)
	v_cmp_gt_i32_e32 vcc, 0, v2
	v_cndmask_b32_e64 v10, v8, 0, vcc
	v_xor_b32_e32 v2, v10, v2
	s_brev_b32 s18, 1
	v_and_b32_e32 v9, 3, v0
	v_cmp_ne_u32_e32 vcc, s18, v2
	v_cndmask_b32_e32 v8, v8, v2, vcc
	v_lshlrev_b32_e32 v2, 2, v9
	s_sub_i32 s22, s21, s20
	v_mov_b32_e32 v9, 1
	s_mov_b32 s23, s22
	v_mov_b32_e32 v10, v2
	s_mov_b32 s24, s20
	s_branch .LBB128_24
.LBB128_23:                             ;   in Loop: Header=BB128_24 Depth=1
	s_or_b64 exec, exec, s[18:19]
	s_add_i32 s24, s24, 8
	s_add_i32 s23, s23, -8
	s_cmp_ge_u32 s24, s21
	v_add_u32_e32 v10, 0x1000, v10
	s_cbranch_scc1 .LBB128_26
.LBB128_24:                             ; =>This Inner Loop Header: Depth=1
	s_and_saveexec_b64 s[18:19], s[10:11]
	s_cbranch_execz .LBB128_23
; %bb.25:                               ;   in Loop: Header=BB128_24 Depth=1
	s_min_u32 s25, s23, 8
	v_lshrrev_b32_e32 v11, s24, v8
	v_bfe_u32 v11, v11, 0, s25
	v_lshl_add_u32 v11, v11, 4, v10
	ds_add_u32 v11, v9
	s_branch .LBB128_23
.LBB128_26:
	v_bfrev_b32_e32 v8, -2
	v_cmp_gt_i32_e32 vcc, 0, v3
	v_cndmask_b32_e64 v9, v8, 0, vcc
	v_xor_b32_e32 v3, v9, v3
	s_brev_b32 s10, 1
	v_cmp_ne_u32_e32 vcc, s10, v3
	v_cndmask_b32_e32 v3, v8, v3, vcc
	v_mov_b32_e32 v8, 1
	s_mov_b32 s18, s22
	v_mov_b32_e32 v9, v2
	s_mov_b32 s19, s20
	s_branch .LBB128_28
.LBB128_27:                             ;   in Loop: Header=BB128_28 Depth=1
	s_or_b64 exec, exec, s[10:11]
	s_add_i32 s19, s19, 8
	s_add_i32 s18, s18, -8
	s_cmp_lt_u32 s19, s21
	v_add_u32_e32 v9, 0x1000, v9
	s_cbranch_scc0 .LBB128_30
.LBB128_28:                             ; =>This Inner Loop Header: Depth=1
	s_and_saveexec_b64 s[10:11], s[8:9]
	s_cbranch_execz .LBB128_27
; %bb.29:                               ;   in Loop: Header=BB128_28 Depth=1
	s_min_u32 s23, s18, 8
	v_lshrrev_b32_e32 v10, s19, v3
	v_bfe_u32 v10, v10, 0, s23
	v_lshl_add_u32 v10, v10, 4, v9
	ds_add_u32 v10, v8
	s_branch .LBB128_27
.LBB128_30:
	v_bfrev_b32_e32 v3, -2
	v_cmp_gt_i32_e32 vcc, 0, v4
	v_cndmask_b32_e64 v8, v3, 0, vcc
	v_xor_b32_e32 v4, v8, v4
	s_brev_b32 s8, 1
	v_cmp_ne_u32_e32 vcc, s8, v4
	v_cndmask_b32_e32 v3, v3, v4, vcc
	v_mov_b32_e32 v4, 1
	s_mov_b32 s10, s22
	v_mov_b32_e32 v8, v2
	s_mov_b32 s11, s20
	s_branch .LBB128_32
.LBB128_31:                             ;   in Loop: Header=BB128_32 Depth=1
	s_or_b64 exec, exec, s[8:9]
	s_add_i32 s11, s11, 8
	s_add_i32 s10, s10, -8
	s_cmp_lt_u32 s11, s21
	v_add_u32_e32 v8, 0x1000, v8
	s_cbranch_scc0 .LBB128_34
.LBB128_32:                             ; =>This Inner Loop Header: Depth=1
	s_and_saveexec_b64 s[8:9], s[6:7]
	s_cbranch_execz .LBB128_31
; %bb.33:                               ;   in Loop: Header=BB128_32 Depth=1
	s_min_u32 s18, s10, 8
	v_lshrrev_b32_e32 v9, s11, v3
	v_bfe_u32 v9, v9, 0, s18
	v_lshl_add_u32 v9, v9, 4, v8
	ds_add_u32 v9, v4
	s_branch .LBB128_31
.LBB128_34:
	;; [unrolled: 30-line block ×4, first 2 shown]
	v_bfrev_b32_e32 v3, -2
	v_cmp_gt_i32_e32 vcc, 0, v7
	v_cndmask_b32_e64 v4, v3, 0, vcc
	v_xor_b32_e32 v4, v4, v7
	s_brev_b32 s2, 1
	v_cmp_ne_u32_e32 vcc, s2, v4
	v_cndmask_b32_e32 v3, v3, v4, vcc
	v_mov_b32_e32 v4, 1
	s_mov_b32 s4, s20
	s_branch .LBB128_44
.LBB128_43:                             ;   in Loop: Header=BB128_44 Depth=1
	s_or_b64 exec, exec, s[2:3]
	s_add_i32 s4, s4, 8
	s_add_i32 s22, s22, -8
	s_cmp_lt_u32 s4, s21
	v_add_u32_e32 v2, 0x1000, v2
	s_cbranch_scc0 .LBB128_46
.LBB128_44:                             ; =>This Inner Loop Header: Depth=1
	s_and_saveexec_b64 s[2:3], s[0:1]
	s_cbranch_execz .LBB128_43
; %bb.45:                               ;   in Loop: Header=BB128_44 Depth=1
	s_min_u32 s5, s22, 8
	v_lshrrev_b32_e32 v5, s4, v3
	v_bfe_u32 v5, v5, 0, s5
	v_lshl_add_u32 v5, v5, 4, v2
	ds_add_u32 v5, v4
	s_branch .LBB128_43
.LBB128_46:
	s_and_b64 vcc, exec, s[16:17]
	s_waitcnt lgkmcnt(0)
	s_barrier
	s_cbranch_vccz .LBB128_51
; %bb.47:
	s_movk_i32 s0, 0x100
	v_cmp_gt_u32_e32 vcc, s0, v0
	s_waitcnt vmcnt(0)
	v_lshlrev_b32_e32 v4, 4, v0
	v_mov_b32_e32 v3, 0
	v_mov_b32_e32 v2, v0
	s_mov_b32 s4, s20
	s_branch .LBB128_49
.LBB128_48:                             ;   in Loop: Header=BB128_49 Depth=1
	s_or_b64 exec, exec, s[2:3]
	s_add_i32 s4, s4, 8
	v_add_u32_e32 v2, 0x100, v2
	s_cmp_lt_u32 s4, s21
	v_add_u32_e32 v4, 0x1000, v4
	s_cbranch_scc0 .LBB128_51
.LBB128_49:                             ; =>This Inner Loop Header: Depth=1
	s_and_saveexec_b64 s[2:3], vcc
	s_cbranch_execz .LBB128_48
; %bb.50:                               ;   in Loop: Header=BB128_49 Depth=1
	ds_read2_b32 v[6:7], v4 offset1:1
	ds_read2_b32 v[8:9], v4 offset0:2 offset1:3
	v_lshlrev_b64 v[10:11], 3, v[2:3]
	v_mov_b32_e32 v5, s15
	s_waitcnt lgkmcnt(1)
	v_add_u32_e32 v6, v7, v6
	s_waitcnt lgkmcnt(0)
	v_add3_u32 v6, v6, v8, v9
	v_add_co_u32_e64 v8, s[0:1], s14, v10
	v_addc_co_u32_e64 v9, s[0:1], v5, v11, s[0:1]
	v_mov_b32_e32 v7, v3
	global_atomic_add_x2 v[8:9], v[6:7], off
	s_branch .LBB128_48
.LBB128_51:
	s_mov_b64 s[0:1], 0
.LBB128_52:
	s_and_b64 vcc, exec, s[0:1]
	s_cbranch_vccz .LBB128_92
; %bb.53:
	s_waitcnt vmcnt(0)
	v_mov_b32_e32 v2, s13
	v_add_co_u32_e32 v5, vcc, s12, v1
	v_addc_co_u32_e32 v6, vcc, 0, v2, vcc
	v_add_co_u32_e32 v2, vcc, 0x1000, v5
	v_addc_co_u32_e32 v3, vcc, 0, v6, vcc
	v_add_co_u32_e32 v10, vcc, 0x2000, v5
	global_load_dword v4, v1, s[12:13] offset:2048
	v_addc_co_u32_e32 v11, vcc, 0, v6, vcc
	global_load_dword v8, v[2:3], off
	global_load_dword v6, v[2:3], off offset:2048
	global_load_dword v7, v[10:11], off
	global_load_dword v9, v1, s[12:13]
	global_load_dword v5, v[10:11], off offset:2048
	s_cmp_eq_u32 s20, 0
	s_cselect_b64 s[0:1], -1, 0
	s_cmp_eq_u32 s21, 32
	s_cselect_b64 s[2:3], -1, 0
	s_and_b64 s[0:1], s[0:1], s[2:3]
	s_mov_b64 s[2:3], -1
	s_and_b64 vcc, exec, s[0:1]
	v_cmp_gt_u32_e64 s[0:1], 7, 4
	v_cmp_gt_u32_e64 s[4:5], 7, 3
	s_cbranch_vccnz .LBB128_81
; %bb.54:
	v_mov_b32_e32 v2, 0
	ds_write2st64_b32 v1, v2, v2 offset1:8
	ds_write2st64_b32 v1, v2, v2 offset0:16 offset1:24
	s_and_saveexec_b64 s[2:3], s[4:5]
	s_cbranch_execz .LBB128_56
; %bb.55:
	ds_write_b32 v1, v2 offset:8192
.LBB128_56:
	s_or_b64 exec, exec, s[2:3]
	s_and_saveexec_b64 s[2:3], s[0:1]
	s_cbranch_execz .LBB128_58
; %bb.57:
	v_mov_b32_e32 v2, 0
	ds_write_b32 v1, v2 offset:10240
.LBB128_58:
	s_or_b64 exec, exec, s[2:3]
	v_cmp_gt_u32_e64 s[0:1], 7, 6
	v_cmp_gt_u32_e64 s[4:5], 7, 5
	s_and_saveexec_b64 s[2:3], s[4:5]
	s_cbranch_execz .LBB128_60
; %bb.59:
	v_mov_b32_e32 v2, 0
	ds_write_b32 v1, v2 offset:12288
.LBB128_60:
	s_or_b64 exec, exec, s[2:3]
	s_and_saveexec_b64 s[2:3], s[0:1]
	s_cbranch_execz .LBB128_62
; %bb.61:
	v_mov_b32_e32 v2, 0
	ds_write_b32 v1, v2 offset:14336
.LBB128_62:
	s_or_b64 exec, exec, s[2:3]
	s_cmp_gt_u32 s21, s20
	s_cselect_b64 s[0:1], -1, 0
	s_and_b64 vcc, exec, s[0:1]
	s_waitcnt lgkmcnt(0)
	s_barrier
	s_cbranch_vccz .LBB128_75
; %bb.63:
	v_bfrev_b32_e32 v3, -2
	s_waitcnt vmcnt(1)
	v_cmp_gt_i32_e32 vcc, 0, v9
	v_cndmask_b32_e64 v10, v3, 0, vcc
	v_and_b32_e32 v2, 3, v0
	v_xor_b32_e32 v10, v10, v9
	s_brev_b32 s2, 1
	v_cmp_ne_u32_e32 vcc, s2, v10
	v_lshlrev_b32_e32 v2, 2, v2
	s_sub_i32 s2, s21, s20
	v_cndmask_b32_e32 v3, v3, v10, vcc
	v_mov_b32_e32 v10, 1
	s_mov_b32 s3, s2
	v_mov_b32_e32 v11, v2
	s_mov_b32 s4, s20
.LBB128_64:                             ; =>This Inner Loop Header: Depth=1
	s_min_u32 s5, s3, 8
	v_lshrrev_b32_e32 v12, s4, v3
	v_bfe_u32 v12, v12, 0, s5
	v_lshl_add_u32 v12, v12, 4, v11
	ds_add_u32 v12, v10
	s_add_i32 s4, s4, 8
	s_add_i32 s3, s3, -8
	s_cmp_ge_u32 s4, s21
	v_add_u32_e32 v11, 0x1000, v11
	s_cbranch_scc0 .LBB128_64
; %bb.65:
	v_bfrev_b32_e32 v3, -2
	v_cmp_gt_i32_e32 vcc, 0, v4
	v_cndmask_b32_e64 v10, v3, 0, vcc
	v_xor_b32_e32 v10, v10, v4
	s_brev_b32 s3, 1
	v_cmp_ne_u32_e32 vcc, s3, v10
	v_cndmask_b32_e32 v3, v3, v10, vcc
	v_mov_b32_e32 v10, 1
	s_mov_b32 s3, s2
	v_mov_b32_e32 v11, v2
	s_mov_b32 s4, s20
.LBB128_66:                             ; =>This Inner Loop Header: Depth=1
	s_min_u32 s5, s3, 8
	v_lshrrev_b32_e32 v12, s4, v3
	v_bfe_u32 v12, v12, 0, s5
	v_lshl_add_u32 v12, v12, 4, v11
	ds_add_u32 v12, v10
	s_add_i32 s4, s4, 8
	s_add_i32 s3, s3, -8
	s_cmp_lt_u32 s4, s21
	v_add_u32_e32 v11, 0x1000, v11
	s_cbranch_scc1 .LBB128_66
; %bb.67:
	v_bfrev_b32_e32 v3, -2
	v_cmp_gt_i32_e32 vcc, 0, v8
	v_cndmask_b32_e64 v10, v3, 0, vcc
	v_xor_b32_e32 v10, v10, v8
	s_brev_b32 s3, 1
	v_cmp_ne_u32_e32 vcc, s3, v10
	v_cndmask_b32_e32 v3, v3, v10, vcc
	v_mov_b32_e32 v10, 1
	s_mov_b32 s3, s2
	v_mov_b32_e32 v11, v2
	s_mov_b32 s4, s20
.LBB128_68:                             ; =>This Inner Loop Header: Depth=1
	s_min_u32 s5, s3, 8
	v_lshrrev_b32_e32 v12, s4, v3
	v_bfe_u32 v12, v12, 0, s5
	v_lshl_add_u32 v12, v12, 4, v11
	ds_add_u32 v12, v10
	s_add_i32 s4, s4, 8
	s_add_i32 s3, s3, -8
	s_cmp_lt_u32 s4, s21
	v_add_u32_e32 v11, 0x1000, v11
	s_cbranch_scc1 .LBB128_68
	;; [unrolled: 23-line block ×4, first 2 shown]
; %bb.73:
	v_bfrev_b32_e32 v3, -2
	s_waitcnt vmcnt(0)
	v_cmp_gt_i32_e32 vcc, 0, v5
	v_cndmask_b32_e64 v10, v3, 0, vcc
	v_xor_b32_e32 v10, v10, v5
	s_brev_b32 s3, 1
	v_cmp_ne_u32_e32 vcc, s3, v10
	v_cndmask_b32_e32 v3, v3, v10, vcc
	v_mov_b32_e32 v10, 1
	s_mov_b32 s3, s20
.LBB128_74:                             ; =>This Inner Loop Header: Depth=1
	s_min_u32 s4, s2, 8
	v_lshrrev_b32_e32 v11, s3, v3
	v_bfe_u32 v11, v11, 0, s4
	v_lshl_add_u32 v11, v11, 4, v2
	ds_add_u32 v11, v10
	s_add_i32 s3, s3, 8
	s_add_i32 s2, s2, -8
	s_cmp_lt_u32 s3, s21
	v_add_u32_e32 v2, 0x1000, v2
	s_cbranch_scc1 .LBB128_74
.LBB128_75:
	s_and_b64 vcc, exec, s[0:1]
	s_waitcnt lgkmcnt(0)
	s_barrier
	s_cbranch_vccz .LBB128_80
; %bb.76:
	s_movk_i32 s0, 0x100
	v_cmp_gt_u32_e32 vcc, s0, v0
	v_lshlrev_b32_e32 v10, 4, v0
	v_mov_b32_e32 v3, 0
	v_mov_b32_e32 v2, v0
	s_branch .LBB128_78
.LBB128_77:                             ;   in Loop: Header=BB128_78 Depth=1
	s_or_b64 exec, exec, s[2:3]
	s_add_i32 s20, s20, 8
	v_add_u32_e32 v2, 0x100, v2
	s_cmp_ge_u32 s20, s21
	v_add_u32_e32 v10, 0x1000, v10
	s_cbranch_scc1 .LBB128_80
.LBB128_78:                             ; =>This Inner Loop Header: Depth=1
	s_and_saveexec_b64 s[2:3], vcc
	s_cbranch_execz .LBB128_77
; %bb.79:                               ;   in Loop: Header=BB128_78 Depth=1
	ds_read2_b32 v[12:13], v10 offset1:1
	ds_read2_b32 v[14:15], v10 offset0:2 offset1:3
	v_lshlrev_b64 v[16:17], 3, v[2:3]
	v_mov_b32_e32 v11, s15
	s_waitcnt lgkmcnt(1)
	v_add_u32_e32 v12, v13, v12
	s_waitcnt lgkmcnt(0)
	v_add3_u32 v12, v12, v14, v15
	v_add_co_u32_e64 v14, s[0:1], s14, v16
	v_addc_co_u32_e64 v15, s[0:1], v11, v17, s[0:1]
	v_mov_b32_e32 v13, v3
	global_atomic_add_x2 v[14:15], v[12:13], off
	s_branch .LBB128_77
.LBB128_80:
	s_mov_b64 s[2:3], 0
.LBB128_81:
	s_and_b64 vcc, exec, s[2:3]
	s_cbranch_vccz .LBB128_92
; %bb.82:
	v_mov_b32_e32 v2, 0
	v_cmp_gt_u32_e64 s[0:1], 7, 4
	v_cmp_gt_u32_e64 s[4:5], 7, 3
	ds_write2st64_b32 v1, v2, v2 offset1:8
	ds_write2st64_b32 v1, v2, v2 offset0:16 offset1:24
	s_and_saveexec_b64 s[2:3], s[4:5]
	s_cbranch_execz .LBB128_84
; %bb.83:
	ds_write_b32 v1, v2 offset:8192
.LBB128_84:
	s_or_b64 exec, exec, s[2:3]
	s_and_saveexec_b64 s[2:3], s[0:1]
	s_cbranch_execz .LBB128_86
; %bb.85:
	v_mov_b32_e32 v2, 0
	ds_write_b32 v1, v2 offset:10240
.LBB128_86:
	s_or_b64 exec, exec, s[2:3]
	v_cmp_gt_u32_e64 s[0:1], 7, 6
	v_cmp_gt_u32_e64 s[4:5], 7, 5
	s_and_saveexec_b64 s[2:3], s[4:5]
	s_cbranch_execz .LBB128_88
; %bb.87:
	v_mov_b32_e32 v2, 0
	ds_write_b32 v1, v2 offset:12288
.LBB128_88:
	s_or_b64 exec, exec, s[2:3]
	s_and_saveexec_b64 s[2:3], s[0:1]
	s_cbranch_execz .LBB128_90
; %bb.89:
	v_mov_b32_e32 v2, 0
	ds_write_b32 v1, v2 offset:14336
.LBB128_90:
	s_or_b64 exec, exec, s[2:3]
	v_bfrev_b32_e32 v1, -2
	s_waitcnt vmcnt(1)
	v_cmp_gt_i32_e32 vcc, 0, v9
	v_cndmask_b32_e64 v2, v1, 0, vcc
	v_cmp_gt_i32_e32 vcc, 0, v4
	v_cndmask_b32_e64 v3, v1, 0, vcc
	v_cmp_gt_i32_e32 vcc, 0, v8
	v_xor_b32_e32 v3, v3, v4
	v_cndmask_b32_e64 v4, v1, 0, vcc
	v_cmp_gt_i32_e32 vcc, 0, v6
	v_xor_b32_e32 v4, v4, v8
	;; [unrolled: 3-line block ×3, first 2 shown]
	v_xor_b32_e32 v6, v8, v6
	v_cndmask_b32_e64 v8, v1, 0, vcc
	s_waitcnt vmcnt(0)
	v_cmp_gt_i32_e32 vcc, 0, v5
	s_brev_b32 s0, 1
	v_xor_b32_e32 v7, v8, v7
	v_cndmask_b32_e64 v8, v1, 0, vcc
	v_cmp_ne_u32_e32 vcc, s0, v2
	v_cndmask_b32_e32 v2, v1, v2, vcc
	v_xor_b32_e32 v5, v8, v5
	v_and_b32_e32 v8, 3, v0
	v_lshlrev_b32_e32 v9, 2, v2
	s_movk_i32 s1, 0x3fc
	v_and_or_b32 v9, v9, s1, v8
	v_lshlrev_b32_e32 v9, 2, v9
	v_mov_b32_e32 v10, 1
	s_waitcnt lgkmcnt(0)
	s_barrier
	ds_add_u32 v9, v10
	v_bfe_u32 v9, v2, 8, 8
	v_lshl_or_b32 v9, v9, 2, v8
	v_lshlrev_b32_e32 v9, 2, v9
	ds_add_u32 v9, v10 offset:4096
	v_bfe_u32 v9, v2, 16, 8
	v_lshl_or_b32 v9, v9, 2, v8
	v_lshrrev_b32_e32 v2, 24, v2
	v_lshlrev_b32_e32 v9, 2, v9
	v_lshl_or_b32 v2, v2, 2, v8
	ds_add_u32 v9, v10 offset:8192
	v_lshlrev_b32_e32 v2, 2, v2
	v_cmp_ne_u32_e32 vcc, s0, v3
	ds_add_u32 v2, v10 offset:12288
	v_cndmask_b32_e32 v2, v1, v3, vcc
	v_lshlrev_b32_e32 v3, 2, v2
	v_and_or_b32 v3, v3, s1, v8
	v_lshlrev_b32_e32 v3, 2, v3
	ds_add_u32 v3, v10
	v_bfe_u32 v3, v2, 8, 8
	v_lshl_or_b32 v3, v3, 2, v8
	v_lshlrev_b32_e32 v3, 2, v3
	ds_add_u32 v3, v10 offset:4096
	v_bfe_u32 v3, v2, 16, 8
	v_lshl_or_b32 v3, v3, 2, v8
	v_lshrrev_b32_e32 v2, 24, v2
	v_lshlrev_b32_e32 v3, 2, v3
	v_lshl_or_b32 v2, v2, 2, v8
	ds_add_u32 v3, v10 offset:8192
	v_lshlrev_b32_e32 v2, 2, v2
	v_cmp_ne_u32_e32 vcc, s0, v4
	ds_add_u32 v2, v10 offset:12288
	v_cndmask_b32_e32 v2, v1, v4, vcc
	v_lshlrev_b32_e32 v3, 2, v2
	v_and_or_b32 v3, v3, s1, v8
	v_lshlrev_b32_e32 v3, 2, v3
	;; [unrolled: 18-line block ×4, first 2 shown]
	ds_add_u32 v3, v10
	v_bfe_u32 v3, v2, 8, 8
	v_lshl_or_b32 v3, v3, 2, v8
	v_lshlrev_b32_e32 v3, 2, v3
	ds_add_u32 v3, v10 offset:4096
	v_bfe_u32 v3, v2, 16, 8
	v_lshl_or_b32 v3, v3, 2, v8
	v_lshrrev_b32_e32 v2, 24, v2
	v_lshlrev_b32_e32 v3, 2, v3
	v_lshl_or_b32 v2, v2, 2, v8
	v_cmp_ne_u32_e32 vcc, s0, v5
	ds_add_u32 v3, v10 offset:8192
	v_lshlrev_b32_e32 v2, 2, v2
	v_cndmask_b32_e32 v1, v1, v5, vcc
	ds_add_u32 v2, v10 offset:12288
	v_lshlrev_b32_e32 v2, 2, v1
	v_and_or_b32 v2, v2, s1, v8
	v_lshlrev_b32_e32 v2, 2, v2
	ds_add_u32 v2, v10
	v_bfe_u32 v2, v1, 8, 8
	v_lshl_or_b32 v2, v2, 2, v8
	v_lshlrev_b32_e32 v2, 2, v2
	ds_add_u32 v2, v10 offset:4096
	v_bfe_u32 v2, v1, 16, 8
	v_lshl_or_b32 v2, v2, 2, v8
	v_lshrrev_b32_e32 v1, 24, v1
	v_lshlrev_b32_e32 v2, 2, v2
	v_lshl_or_b32 v1, v1, 2, v8
	ds_add_u32 v2, v10 offset:8192
	v_lshlrev_b32_e32 v1, 2, v1
	ds_add_u32 v1, v10 offset:12288
	s_movk_i32 s0, 0x100
	v_cmp_gt_u32_e32 vcc, s0, v0
	s_waitcnt lgkmcnt(0)
	s_barrier
	s_and_saveexec_b64 s[0:1], vcc
	s_cbranch_execz .LBB128_92
; %bb.91:
	v_lshlrev_b32_e32 v6, 4, v0
	ds_read2_b32 v[2:3], v6 offset1:1
	ds_read2_b32 v[4:5], v6 offset0:2 offset1:3
	v_lshlrev_b32_e32 v7, 3, v0
	v_mov_b32_e32 v1, 0
	v_add_u32_e32 v8, 0x1000, v6
	s_waitcnt lgkmcnt(1)
	v_add_u32_e32 v0, v3, v2
	s_waitcnt lgkmcnt(0)
	v_add3_u32 v0, v0, v4, v5
	global_atomic_add_x2 v7, v[0:1], s[14:15]
	v_add_u32_e32 v0, 0x1008, v6
	ds_read2_b32 v[2:3], v8 offset1:1
	ds_read2_b32 v[4:5], v0 offset1:1
	v_or_b32_e32 v8, 0x2000, v6
	v_or_b32_e32 v9, 0x2008, v6
	s_waitcnt lgkmcnt(1)
	v_add_u32_e32 v0, v3, v2
	s_waitcnt lgkmcnt(0)
	v_add3_u32 v0, v0, v4, v5
	global_atomic_add_x2 v7, v[0:1], s[14:15] offset:2048
	ds_read2_b32 v[2:3], v8 offset1:1
	ds_read2_b32 v[4:5], v9 offset1:1
	v_or_b32_e32 v8, 0x1000, v7
	v_add_u32_e32 v9, 0x3000, v6
	v_add_u32_e32 v6, 0x3008, v6
	s_waitcnt lgkmcnt(1)
	v_add_u32_e32 v0, v3, v2
	s_waitcnt lgkmcnt(0)
	v_add3_u32 v0, v0, v4, v5
	global_atomic_add_x2 v8, v[0:1], s[14:15]
	ds_read2_b32 v[2:3], v9 offset1:1
	ds_read2_b32 v[4:5], v6 offset1:1
	s_waitcnt lgkmcnt(1)
	v_add_u32_e32 v0, v3, v2
	s_waitcnt lgkmcnt(0)
	v_add3_u32 v0, v0, v4, v5
	v_or_b32_e32 v2, 0x1800, v7
	global_atomic_add_x2 v2, v[0:1], s[14:15]
.LBB128_92:
	s_endpgm
	.section	.rodata,"a",@progbits
	.p2align	6, 0x0
	.amdhsa_kernel _ZN7rocprim17ROCPRIM_304000_NS6detail26onesweep_histograms_kernelINS1_34wrapped_radix_sort_onesweep_configINS0_14default_configEfN2at4cuda3cub6detail10OpaqueTypeILi8EEEEELb1EPKfmNS0_19identity_decomposerEEEvT1_PT2_SG_SG_T3_jj
		.amdhsa_group_segment_fixed_size 16384
		.amdhsa_private_segment_fixed_size 0
		.amdhsa_kernarg_size 44
		.amdhsa_user_sgpr_count 6
		.amdhsa_user_sgpr_private_segment_buffer 1
		.amdhsa_user_sgpr_dispatch_ptr 0
		.amdhsa_user_sgpr_queue_ptr 0
		.amdhsa_user_sgpr_kernarg_segment_ptr 1
		.amdhsa_user_sgpr_dispatch_id 0
		.amdhsa_user_sgpr_flat_scratch_init 0
		.amdhsa_user_sgpr_kernarg_preload_length 0
		.amdhsa_user_sgpr_kernarg_preload_offset 0
		.amdhsa_user_sgpr_private_segment_size 0
		.amdhsa_uses_dynamic_stack 0
		.amdhsa_system_sgpr_private_segment_wavefront_offset 0
		.amdhsa_system_sgpr_workgroup_id_x 1
		.amdhsa_system_sgpr_workgroup_id_y 0
		.amdhsa_system_sgpr_workgroup_id_z 0
		.amdhsa_system_sgpr_workgroup_info 0
		.amdhsa_system_vgpr_workitem_id 0
		.amdhsa_next_free_vgpr 18
		.amdhsa_next_free_sgpr 26
		.amdhsa_accum_offset 20
		.amdhsa_reserve_vcc 1
		.amdhsa_reserve_flat_scratch 0
		.amdhsa_float_round_mode_32 0
		.amdhsa_float_round_mode_16_64 0
		.amdhsa_float_denorm_mode_32 3
		.amdhsa_float_denorm_mode_16_64 3
		.amdhsa_dx10_clamp 1
		.amdhsa_ieee_mode 1
		.amdhsa_fp16_overflow 0
		.amdhsa_tg_split 0
		.amdhsa_exception_fp_ieee_invalid_op 0
		.amdhsa_exception_fp_denorm_src 0
		.amdhsa_exception_fp_ieee_div_zero 0
		.amdhsa_exception_fp_ieee_overflow 0
		.amdhsa_exception_fp_ieee_underflow 0
		.amdhsa_exception_fp_ieee_inexact 0
		.amdhsa_exception_int_div_zero 0
	.end_amdhsa_kernel
	.section	.text._ZN7rocprim17ROCPRIM_304000_NS6detail26onesweep_histograms_kernelINS1_34wrapped_radix_sort_onesweep_configINS0_14default_configEfN2at4cuda3cub6detail10OpaqueTypeILi8EEEEELb1EPKfmNS0_19identity_decomposerEEEvT1_PT2_SG_SG_T3_jj,"axG",@progbits,_ZN7rocprim17ROCPRIM_304000_NS6detail26onesweep_histograms_kernelINS1_34wrapped_radix_sort_onesweep_configINS0_14default_configEfN2at4cuda3cub6detail10OpaqueTypeILi8EEEEELb1EPKfmNS0_19identity_decomposerEEEvT1_PT2_SG_SG_T3_jj,comdat
.Lfunc_end128:
	.size	_ZN7rocprim17ROCPRIM_304000_NS6detail26onesweep_histograms_kernelINS1_34wrapped_radix_sort_onesweep_configINS0_14default_configEfN2at4cuda3cub6detail10OpaqueTypeILi8EEEEELb1EPKfmNS0_19identity_decomposerEEEvT1_PT2_SG_SG_T3_jj, .Lfunc_end128-_ZN7rocprim17ROCPRIM_304000_NS6detail26onesweep_histograms_kernelINS1_34wrapped_radix_sort_onesweep_configINS0_14default_configEfN2at4cuda3cub6detail10OpaqueTypeILi8EEEEELb1EPKfmNS0_19identity_decomposerEEEvT1_PT2_SG_SG_T3_jj
                                        ; -- End function
	.section	.AMDGPU.csdata,"",@progbits
; Kernel info:
; codeLenInByte = 3764
; NumSgprs: 30
; NumVgprs: 18
; NumAgprs: 0
; TotalNumVgprs: 18
; ScratchSize: 0
; MemoryBound: 0
; FloatMode: 240
; IeeeMode: 1
; LDSByteSize: 16384 bytes/workgroup (compile time only)
; SGPRBlocks: 3
; VGPRBlocks: 2
; NumSGPRsForWavesPerEU: 30
; NumVGPRsForWavesPerEU: 18
; AccumOffset: 20
; Occupancy: 8
; WaveLimiterHint : 1
; COMPUTE_PGM_RSRC2:SCRATCH_EN: 0
; COMPUTE_PGM_RSRC2:USER_SGPR: 6
; COMPUTE_PGM_RSRC2:TRAP_HANDLER: 0
; COMPUTE_PGM_RSRC2:TGID_X_EN: 1
; COMPUTE_PGM_RSRC2:TGID_Y_EN: 0
; COMPUTE_PGM_RSRC2:TGID_Z_EN: 0
; COMPUTE_PGM_RSRC2:TIDIG_COMP_CNT: 0
; COMPUTE_PGM_RSRC3_GFX90A:ACCUM_OFFSET: 4
; COMPUTE_PGM_RSRC3_GFX90A:TG_SPLIT: 0
	.section	.text._ZN7rocprim17ROCPRIM_304000_NS6detail31onesweep_scan_histograms_kernelINS1_34wrapped_radix_sort_onesweep_configINS0_14default_configEfN2at4cuda3cub6detail10OpaqueTypeILi8EEEEEmEEvPT0_,"axG",@progbits,_ZN7rocprim17ROCPRIM_304000_NS6detail31onesweep_scan_histograms_kernelINS1_34wrapped_radix_sort_onesweep_configINS0_14default_configEfN2at4cuda3cub6detail10OpaqueTypeILi8EEEEEmEEvPT0_,comdat
	.protected	_ZN7rocprim17ROCPRIM_304000_NS6detail31onesweep_scan_histograms_kernelINS1_34wrapped_radix_sort_onesweep_configINS0_14default_configEfN2at4cuda3cub6detail10OpaqueTypeILi8EEEEEmEEvPT0_ ; -- Begin function _ZN7rocprim17ROCPRIM_304000_NS6detail31onesweep_scan_histograms_kernelINS1_34wrapped_radix_sort_onesweep_configINS0_14default_configEfN2at4cuda3cub6detail10OpaqueTypeILi8EEEEEmEEvPT0_
	.globl	_ZN7rocprim17ROCPRIM_304000_NS6detail31onesweep_scan_histograms_kernelINS1_34wrapped_radix_sort_onesweep_configINS0_14default_configEfN2at4cuda3cub6detail10OpaqueTypeILi8EEEEEmEEvPT0_
	.p2align	8
	.type	_ZN7rocprim17ROCPRIM_304000_NS6detail31onesweep_scan_histograms_kernelINS1_34wrapped_radix_sort_onesweep_configINS0_14default_configEfN2at4cuda3cub6detail10OpaqueTypeILi8EEEEEmEEvPT0_,@function
_ZN7rocprim17ROCPRIM_304000_NS6detail31onesweep_scan_histograms_kernelINS1_34wrapped_radix_sort_onesweep_configINS0_14default_configEfN2at4cuda3cub6detail10OpaqueTypeILi8EEEEEmEEvPT0_: ; @_ZN7rocprim17ROCPRIM_304000_NS6detail31onesweep_scan_histograms_kernelINS1_34wrapped_radix_sort_onesweep_configINS0_14default_configEfN2at4cuda3cub6detail10OpaqueTypeILi8EEEEEmEEvPT0_
; %bb.0:
	s_load_dwordx2 s[0:1], s[4:5], 0x0
	s_lshl_b32 s2, s6, 8
	s_mov_b32 s3, 0
	s_lshl_b64 s[2:3], s[2:3], 3
	v_lshlrev_b32_e32 v5, 3, v0
	s_waitcnt lgkmcnt(0)
	s_add_u32 s6, s0, s2
	s_movk_i32 s0, 0x100
	s_addc_u32 s7, s1, s3
	v_cmp_gt_u32_e32 vcc, s0, v0
                                        ; implicit-def: $vgpr2_vgpr3
	s_and_saveexec_b64 s[0:1], vcc
	s_cbranch_execz .LBB129_2
; %bb.1:
	global_load_dwordx2 v[2:3], v5, s[6:7]
.LBB129_2:
	s_or_b64 exec, exec, s[0:1]
	s_waitcnt vmcnt(0)
	v_mov_b32_dpp v4, v2 row_shr:1 row_mask:0xf bank_mask:0xf
	v_add_co_u32_e64 v4, s[0:1], v2, v4
	v_mbcnt_lo_u32_b32 v1, -1, 0
	v_addc_co_u32_e64 v8, s[0:1], 0, v3, s[0:1]
	v_mbcnt_hi_u32_b32 v6, -1, v1
	v_mov_b32_dpp v7, v3 row_shr:1 row_mask:0xf bank_mask:0xf
	v_add_co_u32_e64 v9, s[0:1], 0, v4
	v_and_b32_e32 v1, 15, v6
	v_addc_co_u32_e64 v7, s[0:1], v7, v8, s[0:1]
	v_cmp_eq_u32_e64 s[0:1], 0, v1
	v_cndmask_b32_e64 v4, v4, v2, s[0:1]
	v_cndmask_b32_e64 v7, v7, v3, s[0:1]
	v_cndmask_b32_e64 v8, v9, v2, s[0:1]
	v_mov_b32_dpp v9, v4 row_shr:2 row_mask:0xf bank_mask:0xf
	v_mov_b32_dpp v10, v7 row_shr:2 row_mask:0xf bank_mask:0xf
	v_add_co_u32_e64 v9, s[0:1], v9, v8
	v_addc_co_u32_e64 v10, s[0:1], v10, v7, s[0:1]
	v_cmp_lt_u32_e64 s[0:1], 1, v1
	v_cndmask_b32_e64 v4, v4, v9, s[0:1]
	v_cndmask_b32_e64 v7, v7, v10, s[0:1]
	v_cndmask_b32_e64 v8, v8, v9, s[0:1]
	v_mov_b32_dpp v9, v4 row_shr:4 row_mask:0xf bank_mask:0xf
	v_mov_b32_dpp v10, v7 row_shr:4 row_mask:0xf bank_mask:0xf
	v_add_co_u32_e64 v9, s[0:1], v9, v8
	v_addc_co_u32_e64 v10, s[0:1], v10, v7, s[0:1]
	v_cmp_lt_u32_e64 s[0:1], 3, v1
	;; [unrolled: 8-line block ×3, first 2 shown]
	v_cndmask_b32_e64 v11, v4, v9, s[0:1]
	v_cndmask_b32_e64 v1, v7, v10, s[0:1]
	;; [unrolled: 1-line block ×3, first 2 shown]
	v_mov_b32_dpp v7, v11 row_bcast:15 row_mask:0xf bank_mask:0xf
	v_mov_b32_dpp v8, v1 row_bcast:15 row_mask:0xf bank_mask:0xf
	v_and_b32_e32 v10, 16, v6
	v_add_co_u32_e64 v7, s[0:1], v7, v4
	v_addc_co_u32_e64 v9, s[0:1], v8, v1, s[0:1]
	v_cmp_eq_u32_e64 s[2:3], 0, v10
	v_cndmask_b32_e64 v10, v9, v1, s[2:3]
	v_cndmask_b32_e64 v8, v7, v11, s[2:3]
	v_cmp_eq_u32_e64 s[0:1], 0, v6
	v_mov_b32_dpp v10, v10 row_bcast:31 row_mask:0xf bank_mask:0xf
	v_mov_b32_dpp v8, v8 row_bcast:31 row_mask:0xf bank_mask:0xf
	v_cmp_ne_u32_e64 s[4:5], 0, v6
	s_and_saveexec_b64 s[8:9], s[4:5]
; %bb.3:
	v_cndmask_b32_e64 v1, v9, v1, s[2:3]
	v_cndmask_b32_e64 v2, v7, v4, s[2:3]
	v_cmp_lt_u32_e64 s[2:3], 31, v6
	v_cndmask_b32_e64 v4, 0, v8, s[2:3]
	v_cndmask_b32_e64 v3, 0, v10, s[2:3]
	v_add_co_u32_e64 v2, s[2:3], v4, v2
	v_addc_co_u32_e64 v3, s[2:3], v3, v1, s[2:3]
; %bb.4:
	s_or_b64 exec, exec, s[8:9]
	v_or_b32_e32 v1, 63, v0
	v_lshrrev_b32_e32 v4, 6, v0
	v_cmp_eq_u32_e64 s[2:3], v1, v0
	s_and_saveexec_b64 s[4:5], s[2:3]
	s_cbranch_execz .LBB129_6
; %bb.5:
	v_lshlrev_b32_e32 v1, 3, v4
	ds_write_b64 v1, v[2:3]
.LBB129_6:
	s_or_b64 exec, exec, s[4:5]
	v_cmp_gt_u32_e64 s[2:3], 8, v0
	s_waitcnt lgkmcnt(0)
	s_barrier
	s_and_saveexec_b64 s[4:5], s[2:3]
	s_cbranch_execz .LBB129_8
; %bb.7:
	ds_read_b64 v[8:9], v5
	v_and_b32_e32 v1, 7, v6
	s_waitcnt lgkmcnt(0)
	v_mov_b32_dpp v7, v8 row_shr:1 row_mask:0xf bank_mask:0xf
	v_add_co_u32_e64 v7, s[2:3], v8, v7
	v_addc_co_u32_e64 v11, s[2:3], 0, v9, s[2:3]
	v_mov_b32_dpp v10, v9 row_shr:1 row_mask:0xf bank_mask:0xf
	v_add_co_u32_e64 v12, s[2:3], 0, v7
	v_addc_co_u32_e64 v10, s[2:3], v10, v11, s[2:3]
	v_cmp_eq_u32_e64 s[2:3], 0, v1
	v_cndmask_b32_e64 v7, v7, v8, s[2:3]
	v_cndmask_b32_e64 v9, v10, v9, s[2:3]
	;; [unrolled: 1-line block ×3, first 2 shown]
	v_mov_b32_dpp v8, v7 row_shr:2 row_mask:0xf bank_mask:0xf
	v_add_co_u32_e64 v8, s[2:3], v10, v8
	v_addc_co_u32_e64 v12, s[2:3], 0, v9, s[2:3]
	v_mov_b32_dpp v11, v9 row_shr:2 row_mask:0xf bank_mask:0xf
	v_add_co_u32_e64 v13, s[2:3], 0, v8
	v_addc_co_u32_e64 v11, s[2:3], v12, v11, s[2:3]
	v_cmp_lt_u32_e64 s[2:3], 1, v1
	v_cndmask_b32_e64 v7, v7, v8, s[2:3]
	v_cndmask_b32_e64 v9, v9, v11, s[2:3]
	;; [unrolled: 1-line block ×3, first 2 shown]
	v_mov_b32_dpp v7, v7 row_shr:4 row_mask:0xf bank_mask:0xf
	v_cmp_lt_u32_e64 s[2:3], 3, v1
	v_mov_b32_dpp v8, v9 row_shr:4 row_mask:0xf bank_mask:0xf
	v_cndmask_b32_e64 v1, 0, v7, s[2:3]
	v_cndmask_b32_e64 v7, 0, v8, s[2:3]
	v_add_co_u32_e64 v8, s[2:3], v1, v10
	v_addc_co_u32_e64 v9, s[2:3], v7, v9, s[2:3]
	ds_write_b64 v5, v[8:9]
.LBB129_8:
	s_or_b64 exec, exec, s[4:5]
	v_cmp_lt_u32_e64 s[2:3], 63, v0
	v_pk_mov_b32 v[0:1], 0, 0
	s_waitcnt lgkmcnt(0)
	s_barrier
	s_and_saveexec_b64 s[4:5], s[2:3]
	s_cbranch_execz .LBB129_10
; %bb.9:
	v_lshl_add_u32 v0, v4, 3, -8
	ds_read_b64 v[0:1], v0
.LBB129_10:
	s_or_b64 exec, exec, s[4:5]
	s_waitcnt lgkmcnt(0)
	v_add_co_u32_e64 v2, s[2:3], v0, v2
	v_addc_co_u32_e64 v3, s[2:3], v1, v3, s[2:3]
	v_add_u32_e32 v4, -1, v6
	v_and_b32_e32 v7, 64, v6
	v_cmp_lt_i32_e64 s[2:3], v4, v7
	v_cndmask_b32_e64 v4, v4, v6, s[2:3]
	v_lshlrev_b32_e32 v4, 2, v4
	ds_bpermute_b32 v2, v4, v2
	ds_bpermute_b32 v3, v4, v3
	s_and_saveexec_b64 s[2:3], vcc
	s_cbranch_execz .LBB129_12
; %bb.11:
	s_waitcnt lgkmcnt(0)
	v_cndmask_b32_e64 v1, v3, v1, s[0:1]
	v_cndmask_b32_e64 v0, v2, v0, s[0:1]
	global_store_dwordx2 v5, v[0:1], s[6:7]
.LBB129_12:
	s_endpgm
	.section	.rodata,"a",@progbits
	.p2align	6, 0x0
	.amdhsa_kernel _ZN7rocprim17ROCPRIM_304000_NS6detail31onesweep_scan_histograms_kernelINS1_34wrapped_radix_sort_onesweep_configINS0_14default_configEfN2at4cuda3cub6detail10OpaqueTypeILi8EEEEEmEEvPT0_
		.amdhsa_group_segment_fixed_size 64
		.amdhsa_private_segment_fixed_size 0
		.amdhsa_kernarg_size 8
		.amdhsa_user_sgpr_count 6
		.amdhsa_user_sgpr_private_segment_buffer 1
		.amdhsa_user_sgpr_dispatch_ptr 0
		.amdhsa_user_sgpr_queue_ptr 0
		.amdhsa_user_sgpr_kernarg_segment_ptr 1
		.amdhsa_user_sgpr_dispatch_id 0
		.amdhsa_user_sgpr_flat_scratch_init 0
		.amdhsa_user_sgpr_kernarg_preload_length 0
		.amdhsa_user_sgpr_kernarg_preload_offset 0
		.amdhsa_user_sgpr_private_segment_size 0
		.amdhsa_uses_dynamic_stack 0
		.amdhsa_system_sgpr_private_segment_wavefront_offset 0
		.amdhsa_system_sgpr_workgroup_id_x 1
		.amdhsa_system_sgpr_workgroup_id_y 0
		.amdhsa_system_sgpr_workgroup_id_z 0
		.amdhsa_system_sgpr_workgroup_info 0
		.amdhsa_system_vgpr_workitem_id 0
		.amdhsa_next_free_vgpr 14
		.amdhsa_next_free_sgpr 10
		.amdhsa_accum_offset 16
		.amdhsa_reserve_vcc 1
		.amdhsa_reserve_flat_scratch 0
		.amdhsa_float_round_mode_32 0
		.amdhsa_float_round_mode_16_64 0
		.amdhsa_float_denorm_mode_32 3
		.amdhsa_float_denorm_mode_16_64 3
		.amdhsa_dx10_clamp 1
		.amdhsa_ieee_mode 1
		.amdhsa_fp16_overflow 0
		.amdhsa_tg_split 0
		.amdhsa_exception_fp_ieee_invalid_op 0
		.amdhsa_exception_fp_denorm_src 0
		.amdhsa_exception_fp_ieee_div_zero 0
		.amdhsa_exception_fp_ieee_overflow 0
		.amdhsa_exception_fp_ieee_underflow 0
		.amdhsa_exception_fp_ieee_inexact 0
		.amdhsa_exception_int_div_zero 0
	.end_amdhsa_kernel
	.section	.text._ZN7rocprim17ROCPRIM_304000_NS6detail31onesweep_scan_histograms_kernelINS1_34wrapped_radix_sort_onesweep_configINS0_14default_configEfN2at4cuda3cub6detail10OpaqueTypeILi8EEEEEmEEvPT0_,"axG",@progbits,_ZN7rocprim17ROCPRIM_304000_NS6detail31onesweep_scan_histograms_kernelINS1_34wrapped_radix_sort_onesweep_configINS0_14default_configEfN2at4cuda3cub6detail10OpaqueTypeILi8EEEEEmEEvPT0_,comdat
.Lfunc_end129:
	.size	_ZN7rocprim17ROCPRIM_304000_NS6detail31onesweep_scan_histograms_kernelINS1_34wrapped_radix_sort_onesweep_configINS0_14default_configEfN2at4cuda3cub6detail10OpaqueTypeILi8EEEEEmEEvPT0_, .Lfunc_end129-_ZN7rocprim17ROCPRIM_304000_NS6detail31onesweep_scan_histograms_kernelINS1_34wrapped_radix_sort_onesweep_configINS0_14default_configEfN2at4cuda3cub6detail10OpaqueTypeILi8EEEEEmEEvPT0_
                                        ; -- End function
	.section	.AMDGPU.csdata,"",@progbits
; Kernel info:
; codeLenInByte = 980
; NumSgprs: 14
; NumVgprs: 14
; NumAgprs: 0
; TotalNumVgprs: 14
; ScratchSize: 0
; MemoryBound: 0
; FloatMode: 240
; IeeeMode: 1
; LDSByteSize: 64 bytes/workgroup (compile time only)
; SGPRBlocks: 1
; VGPRBlocks: 1
; NumSGPRsForWavesPerEU: 14
; NumVGPRsForWavesPerEU: 14
; AccumOffset: 16
; Occupancy: 8
; WaveLimiterHint : 0
; COMPUTE_PGM_RSRC2:SCRATCH_EN: 0
; COMPUTE_PGM_RSRC2:USER_SGPR: 6
; COMPUTE_PGM_RSRC2:TRAP_HANDLER: 0
; COMPUTE_PGM_RSRC2:TGID_X_EN: 1
; COMPUTE_PGM_RSRC2:TGID_Y_EN: 0
; COMPUTE_PGM_RSRC2:TGID_Z_EN: 0
; COMPUTE_PGM_RSRC2:TIDIG_COMP_CNT: 0
; COMPUTE_PGM_RSRC3_GFX90A:ACCUM_OFFSET: 3
; COMPUTE_PGM_RSRC3_GFX90A:TG_SPLIT: 0
	.section	.text._ZN7rocprim17ROCPRIM_304000_NS6detail16transform_kernelINS1_24wrapped_transform_configINS0_14default_configEfEEfPKfPfNS0_8identityIfEEEEvT1_mT2_T3_,"axG",@progbits,_ZN7rocprim17ROCPRIM_304000_NS6detail16transform_kernelINS1_24wrapped_transform_configINS0_14default_configEfEEfPKfPfNS0_8identityIfEEEEvT1_mT2_T3_,comdat
	.protected	_ZN7rocprim17ROCPRIM_304000_NS6detail16transform_kernelINS1_24wrapped_transform_configINS0_14default_configEfEEfPKfPfNS0_8identityIfEEEEvT1_mT2_T3_ ; -- Begin function _ZN7rocprim17ROCPRIM_304000_NS6detail16transform_kernelINS1_24wrapped_transform_configINS0_14default_configEfEEfPKfPfNS0_8identityIfEEEEvT1_mT2_T3_
	.globl	_ZN7rocprim17ROCPRIM_304000_NS6detail16transform_kernelINS1_24wrapped_transform_configINS0_14default_configEfEEfPKfPfNS0_8identityIfEEEEvT1_mT2_T3_
	.p2align	8
	.type	_ZN7rocprim17ROCPRIM_304000_NS6detail16transform_kernelINS1_24wrapped_transform_configINS0_14default_configEfEEfPKfPfNS0_8identityIfEEEEvT1_mT2_T3_,@function
_ZN7rocprim17ROCPRIM_304000_NS6detail16transform_kernelINS1_24wrapped_transform_configINS0_14default_configEfEEfPKfPfNS0_8identityIfEEEEvT1_mT2_T3_: ; @_ZN7rocprim17ROCPRIM_304000_NS6detail16transform_kernelINS1_24wrapped_transform_configINS0_14default_configEfEEfPKfPfNS0_8identityIfEEEEvT1_mT2_T3_
; %bb.0:
	s_load_dword s7, s[4:5], 0x20
	s_load_dwordx4 s[0:3], s[4:5], 0x0
	s_load_dwordx2 s[8:9], s[4:5], 0x10
	s_lshl_b32 s10, s6, 11
	s_mov_b32 s11, 0
	s_waitcnt lgkmcnt(0)
	s_add_i32 s7, s7, -1
	s_lshl_b64 s[4:5], s[10:11], 2
	s_add_u32 s0, s0, s4
	s_addc_u32 s1, s1, s5
	v_lshlrev_b32_e32 v1, 2, v0
	v_mov_b32_e32 v2, s1
	v_add_co_u32_e32 v4, vcc, s0, v1
	s_cmp_lg_u32 s6, s7
	v_addc_co_u32_e32 v5, vcc, 0, v2, vcc
	s_cbranch_scc0 .LBB130_2
; %bb.1:
	v_add_co_u32_e32 v2, vcc, 0x1000, v4
	global_load_dword v6, v[4:5], off
	v_addc_co_u32_e32 v3, vcc, 0, v5, vcc
	global_load_dword v3, v[2:3], off
	s_add_u32 s0, s8, s4
	s_addc_u32 s1, s9, s5
	s_mov_b64 s[6:7], -1
	s_waitcnt vmcnt(1)
	global_store_dword v1, v6, s[0:1]
	s_cbranch_execz .LBB130_3
	s_branch .LBB130_10
.LBB130_2:
	s_mov_b64 s[6:7], 0
                                        ; implicit-def: $vgpr3
.LBB130_3:
	s_sub_i32 s10, s2, s10
	v_cmp_gt_u32_e64 s[0:1], s10, v0
                                        ; implicit-def: $vgpr2_vgpr3
	s_and_saveexec_b64 s[2:3], s[0:1]
	s_cbranch_execz .LBB130_5
; %bb.4:
	global_load_dword v2, v[4:5], off
.LBB130_5:
	s_or_b64 exec, exec, s[2:3]
	v_or_b32_e32 v0, 0x400, v0
	v_cmp_gt_u32_e64 s[2:3], s10, v0
	s_and_saveexec_b64 s[10:11], s[2:3]
	s_cbranch_execnz .LBB130_13
; %bb.6:
	s_or_b64 exec, exec, s[10:11]
	s_and_saveexec_b64 s[10:11], s[0:1]
	s_cbranch_execnz .LBB130_14
.LBB130_7:
	s_or_b64 exec, exec, s[10:11]
	s_and_saveexec_b64 s[0:1], s[2:3]
.LBB130_8:
	s_or_b64 s[6:7], s[6:7], exec
.LBB130_9:
	s_or_b64 exec, exec, s[0:1]
.LBB130_10:
	s_and_saveexec_b64 s[0:1], s[6:7]
	s_cbranch_execnz .LBB130_12
; %bb.11:
	s_endpgm
.LBB130_12:
	s_add_u32 s0, s8, s4
	s_addc_u32 s1, s9, s5
	v_mov_b32_e32 v0, s1
	v_add_co_u32_e32 v1, vcc, s0, v1
	s_waitcnt vmcnt(0)
	v_addc_co_u32_e32 v2, vcc, 0, v0, vcc
	v_add_co_u32_e32 v0, vcc, 0x1000, v1
	v_addc_co_u32_e32 v1, vcc, 0, v2, vcc
	global_store_dword v[0:1], v3, off
	s_endpgm
.LBB130_13:
	v_add_co_u32_e32 v4, vcc, 0x1000, v4
	v_addc_co_u32_e32 v5, vcc, 0, v5, vcc
	global_load_dword v3, v[4:5], off
	s_or_b64 exec, exec, s[10:11]
	s_and_saveexec_b64 s[10:11], s[0:1]
	s_cbranch_execz .LBB130_7
.LBB130_14:
	s_add_u32 s0, s8, s4
	s_addc_u32 s1, s9, s5
	s_waitcnt vmcnt(0)
	global_store_dword v1, v2, s[0:1]
	s_or_b64 exec, exec, s[10:11]
	s_and_saveexec_b64 s[0:1], s[2:3]
	s_cbranch_execnz .LBB130_8
	s_branch .LBB130_9
	.section	.rodata,"a",@progbits
	.p2align	6, 0x0
	.amdhsa_kernel _ZN7rocprim17ROCPRIM_304000_NS6detail16transform_kernelINS1_24wrapped_transform_configINS0_14default_configEfEEfPKfPfNS0_8identityIfEEEEvT1_mT2_T3_
		.amdhsa_group_segment_fixed_size 0
		.amdhsa_private_segment_fixed_size 0
		.amdhsa_kernarg_size 288
		.amdhsa_user_sgpr_count 6
		.amdhsa_user_sgpr_private_segment_buffer 1
		.amdhsa_user_sgpr_dispatch_ptr 0
		.amdhsa_user_sgpr_queue_ptr 0
		.amdhsa_user_sgpr_kernarg_segment_ptr 1
		.amdhsa_user_sgpr_dispatch_id 0
		.amdhsa_user_sgpr_flat_scratch_init 0
		.amdhsa_user_sgpr_kernarg_preload_length 0
		.amdhsa_user_sgpr_kernarg_preload_offset 0
		.amdhsa_user_sgpr_private_segment_size 0
		.amdhsa_uses_dynamic_stack 0
		.amdhsa_system_sgpr_private_segment_wavefront_offset 0
		.amdhsa_system_sgpr_workgroup_id_x 1
		.amdhsa_system_sgpr_workgroup_id_y 0
		.amdhsa_system_sgpr_workgroup_id_z 0
		.amdhsa_system_sgpr_workgroup_info 0
		.amdhsa_system_vgpr_workitem_id 0
		.amdhsa_next_free_vgpr 7
		.amdhsa_next_free_sgpr 12
		.amdhsa_accum_offset 8
		.amdhsa_reserve_vcc 1
		.amdhsa_reserve_flat_scratch 0
		.amdhsa_float_round_mode_32 0
		.amdhsa_float_round_mode_16_64 0
		.amdhsa_float_denorm_mode_32 3
		.amdhsa_float_denorm_mode_16_64 3
		.amdhsa_dx10_clamp 1
		.amdhsa_ieee_mode 1
		.amdhsa_fp16_overflow 0
		.amdhsa_tg_split 0
		.amdhsa_exception_fp_ieee_invalid_op 0
		.amdhsa_exception_fp_denorm_src 0
		.amdhsa_exception_fp_ieee_div_zero 0
		.amdhsa_exception_fp_ieee_overflow 0
		.amdhsa_exception_fp_ieee_underflow 0
		.amdhsa_exception_fp_ieee_inexact 0
		.amdhsa_exception_int_div_zero 0
	.end_amdhsa_kernel
	.section	.text._ZN7rocprim17ROCPRIM_304000_NS6detail16transform_kernelINS1_24wrapped_transform_configINS0_14default_configEfEEfPKfPfNS0_8identityIfEEEEvT1_mT2_T3_,"axG",@progbits,_ZN7rocprim17ROCPRIM_304000_NS6detail16transform_kernelINS1_24wrapped_transform_configINS0_14default_configEfEEfPKfPfNS0_8identityIfEEEEvT1_mT2_T3_,comdat
.Lfunc_end130:
	.size	_ZN7rocprim17ROCPRIM_304000_NS6detail16transform_kernelINS1_24wrapped_transform_configINS0_14default_configEfEEfPKfPfNS0_8identityIfEEEEvT1_mT2_T3_, .Lfunc_end130-_ZN7rocprim17ROCPRIM_304000_NS6detail16transform_kernelINS1_24wrapped_transform_configINS0_14default_configEfEEfPKfPfNS0_8identityIfEEEEvT1_mT2_T3_
                                        ; -- End function
	.section	.AMDGPU.csdata,"",@progbits
; Kernel info:
; codeLenInByte = 352
; NumSgprs: 16
; NumVgprs: 7
; NumAgprs: 0
; TotalNumVgprs: 7
; ScratchSize: 0
; MemoryBound: 0
; FloatMode: 240
; IeeeMode: 1
; LDSByteSize: 0 bytes/workgroup (compile time only)
; SGPRBlocks: 1
; VGPRBlocks: 0
; NumSGPRsForWavesPerEU: 16
; NumVGPRsForWavesPerEU: 7
; AccumOffset: 8
; Occupancy: 8
; WaveLimiterHint : 1
; COMPUTE_PGM_RSRC2:SCRATCH_EN: 0
; COMPUTE_PGM_RSRC2:USER_SGPR: 6
; COMPUTE_PGM_RSRC2:TRAP_HANDLER: 0
; COMPUTE_PGM_RSRC2:TGID_X_EN: 1
; COMPUTE_PGM_RSRC2:TGID_Y_EN: 0
; COMPUTE_PGM_RSRC2:TGID_Z_EN: 0
; COMPUTE_PGM_RSRC2:TIDIG_COMP_CNT: 0
; COMPUTE_PGM_RSRC3_GFX90A:ACCUM_OFFSET: 1
; COMPUTE_PGM_RSRC3_GFX90A:TG_SPLIT: 0
	.section	.text._ZN7rocprim17ROCPRIM_304000_NS6detail25onesweep_iteration_kernelINS1_34wrapped_radix_sort_onesweep_configINS0_14default_configEfN2at4cuda3cub6detail10OpaqueTypeILi8EEEEELb1EPKfPfPKSA_PSA_mNS0_19identity_decomposerEEEvT1_T2_T3_T4_jPT5_SO_PNS1_23onesweep_lookback_stateET6_jjj,"axG",@progbits,_ZN7rocprim17ROCPRIM_304000_NS6detail25onesweep_iteration_kernelINS1_34wrapped_radix_sort_onesweep_configINS0_14default_configEfN2at4cuda3cub6detail10OpaqueTypeILi8EEEEELb1EPKfPfPKSA_PSA_mNS0_19identity_decomposerEEEvT1_T2_T3_T4_jPT5_SO_PNS1_23onesweep_lookback_stateET6_jjj,comdat
	.protected	_ZN7rocprim17ROCPRIM_304000_NS6detail25onesweep_iteration_kernelINS1_34wrapped_radix_sort_onesweep_configINS0_14default_configEfN2at4cuda3cub6detail10OpaqueTypeILi8EEEEELb1EPKfPfPKSA_PSA_mNS0_19identity_decomposerEEEvT1_T2_T3_T4_jPT5_SO_PNS1_23onesweep_lookback_stateET6_jjj ; -- Begin function _ZN7rocprim17ROCPRIM_304000_NS6detail25onesweep_iteration_kernelINS1_34wrapped_radix_sort_onesweep_configINS0_14default_configEfN2at4cuda3cub6detail10OpaqueTypeILi8EEEEELb1EPKfPfPKSA_PSA_mNS0_19identity_decomposerEEEvT1_T2_T3_T4_jPT5_SO_PNS1_23onesweep_lookback_stateET6_jjj
	.globl	_ZN7rocprim17ROCPRIM_304000_NS6detail25onesweep_iteration_kernelINS1_34wrapped_radix_sort_onesweep_configINS0_14default_configEfN2at4cuda3cub6detail10OpaqueTypeILi8EEEEELb1EPKfPfPKSA_PSA_mNS0_19identity_decomposerEEEvT1_T2_T3_T4_jPT5_SO_PNS1_23onesweep_lookback_stateET6_jjj
	.p2align	8
	.type	_ZN7rocprim17ROCPRIM_304000_NS6detail25onesweep_iteration_kernelINS1_34wrapped_radix_sort_onesweep_configINS0_14default_configEfN2at4cuda3cub6detail10OpaqueTypeILi8EEEEELb1EPKfPfPKSA_PSA_mNS0_19identity_decomposerEEEvT1_T2_T3_T4_jPT5_SO_PNS1_23onesweep_lookback_stateET6_jjj,@function
_ZN7rocprim17ROCPRIM_304000_NS6detail25onesweep_iteration_kernelINS1_34wrapped_radix_sort_onesweep_configINS0_14default_configEfN2at4cuda3cub6detail10OpaqueTypeILi8EEEEELb1EPKfPfPKSA_PSA_mNS0_19identity_decomposerEEEvT1_T2_T3_T4_jPT5_SO_PNS1_23onesweep_lookback_stateET6_jjj: ; @_ZN7rocprim17ROCPRIM_304000_NS6detail25onesweep_iteration_kernelINS1_34wrapped_radix_sort_onesweep_configINS0_14default_configEfN2at4cuda3cub6detail10OpaqueTypeILi8EEEEELb1EPKfPfPKSA_PSA_mNS0_19identity_decomposerEEEvT1_T2_T3_T4_jPT5_SO_PNS1_23onesweep_lookback_stateET6_jjj
; %bb.0:
	s_load_dwordx4 s[48:51], s[4:5], 0x44
	s_load_dwordx8 s[36:43], s[4:5], 0x0
	s_load_dwordx4 s[44:47], s[4:5], 0x28
	s_load_dwordx2 s[34:35], s[4:5], 0x38
	s_mul_i32 s30, s6, 0xc00
	s_waitcnt lgkmcnt(0)
	s_cmp_ge_u32 s6, s50
	v_mbcnt_lo_u32_b32 v1, -1, 0
	s_cbranch_scc0 .LBB131_86
; %bb.1:
	s_load_dword s2, s[4:5], 0x20
	s_mulk_i32 s50, 0xf400
	s_mov_b32 s31, 0
	s_lshl_b64 s[0:1], s[30:31], 2
	v_and_b32_e32 v8, 0x3ff, v0
	s_waitcnt lgkmcnt(0)
	s_add_i32 s50, s50, s2
	s_add_u32 s0, s36, s0
	v_mbcnt_hi_u32_b32 v14, -1, v1
	s_addc_u32 s1, s37, s1
	v_and_b32_e32 v15, 0x1c0, v8
	v_lshlrev_b32_e32 v2, 2, v14
	v_mul_u32_u24_e32 v9, 6, v15
	v_mov_b32_e32 v3, s1
	v_add_co_u32_e32 v2, vcc, s0, v2
	s_mov_b32 s8, -1
	v_addc_co_u32_e32 v3, vcc, 0, v3, vcc
	v_lshlrev_b32_e32 v4, 2, v9
	v_add_co_u32_e32 v10, vcc, v2, v4
	s_mov_b32 s9, s8
	v_addc_co_u32_e32 v11, vcc, 0, v3, vcc
	v_or_b32_e32 v12, v14, v9
	s_mov_b32 s10, s8
	s_mov_b32 s11, s8
	;; [unrolled: 1-line block ×4, first 2 shown]
	v_pk_mov_b32 v[2:3], s[8:9], s[8:9] op_sel:[0,1]
	v_cmp_gt_u32_e32 vcc, s50, v12
	v_pk_mov_b32 v[4:5], s[10:11], s[10:11] op_sel:[0,1]
	v_pk_mov_b32 v[6:7], s[12:13], s[12:13] op_sel:[0,1]
	s_and_saveexec_b64 s[0:1], vcc
	s_cbranch_execz .LBB131_3
; %bb.2:
	global_load_dword v2, v[10:11], off
	v_mov_b32_e32 v3, -1
	v_mov_b32_e32 v4, v3
	v_mov_b32_e32 v5, v3
	;; [unrolled: 1-line block ×4, first 2 shown]
.LBB131_3:
	s_or_b64 exec, exec, s[0:1]
	v_add_u32_e32 v13, 64, v12
	v_cmp_gt_u32_e64 s[0:1], s50, v13
	s_and_saveexec_b64 s[2:3], s[0:1]
	s_cbranch_execz .LBB131_5
; %bb.4:
	global_load_dword v3, v[10:11], off offset:256
.LBB131_5:
	s_or_b64 exec, exec, s[2:3]
	v_add_u32_e32 v13, 0x80, v12
	v_cmp_gt_u32_e64 s[2:3], s50, v13
	s_and_saveexec_b64 s[8:9], s[2:3]
	s_cbranch_execz .LBB131_7
; %bb.6:
	global_load_dword v4, v[10:11], off offset:512
.LBB131_7:
	;; [unrolled: 8-line block ×5, first 2 shown]
	s_or_b64 exec, exec, s[12:13]
	s_load_dword s12, s[4:5], 0x5c
	s_load_dword s7, s[4:5], 0x50
	s_add_u32 s13, s4, 0x50
	s_addc_u32 s14, s5, 0
	v_mov_b32_e32 v10, 0
	s_waitcnt lgkmcnt(0)
	s_lshr_b32 s15, s12, 16
	s_cmp_lt_u32 s6, s7
	s_cselect_b32 s12, 12, 18
	s_add_u32 s12, s13, s12
	s_addc_u32 s13, s14, 0
	global_load_ushort v12, v10, s[12:13]
	v_bfrev_b32_e32 v20, -2
	s_waitcnt vmcnt(1)
	v_cmp_gt_i32_e64 s[12:13], 0, v2
	v_mul_u32_u24_e32 v16, 5, v8
	v_cndmask_b32_e64 v18, v20, 0, s[12:13]
	s_brev_b32 s16, 1
	v_lshlrev_b32_e32 v17, 2, v16
	v_xor_b32_e32 v16, v18, v2
	v_cmp_ne_u32_e64 s[12:13], s16, v16
	v_cndmask_b32_e64 v2, v20, v16, s[12:13]
	s_lshl_b32 s12, -1, s49
	v_lshrrev_b32_e32 v2, s48, v2
	s_not_b32 s33, s12
	v_and_b32_e32 v2, s33, v2
	v_and_b32_e32 v19, 1, v2
	v_bfe_u32 v11, v0, 10, 10
	v_bfe_u32 v13, v0, 20, 10
	v_add_co_u32_e64 v21, s[12:13], -1, v19
	v_mad_u32_u24 v13, v13, s15, v11
	v_lshlrev_b32_e32 v11, 30, v2
	v_addc_co_u32_e64 v22, s[12:13], 0, -1, s[12:13]
	v_cmp_ne_u32_e64 s[12:13], 0, v19
	v_cmp_gt_i64_e64 s[14:15], 0, v[10:11]
	v_not_b32_e32 v19, v11
	v_lshlrev_b32_e32 v11, 29, v2
	v_xor_b32_e32 v22, s13, v22
	v_xor_b32_e32 v21, s12, v21
	v_ashrrev_i32_e32 v19, 31, v19
	v_cmp_gt_i64_e64 s[12:13], 0, v[10:11]
	v_not_b32_e32 v23, v11
	v_lshlrev_b32_e32 v11, 28, v2
	v_and_b32_e32 v22, exec_hi, v22
	v_and_b32_e32 v21, exec_lo, v21
	v_xor_b32_e32 v24, s15, v19
	v_xor_b32_e32 v19, s14, v19
	v_ashrrev_i32_e32 v23, 31, v23
	v_cmp_gt_i64_e64 s[14:15], 0, v[10:11]
	v_not_b32_e32 v25, v11
	v_lshlrev_b32_e32 v11, 27, v2
	v_and_b32_e32 v22, v22, v24
	v_and_b32_e32 v19, v21, v19
	v_xor_b32_e32 v21, s13, v23
	v_xor_b32_e32 v23, s12, v23
	v_ashrrev_i32_e32 v24, 31, v25
	v_cmp_gt_i64_e64 s[12:13], 0, v[10:11]
	v_not_b32_e32 v25, v11
	v_lshlrev_b32_e32 v11, 26, v2
	v_and_b32_e32 v21, v22, v21
	v_and_b32_e32 v19, v19, v23
	;; [unrolled: 8-line block ×3, first 2 shown]
	v_xor_b32_e32 v22, s13, v24
	v_xor_b32_e32 v23, s12, v24
	v_ashrrev_i32_e32 v24, 31, v25
	v_cmp_gt_i64_e64 s[12:13], 0, v[10:11]
	v_not_b32_e32 v11, v11
	v_and_b32_e32 v21, v21, v22
	v_and_b32_e32 v19, v19, v23
	v_xor_b32_e32 v22, s15, v24
	v_xor_b32_e32 v23, s14, v24
	v_ashrrev_i32_e32 v11, 31, v11
	v_lshl_add_u32 v18, v2, 3, v2
	v_and_b32_e32 v22, v21, v22
	v_and_b32_e32 v23, v19, v23
	v_xor_b32_e32 v24, s13, v11
	v_xor_b32_e32 v11, s12, v11
	ds_write2_b32 v17, v10, v10 offset0:8 offset1:9
	ds_write2_b32 v17, v10, v10 offset0:10 offset1:11
	ds_write_b32 v17, v10 offset:48
	s_waitcnt lgkmcnt(0)
	s_barrier
	s_waitcnt lgkmcnt(0)
	; wave barrier
	s_waitcnt vmcnt(0)
	v_mad_u64_u32 v[12:13], s[14:15], v13, v12, v[8:9]
	v_lshrrev_b32_e32 v21, 6, v12
	v_add_lshl_u32 v19, v18, v21, 2
	v_and_b32_e32 v18, v23, v11
	v_lshlrev_b32_e32 v11, 24, v2
	v_not_b32_e32 v2, v11
	v_cmp_gt_i64_e64 s[12:13], 0, v[10:11]
	v_ashrrev_i32_e32 v2, 31, v2
	v_and_b32_e32 v12, v22, v24
	v_xor_b32_e32 v11, s13, v2
	v_xor_b32_e32 v2, s12, v2
	v_and_b32_e32 v13, v12, v11
	v_and_b32_e32 v12, v18, v2
	v_mbcnt_lo_u32_b32 v2, v12, 0
	v_mbcnt_hi_u32_b32 v18, v13, v2
	v_cmp_eq_u32_e64 s[12:13], 0, v18
	v_cmp_ne_u64_e64 s[14:15], 0, v[12:13]
	s_and_b64 s[14:15], s[14:15], s[12:13]
	s_and_saveexec_b64 s[12:13], s[14:15]
	s_cbranch_execz .LBB131_15
; %bb.14:
	v_bcnt_u32_b32 v2, v12, 0
	v_bcnt_u32_b32 v2, v13, v2
	ds_write_b32 v19, v2 offset:32
.LBB131_15:
	s_or_b64 exec, exec, s[12:13]
	v_cmp_gt_i32_e64 s[12:13], 0, v3
	v_cndmask_b32_e64 v2, v20, 0, s[12:13]
	v_xor_b32_e32 v12, v2, v3
	v_cmp_ne_u32_e64 s[12:13], s16, v12
	v_cndmask_b32_e64 v2, v20, v12, s[12:13]
	v_lshrrev_b32_e32 v2, s48, v2
	v_and_b32_e32 v2, s33, v2
	v_lshl_add_u32 v3, v2, 3, v2
	v_add_lshl_u32 v20, v3, v21, 2
	v_and_b32_e32 v3, 1, v2
	v_add_co_u32_e64 v11, s[12:13], -1, v3
	v_addc_co_u32_e64 v22, s[12:13], 0, -1, s[12:13]
	v_cmp_ne_u32_e64 s[12:13], 0, v3
	v_xor_b32_e32 v11, s12, v11
	v_xor_b32_e32 v3, s13, v22
	v_and_b32_e32 v22, exec_lo, v11
	v_lshlrev_b32_e32 v11, 30, v2
	v_cmp_gt_i64_e64 s[12:13], 0, v[10:11]
	v_not_b32_e32 v11, v11
	v_ashrrev_i32_e32 v11, 31, v11
	v_xor_b32_e32 v23, s13, v11
	v_xor_b32_e32 v11, s12, v11
	v_and_b32_e32 v22, v22, v11
	v_lshlrev_b32_e32 v11, 29, v2
	v_cmp_gt_i64_e64 s[12:13], 0, v[10:11]
	v_not_b32_e32 v11, v11
	v_and_b32_e32 v3, exec_hi, v3
	v_ashrrev_i32_e32 v11, 31, v11
	v_and_b32_e32 v3, v3, v23
	v_xor_b32_e32 v23, s13, v11
	v_xor_b32_e32 v11, s12, v11
	v_and_b32_e32 v22, v22, v11
	v_lshlrev_b32_e32 v11, 28, v2
	v_cmp_gt_i64_e64 s[12:13], 0, v[10:11]
	v_not_b32_e32 v11, v11
	v_ashrrev_i32_e32 v11, 31, v11
	v_and_b32_e32 v3, v3, v23
	v_xor_b32_e32 v23, s13, v11
	v_xor_b32_e32 v11, s12, v11
	v_and_b32_e32 v22, v22, v11
	v_lshlrev_b32_e32 v11, 27, v2
	v_cmp_gt_i64_e64 s[12:13], 0, v[10:11]
	v_not_b32_e32 v11, v11
	;; [unrolled: 8-line block ×4, first 2 shown]
	v_ashrrev_i32_e32 v11, 31, v11
	v_and_b32_e32 v3, v3, v23
	v_xor_b32_e32 v23, s13, v11
	v_xor_b32_e32 v11, s12, v11
	v_and_b32_e32 v22, v22, v11
	v_lshlrev_b32_e32 v11, 24, v2
	v_not_b32_e32 v2, v11
	v_cmp_gt_i64_e64 s[12:13], 0, v[10:11]
	v_ashrrev_i32_e32 v2, 31, v2
	v_xor_b32_e32 v10, s13, v2
	v_xor_b32_e32 v2, s12, v2
	; wave barrier
	ds_read_b32 v13, v20 offset:32
	v_and_b32_e32 v3, v3, v23
	v_and_b32_e32 v2, v22, v2
	;; [unrolled: 1-line block ×3, first 2 shown]
	v_mbcnt_lo_u32_b32 v10, v2, 0
	v_mbcnt_hi_u32_b32 v22, v3, v10
	v_cmp_eq_u32_e64 s[12:13], 0, v22
	v_cmp_ne_u64_e64 s[14:15], 0, v[2:3]
	s_and_b64 s[14:15], s[14:15], s[12:13]
	; wave barrier
	s_and_saveexec_b64 s[12:13], s[14:15]
	s_cbranch_execz .LBB131_17
; %bb.16:
	v_bcnt_u32_b32 v2, v2, 0
	v_bcnt_u32_b32 v2, v3, v2
	s_waitcnt lgkmcnt(0)
	v_add_u32_e32 v2, v13, v2
	ds_write_b32 v20, v2 offset:32
.LBB131_17:
	s_or_b64 exec, exec, s[12:13]
	v_bfrev_b32_e32 v27, -2
	v_cmp_gt_i32_e64 s[12:13], 0, v4
	v_cndmask_b32_e64 v3, v27, 0, s[12:13]
	v_xor_b32_e32 v23, v3, v4
	v_cmp_ne_u32_e64 s[12:13], s16, v23
	v_cndmask_b32_e64 v3, v27, v23, s[12:13]
	v_lshrrev_b32_e32 v3, s48, v3
	v_and_b32_e32 v4, s33, v3
	v_lshl_add_u32 v3, v4, 3, v4
	v_add_lshl_u32 v25, v3, v21, 2
	v_and_b32_e32 v3, 1, v4
	v_add_co_u32_e64 v10, s[12:13], -1, v3
	v_addc_co_u32_e64 v11, s[12:13], 0, -1, s[12:13]
	v_cmp_ne_u32_e64 s[12:13], 0, v3
	v_xor_b32_e32 v3, s13, v11
	v_mov_b32_e32 v2, 0
	v_and_b32_e32 v11, exec_hi, v3
	v_lshlrev_b32_e32 v3, 30, v4
	v_xor_b32_e32 v10, s12, v10
	v_cmp_gt_i64_e64 s[12:13], 0, v[2:3]
	v_not_b32_e32 v3, v3
	v_ashrrev_i32_e32 v3, 31, v3
	v_and_b32_e32 v10, exec_lo, v10
	v_xor_b32_e32 v26, s13, v3
	v_xor_b32_e32 v3, s12, v3
	v_and_b32_e32 v10, v10, v3
	v_lshlrev_b32_e32 v3, 29, v4
	v_cmp_gt_i64_e64 s[12:13], 0, v[2:3]
	v_not_b32_e32 v3, v3
	v_ashrrev_i32_e32 v3, 31, v3
	v_and_b32_e32 v11, v11, v26
	v_xor_b32_e32 v26, s13, v3
	v_xor_b32_e32 v3, s12, v3
	v_and_b32_e32 v10, v10, v3
	v_lshlrev_b32_e32 v3, 28, v4
	v_cmp_gt_i64_e64 s[12:13], 0, v[2:3]
	v_not_b32_e32 v3, v3
	v_ashrrev_i32_e32 v3, 31, v3
	v_and_b32_e32 v11, v11, v26
	;; [unrolled: 8-line block ×5, first 2 shown]
	v_xor_b32_e32 v26, s13, v3
	v_xor_b32_e32 v3, s12, v3
	v_and_b32_e32 v10, v10, v3
	v_lshlrev_b32_e32 v3, 24, v4
	v_cmp_gt_i64_e64 s[12:13], 0, v[2:3]
	v_not_b32_e32 v3, v3
	v_ashrrev_i32_e32 v3, 31, v3
	v_xor_b32_e32 v4, s13, v3
	v_xor_b32_e32 v3, s12, v3
	; wave barrier
	ds_read_b32 v24, v25 offset:32
	v_and_b32_e32 v11, v11, v26
	v_and_b32_e32 v10, v10, v3
	;; [unrolled: 1-line block ×3, first 2 shown]
	v_mbcnt_lo_u32_b32 v3, v10, 0
	v_mbcnt_hi_u32_b32 v26, v11, v3
	v_cmp_eq_u32_e64 s[12:13], 0, v26
	v_cmp_ne_u64_e64 s[14:15], 0, v[10:11]
	s_and_b64 s[14:15], s[14:15], s[12:13]
	; wave barrier
	s_and_saveexec_b64 s[12:13], s[14:15]
	s_cbranch_execz .LBB131_19
; %bb.18:
	v_bcnt_u32_b32 v3, v10, 0
	v_bcnt_u32_b32 v3, v11, v3
	s_waitcnt lgkmcnt(0)
	v_add_u32_e32 v3, v24, v3
	ds_write_b32 v25, v3 offset:32
.LBB131_19:
	s_or_b64 exec, exec, s[12:13]
	v_cmp_gt_i32_e64 s[12:13], 0, v5
	v_cndmask_b32_e64 v3, v27, 0, s[12:13]
	v_xor_b32_e32 v10, v3, v5
	v_cmp_ne_u32_e64 s[12:13], s16, v10
	v_cndmask_b32_e64 v3, v27, v10, s[12:13]
	v_lshrrev_b32_e32 v3, s48, v3
	v_and_b32_e32 v4, s33, v3
	v_lshl_add_u32 v3, v4, 3, v4
	v_add_lshl_u32 v27, v3, v21, 2
	v_and_b32_e32 v3, 1, v4
	v_add_co_u32_e64 v5, s[12:13], -1, v3
	v_addc_co_u32_e64 v28, s[12:13], 0, -1, s[12:13]
	v_cmp_ne_u32_e64 s[12:13], 0, v3
	v_xor_b32_e32 v3, s13, v28
	v_and_b32_e32 v28, exec_hi, v3
	v_lshlrev_b32_e32 v3, 30, v4
	v_xor_b32_e32 v5, s12, v5
	v_cmp_gt_i64_e64 s[12:13], 0, v[2:3]
	v_not_b32_e32 v3, v3
	v_ashrrev_i32_e32 v3, 31, v3
	v_and_b32_e32 v5, exec_lo, v5
	v_xor_b32_e32 v29, s13, v3
	v_xor_b32_e32 v3, s12, v3
	v_and_b32_e32 v5, v5, v3
	v_lshlrev_b32_e32 v3, 29, v4
	v_cmp_gt_i64_e64 s[12:13], 0, v[2:3]
	v_not_b32_e32 v3, v3
	v_ashrrev_i32_e32 v3, 31, v3
	v_and_b32_e32 v28, v28, v29
	v_xor_b32_e32 v29, s13, v3
	v_xor_b32_e32 v3, s12, v3
	v_and_b32_e32 v5, v5, v3
	v_lshlrev_b32_e32 v3, 28, v4
	v_cmp_gt_i64_e64 s[12:13], 0, v[2:3]
	v_not_b32_e32 v3, v3
	v_ashrrev_i32_e32 v3, 31, v3
	v_and_b32_e32 v28, v28, v29
	;; [unrolled: 8-line block ×5, first 2 shown]
	v_xor_b32_e32 v29, s13, v3
	v_xor_b32_e32 v3, s12, v3
	v_and_b32_e32 v5, v5, v3
	v_lshlrev_b32_e32 v3, 24, v4
	v_cmp_gt_i64_e64 s[12:13], 0, v[2:3]
	v_not_b32_e32 v2, v3
	v_ashrrev_i32_e32 v2, 31, v2
	v_xor_b32_e32 v3, s13, v2
	v_xor_b32_e32 v2, s12, v2
	; wave barrier
	ds_read_b32 v11, v27 offset:32
	v_and_b32_e32 v28, v28, v29
	v_and_b32_e32 v2, v5, v2
	;; [unrolled: 1-line block ×3, first 2 shown]
	v_mbcnt_lo_u32_b32 v4, v2, 0
	v_mbcnt_hi_u32_b32 v29, v3, v4
	v_cmp_eq_u32_e64 s[12:13], 0, v29
	v_cmp_ne_u64_e64 s[14:15], 0, v[2:3]
	s_and_b64 s[14:15], s[14:15], s[12:13]
	; wave barrier
	s_and_saveexec_b64 s[12:13], s[14:15]
	s_cbranch_execz .LBB131_21
; %bb.20:
	v_bcnt_u32_b32 v2, v2, 0
	v_bcnt_u32_b32 v2, v3, v2
	s_waitcnt lgkmcnt(0)
	v_add_u32_e32 v2, v11, v2
	ds_write_b32 v27, v2 offset:32
.LBB131_21:
	s_or_b64 exec, exec, s[12:13]
	v_bfrev_b32_e32 v32, -2
	v_cmp_gt_i32_e64 s[12:13], 0, v6
	v_cndmask_b32_e64 v3, v32, 0, s[12:13]
	v_xor_b32_e32 v6, v3, v6
	v_cmp_ne_u32_e64 s[12:13], s16, v6
	v_cndmask_b32_e64 v3, v32, v6, s[12:13]
	v_lshrrev_b32_e32 v3, s48, v3
	v_and_b32_e32 v4, s33, v3
	v_lshl_add_u32 v3, v4, 3, v4
	v_add_lshl_u32 v28, v3, v21, 2
	v_and_b32_e32 v3, 1, v4
	v_add_co_u32_e64 v5, s[12:13], -1, v3
	v_addc_co_u32_e64 v31, s[12:13], 0, -1, s[12:13]
	v_cmp_ne_u32_e64 s[12:13], 0, v3
	v_xor_b32_e32 v3, s13, v31
	v_mov_b32_e32 v2, 0
	v_and_b32_e32 v31, exec_hi, v3
	v_lshlrev_b32_e32 v3, 30, v4
	v_xor_b32_e32 v5, s12, v5
	v_cmp_gt_i64_e64 s[12:13], 0, v[2:3]
	v_not_b32_e32 v3, v3
	v_ashrrev_i32_e32 v3, 31, v3
	v_and_b32_e32 v5, exec_lo, v5
	v_xor_b32_e32 v33, s13, v3
	v_xor_b32_e32 v3, s12, v3
	v_and_b32_e32 v5, v5, v3
	v_lshlrev_b32_e32 v3, 29, v4
	v_cmp_gt_i64_e64 s[12:13], 0, v[2:3]
	v_not_b32_e32 v3, v3
	v_ashrrev_i32_e32 v3, 31, v3
	v_and_b32_e32 v31, v31, v33
	v_xor_b32_e32 v33, s13, v3
	v_xor_b32_e32 v3, s12, v3
	v_and_b32_e32 v5, v5, v3
	v_lshlrev_b32_e32 v3, 28, v4
	v_cmp_gt_i64_e64 s[12:13], 0, v[2:3]
	v_not_b32_e32 v3, v3
	v_ashrrev_i32_e32 v3, 31, v3
	v_and_b32_e32 v31, v31, v33
	;; [unrolled: 8-line block ×5, first 2 shown]
	v_xor_b32_e32 v33, s13, v3
	v_xor_b32_e32 v3, s12, v3
	v_and_b32_e32 v31, v31, v33
	v_and_b32_e32 v33, v5, v3
	v_lshlrev_b32_e32 v3, 24, v4
	v_cmp_gt_i64_e64 s[12:13], 0, v[2:3]
	v_not_b32_e32 v3, v3
	v_ashrrev_i32_e32 v3, 31, v3
	v_xor_b32_e32 v4, s13, v3
	v_xor_b32_e32 v3, s12, v3
	; wave barrier
	ds_read_b32 v30, v28 offset:32
	v_and_b32_e32 v5, v31, v4
	v_and_b32_e32 v4, v33, v3
	v_mbcnt_lo_u32_b32 v3, v4, 0
	v_mbcnt_hi_u32_b32 v31, v5, v3
	v_cmp_eq_u32_e64 s[12:13], 0, v31
	v_cmp_ne_u64_e64 s[14:15], 0, v[4:5]
	s_and_b64 s[14:15], s[14:15], s[12:13]
	; wave barrier
	s_and_saveexec_b64 s[12:13], s[14:15]
	s_cbranch_execz .LBB131_23
; %bb.22:
	v_bcnt_u32_b32 v3, v4, 0
	v_bcnt_u32_b32 v3, v5, v3
	s_waitcnt lgkmcnt(0)
	v_add_u32_e32 v3, v30, v3
	ds_write_b32 v28, v3 offset:32
.LBB131_23:
	s_or_b64 exec, exec, s[12:13]
	v_cmp_gt_i32_e64 s[12:13], 0, v7
	v_cndmask_b32_e64 v3, v32, 0, s[12:13]
	v_xor_b32_e32 v7, v3, v7
	v_cmp_ne_u32_e64 s[12:13], s16, v7
	v_cndmask_b32_e64 v3, v32, v7, s[12:13]
	v_lshrrev_b32_e32 v3, s48, v3
	v_and_b32_e32 v4, s33, v3
	v_lshl_add_u32 v3, v4, 3, v4
	v_add_lshl_u32 v34, v3, v21, 2
	v_and_b32_e32 v3, 1, v4
	v_add_co_u32_e64 v5, s[12:13], -1, v3
	v_addc_co_u32_e64 v21, s[12:13], 0, -1, s[12:13]
	v_cmp_ne_u32_e64 s[12:13], 0, v3
	v_xor_b32_e32 v3, s13, v21
	v_and_b32_e32 v21, exec_hi, v3
	v_lshlrev_b32_e32 v3, 30, v4
	v_xor_b32_e32 v5, s12, v5
	v_cmp_gt_i64_e64 s[12:13], 0, v[2:3]
	v_not_b32_e32 v3, v3
	v_ashrrev_i32_e32 v3, 31, v3
	v_and_b32_e32 v5, exec_lo, v5
	v_xor_b32_e32 v35, s13, v3
	v_xor_b32_e32 v3, s12, v3
	v_and_b32_e32 v5, v5, v3
	v_lshlrev_b32_e32 v3, 29, v4
	v_cmp_gt_i64_e64 s[12:13], 0, v[2:3]
	v_not_b32_e32 v3, v3
	v_ashrrev_i32_e32 v3, 31, v3
	v_and_b32_e32 v21, v21, v35
	v_xor_b32_e32 v35, s13, v3
	v_xor_b32_e32 v3, s12, v3
	v_and_b32_e32 v5, v5, v3
	v_lshlrev_b32_e32 v3, 28, v4
	v_cmp_gt_i64_e64 s[12:13], 0, v[2:3]
	v_not_b32_e32 v3, v3
	v_ashrrev_i32_e32 v3, 31, v3
	v_and_b32_e32 v21, v21, v35
	;; [unrolled: 8-line block ×5, first 2 shown]
	v_xor_b32_e32 v35, s13, v3
	v_xor_b32_e32 v3, s12, v3
	v_and_b32_e32 v5, v5, v3
	v_lshlrev_b32_e32 v3, 24, v4
	v_cmp_gt_i64_e64 s[12:13], 0, v[2:3]
	v_not_b32_e32 v2, v3
	v_ashrrev_i32_e32 v2, 31, v2
	v_xor_b32_e32 v3, s13, v2
	v_xor_b32_e32 v2, s12, v2
	; wave barrier
	ds_read_b32 v32, v34 offset:32
	v_and_b32_e32 v21, v21, v35
	v_and_b32_e32 v2, v5, v2
	;; [unrolled: 1-line block ×3, first 2 shown]
	v_mbcnt_lo_u32_b32 v4, v2, 0
	v_mbcnt_hi_u32_b32 v35, v3, v4
	v_cmp_eq_u32_e64 s[12:13], 0, v35
	v_cmp_ne_u64_e64 s[14:15], 0, v[2:3]
	v_add_u32_e32 v33, 32, v17
	s_and_b64 s[14:15], s[14:15], s[12:13]
	; wave barrier
	s_and_saveexec_b64 s[12:13], s[14:15]
	s_cbranch_execz .LBB131_25
; %bb.24:
	v_bcnt_u32_b32 v2, v2, 0
	v_bcnt_u32_b32 v2, v3, v2
	s_waitcnt lgkmcnt(0)
	v_add_u32_e32 v2, v32, v2
	ds_write_b32 v34, v2 offset:32
.LBB131_25:
	s_or_b64 exec, exec, s[12:13]
	; wave barrier
	s_waitcnt lgkmcnt(0)
	s_barrier
	ds_read2_b32 v[4:5], v17 offset0:8 offset1:9
	ds_read2_b32 v[2:3], v33 offset0:2 offset1:3
	ds_read_b32 v21, v33 offset:16
	v_min_u32_e32 v15, 0x1c0, v15
	v_or_b32_e32 v15, 63, v15
	s_waitcnt lgkmcnt(1)
	v_add3_u32 v36, v5, v4, v2
	s_waitcnt lgkmcnt(0)
	v_add3_u32 v21, v36, v3, v21
	v_and_b32_e32 v36, 15, v14
	v_cmp_ne_u32_e64 s[12:13], 0, v36
	v_mov_b32_dpp v37, v21 row_shr:1 row_mask:0xf bank_mask:0xf
	v_cndmask_b32_e64 v37, 0, v37, s[12:13]
	v_add_u32_e32 v21, v37, v21
	v_cmp_lt_u32_e64 s[12:13], 1, v36
	s_nop 0
	v_mov_b32_dpp v37, v21 row_shr:2 row_mask:0xf bank_mask:0xf
	v_cndmask_b32_e64 v37, 0, v37, s[12:13]
	v_add_u32_e32 v21, v21, v37
	v_cmp_lt_u32_e64 s[12:13], 3, v36
	s_nop 0
	;; [unrolled: 5-line block ×3, first 2 shown]
	v_mov_b32_dpp v37, v21 row_shr:8 row_mask:0xf bank_mask:0xf
	v_cndmask_b32_e64 v36, 0, v37, s[12:13]
	v_add_u32_e32 v21, v21, v36
	v_bfe_i32 v37, v14, 4, 1
	v_cmp_lt_u32_e64 s[12:13], 31, v14
	v_mov_b32_dpp v36, v21 row_bcast:15 row_mask:0xf bank_mask:0xf
	v_and_b32_e32 v36, v37, v36
	v_add_u32_e32 v21, v21, v36
	v_lshrrev_b32_e32 v37, 6, v8
	s_nop 0
	v_mov_b32_dpp v36, v21 row_bcast:31 row_mask:0xf bank_mask:0xf
	v_cndmask_b32_e64 v36, 0, v36, s[12:13]
	v_add_u32_e32 v36, v21, v36
	v_cmp_eq_u32_e64 s[12:13], v15, v8
	s_and_saveexec_b64 s[14:15], s[12:13]
	s_cbranch_execz .LBB131_27
; %bb.26:
	v_lshlrev_b32_e32 v15, 2, v37
	ds_write_b32 v15, v36
.LBB131_27:
	s_or_b64 exec, exec, s[14:15]
	v_cmp_gt_u32_e64 s[12:13], 8, v8
	v_lshlrev_b32_e32 v21, 2, v8
	s_waitcnt lgkmcnt(0)
	s_barrier
	s_and_saveexec_b64 s[14:15], s[12:13]
	s_cbranch_execz .LBB131_29
; %bb.28:
	ds_read_b32 v15, v21
	v_and_b32_e32 v38, 7, v14
	v_cmp_ne_u32_e64 s[12:13], 0, v38
	s_waitcnt lgkmcnt(0)
	v_mov_b32_dpp v39, v15 row_shr:1 row_mask:0xf bank_mask:0xf
	v_cndmask_b32_e64 v39, 0, v39, s[12:13]
	v_add_u32_e32 v15, v39, v15
	v_cmp_lt_u32_e64 s[12:13], 1, v38
	s_nop 0
	v_mov_b32_dpp v39, v15 row_shr:2 row_mask:0xf bank_mask:0xf
	v_cndmask_b32_e64 v39, 0, v39, s[12:13]
	v_add_u32_e32 v15, v15, v39
	v_cmp_lt_u32_e64 s[12:13], 3, v38
	s_nop 0
	v_mov_b32_dpp v39, v15 row_shr:4 row_mask:0xf bank_mask:0xf
	v_cndmask_b32_e64 v38, 0, v39, s[12:13]
	v_add_u32_e32 v15, v15, v38
	ds_write_b32 v21, v15
.LBB131_29:
	s_or_b64 exec, exec, s[14:15]
	v_cmp_lt_u32_e64 s[12:13], 63, v8
	v_mov_b32_e32 v15, 0
	s_waitcnt lgkmcnt(0)
	s_barrier
	s_and_saveexec_b64 s[14:15], s[12:13]
	s_cbranch_execz .LBB131_31
; %bb.30:
	v_lshl_add_u32 v15, v37, 2, -4
	ds_read_b32 v15, v15
.LBB131_31:
	s_or_b64 exec, exec, s[14:15]
	v_add_u32_e32 v37, -1, v14
	v_and_b32_e32 v38, 64, v14
	v_cmp_lt_i32_e64 s[12:13], v37, v38
	v_cndmask_b32_e64 v37, v37, v14, s[12:13]
	s_waitcnt lgkmcnt(0)
	v_add_u32_e32 v36, v15, v36
	v_lshlrev_b32_e32 v37, 2, v37
	ds_bpermute_b32 v36, v37, v36
	v_cmp_eq_u32_e64 s[12:13], 0, v14
	s_waitcnt lgkmcnt(0)
	v_cndmask_b32_e64 v15, v36, v15, s[12:13]
	v_cmp_ne_u32_e64 s[12:13], 0, v8
	v_cndmask_b32_e64 v15, 0, v15, s[12:13]
	v_add_u32_e32 v4, v15, v4
	v_add_u32_e32 v5, v4, v5
	;; [unrolled: 1-line block ×4, first 2 shown]
	ds_write2_b32 v17, v15, v4 offset0:8 offset1:9
	ds_write2_b32 v33, v5, v2 offset0:2 offset1:3
	ds_write_b32 v33, v3 offset:16
	s_waitcnt lgkmcnt(0)
	s_barrier
	ds_read_b32 v4, v19 offset:32
	ds_read_b32 v5, v20 offset:32
	ds_read_b32 v15, v25 offset:32
	ds_read_b32 v17, v27 offset:32
	ds_read_b32 v19, v28 offset:32
	ds_read_b32 v33, v34 offset:32
	s_movk_i32 s12, 0x100
	v_cmp_gt_u32_e64 s[12:13], s12, v8
	v_pk_mov_b32 v[2:3], 0, 0
                                        ; implicit-def: $vgpr20
	s_and_saveexec_b64 s[16:17], s[12:13]
	s_cbranch_execz .LBB131_35
; %bb.32:
	v_mul_u32_u24_e32 v2, 9, v8
	v_lshlrev_b32_e32 v20, 2, v2
	ds_read_b32 v2, v20 offset:32
	s_movk_i32 s14, 0xff
	v_cmp_ne_u32_e64 s[14:15], s14, v8
	v_mov_b32_e32 v3, 0xc00
	s_and_saveexec_b64 s[18:19], s[14:15]
	s_cbranch_execz .LBB131_34
; %bb.33:
	ds_read_b32 v3, v20 offset:68
.LBB131_34:
	s_or_b64 exec, exec, s[18:19]
	s_waitcnt lgkmcnt(0)
	v_sub_u32_e32 v20, v3, v2
	v_mov_b32_e32 v3, 0
.LBB131_35:
	s_or_b64 exec, exec, s[16:17]
	s_waitcnt lgkmcnt(5)
	v_add_u32_e32 v28, v4, v18
	s_waitcnt lgkmcnt(4)
	v_add3_u32 v27, v22, v13, v5
	v_lshlrev_b32_e32 v4, 2, v28
	s_waitcnt lgkmcnt(3)
	v_add3_u32 v26, v26, v24, v15
	s_waitcnt lgkmcnt(0)
	s_barrier
	ds_write_b32 v4, v16 offset:2048
	v_lshlrev_b32_e32 v4, 2, v27
	v_add3_u32 v25, v29, v11, v17
	ds_write_b32 v4, v12 offset:2048
	v_lshlrev_b32_e32 v4, 2, v26
	v_add3_u32 v24, v31, v30, v19
	;; [unrolled: 3-line block ×3, first 2 shown]
	ds_write_b32 v4, v10 offset:2048
	v_lshlrev_b32_e32 v4, 2, v24
	ds_write_b32 v4, v6 offset:2048
	v_lshlrev_b32_e32 v4, 2, v22
	ds_write_b32 v4, v7 offset:2048
	s_waitcnt lgkmcnt(0)
	s_barrier
	s_and_saveexec_b64 s[16:17], s[12:13]
	s_cbranch_execz .LBB131_45
; %bb.36:
	v_lshl_or_b32 v4, s6, 8, v8
	v_mov_b32_e32 v5, 0
	v_lshlrev_b64 v[6:7], 2, v[4:5]
	v_mov_b32_e32 v12, s35
	v_add_co_u32_e64 v6, s[14:15], s34, v6
	v_addc_co_u32_e64 v7, s[14:15], v12, v7, s[14:15]
	v_or_b32_e32 v4, 2.0, v20
	s_mov_b64 s[18:19], 0
	s_brev_b32 s24, 1
	s_mov_b32 s25, s6
	v_mov_b32_e32 v13, 0
	global_store_dword v[6:7], v4, off
                                        ; implicit-def: $sgpr14_sgpr15
	s_branch .LBB131_38
.LBB131_37:                             ;   in Loop: Header=BB131_38 Depth=1
	s_or_b64 exec, exec, s[20:21]
	v_and_b32_e32 v10, 0x3fffffff, v15
	v_add_u32_e32 v13, v10, v13
	v_cmp_eq_u32_e64 s[14:15], s24, v4
	s_and_b64 s[20:21], exec, s[14:15]
	s_or_b64 s[18:19], s[20:21], s[18:19]
	s_andn2_b64 exec, exec, s[18:19]
	s_cbranch_execz .LBB131_44
.LBB131_38:                             ; =>This Loop Header: Depth=1
                                        ;     Child Loop BB131_41 Depth 2
	s_or_b64 s[14:15], s[14:15], exec
	s_cmp_eq_u32 s25, 0
	s_cbranch_scc1 .LBB131_43
; %bb.39:                               ;   in Loop: Header=BB131_38 Depth=1
	s_add_i32 s25, s25, -1
	v_lshl_or_b32 v4, s25, 8, v8
	v_lshlrev_b64 v[10:11], 2, v[4:5]
	v_add_co_u32_e64 v10, s[14:15], s34, v10
	v_addc_co_u32_e64 v11, s[14:15], v12, v11, s[14:15]
	global_load_dword v15, v[10:11], off glc
	s_waitcnt vmcnt(0)
	v_and_b32_e32 v4, -2.0, v15
	v_cmp_eq_u32_e64 s[14:15], 0, v4
	s_and_saveexec_b64 s[20:21], s[14:15]
	s_cbranch_execz .LBB131_37
; %bb.40:                               ;   in Loop: Header=BB131_38 Depth=1
	s_mov_b64 s[22:23], 0
.LBB131_41:                             ;   Parent Loop BB131_38 Depth=1
                                        ; =>  This Inner Loop Header: Depth=2
	global_load_dword v15, v[10:11], off glc
	s_waitcnt vmcnt(0)
	v_and_b32_e32 v4, -2.0, v15
	v_cmp_ne_u32_e64 s[14:15], 0, v4
	s_or_b64 s[22:23], s[14:15], s[22:23]
	s_andn2_b64 exec, exec, s[22:23]
	s_cbranch_execnz .LBB131_41
; %bb.42:                               ;   in Loop: Header=BB131_38 Depth=1
	s_or_b64 exec, exec, s[22:23]
	s_branch .LBB131_37
.LBB131_43:                             ;   in Loop: Header=BB131_38 Depth=1
                                        ; implicit-def: $sgpr25
	s_and_b64 s[20:21], exec, s[14:15]
	s_or_b64 s[18:19], s[20:21], s[18:19]
	s_andn2_b64 exec, exec, s[18:19]
	s_cbranch_execnz .LBB131_38
.LBB131_44:
	s_or_b64 exec, exec, s[18:19]
	v_add_u32_e32 v4, v13, v20
	v_or_b32_e32 v4, 0x80000000, v4
	global_store_dword v[6:7], v4, off
	v_lshlrev_b32_e32 v6, 3, v8
	global_load_dwordx2 v[4:5], v6, s[44:45]
	v_sub_co_u32_e64 v7, s[14:15], v13, v2
	v_subb_co_u32_e64 v10, s[14:15], 0, v3, s[14:15]
	s_waitcnt vmcnt(0)
	v_add_co_u32_e64 v4, s[14:15], v7, v4
	v_addc_co_u32_e64 v5, s[14:15], v10, v5, s[14:15]
	ds_write_b64 v6, v[4:5]
.LBB131_45:
	s_or_b64 exec, exec, s[16:17]
	v_cmp_gt_u32_e64 s[14:15], s50, v8
	s_waitcnt lgkmcnt(0)
	s_barrier
	s_and_saveexec_b64 s[18:19], s[14:15]
	s_cbranch_execz .LBB131_47
; %bb.46:
	ds_read_b32 v6, v21 offset:2048
	s_brev_b32 s16, 1
	v_bfrev_b32_e32 v7, -2
	v_mov_b32_e32 v10, s39
	s_waitcnt lgkmcnt(0)
	v_cmp_ne_u32_e64 s[16:17], s16, v6
	v_cndmask_b32_e64 v4, v7, v6, s[16:17]
	v_lshrrev_b32_e32 v4, s48, v4
	v_and_b32_e32 v4, s33, v4
	v_lshlrev_b32_e32 v4, 3, v4
	ds_read_b64 v[4:5], v4
	v_cmp_gt_i32_e64 s[16:17], 0, v6
	v_cndmask_b32_e64 v7, v7, 0, s[16:17]
	v_xor_b32_e32 v6, v7, v6
	s_waitcnt lgkmcnt(0)
	v_lshlrev_b64 v[4:5], 2, v[4:5]
	v_add_co_u32_e64 v4, s[16:17], s38, v4
	v_addc_co_u32_e64 v5, s[16:17], v10, v5, s[16:17]
	v_add_co_u32_e64 v4, s[16:17], v4, v21
	v_addc_co_u32_e64 v5, s[16:17], 0, v5, s[16:17]
	global_store_dword v[4:5], v6, off
.LBB131_47:
	s_or_b64 exec, exec, s[18:19]
	v_add_u32_e32 v23, 0x200, v8
	v_cmp_gt_u32_e64 s[16:17], s50, v23
	s_and_saveexec_b64 s[20:21], s[16:17]
	s_cbranch_execz .LBB131_49
; %bb.48:
	ds_read_b32 v6, v21 offset:4096
	s_brev_b32 s18, 1
	v_bfrev_b32_e32 v7, -2
	v_mov_b32_e32 v10, s39
	s_waitcnt lgkmcnt(0)
	v_cmp_ne_u32_e64 s[18:19], s18, v6
	v_cndmask_b32_e64 v4, v7, v6, s[18:19]
	v_lshrrev_b32_e32 v4, s48, v4
	v_and_b32_e32 v4, s33, v4
	v_lshlrev_b32_e32 v4, 3, v4
	ds_read_b64 v[4:5], v4
	v_cmp_gt_i32_e64 s[18:19], 0, v6
	v_cndmask_b32_e64 v7, v7, 0, s[18:19]
	v_xor_b32_e32 v6, v7, v6
	s_waitcnt lgkmcnt(0)
	v_lshlrev_b64 v[4:5], 2, v[4:5]
	v_add_co_u32_e64 v4, s[18:19], s38, v4
	v_addc_co_u32_e64 v5, s[18:19], v10, v5, s[18:19]
	v_add_co_u32_e64 v4, s[18:19], v4, v21
	v_addc_co_u32_e64 v5, s[18:19], 0, v5, s[18:19]
	global_store_dword v[4:5], v6, off offset:2048
.LBB131_49:
	s_or_b64 exec, exec, s[20:21]
	v_or_b32_e32 v29, 0x400, v8
	v_cmp_gt_u32_e64 s[18:19], s50, v29
	s_and_saveexec_b64 s[22:23], s[18:19]
	s_cbranch_execz .LBB131_51
; %bb.50:
	ds_read_b32 v6, v21 offset:6144
	s_brev_b32 s20, 1
	v_bfrev_b32_e32 v7, -2
	v_mov_b32_e32 v10, s39
	s_waitcnt lgkmcnt(0)
	v_cmp_ne_u32_e64 s[20:21], s20, v6
	v_cndmask_b32_e64 v4, v7, v6, s[20:21]
	v_lshrrev_b32_e32 v4, s48, v4
	v_and_b32_e32 v4, s33, v4
	v_lshlrev_b32_e32 v4, 3, v4
	ds_read_b64 v[4:5], v4
	v_cmp_gt_i32_e64 s[20:21], 0, v6
	v_cndmask_b32_e64 v7, v7, 0, s[20:21]
	v_xor_b32_e32 v6, v7, v6
	v_lshlrev_b32_e32 v7, 2, v29
	s_waitcnt lgkmcnt(0)
	v_lshlrev_b64 v[4:5], 2, v[4:5]
	v_add_co_u32_e64 v4, s[20:21], s38, v4
	v_addc_co_u32_e64 v5, s[20:21], v10, v5, s[20:21]
	v_add_co_u32_e64 v4, s[20:21], v4, v7
	v_addc_co_u32_e64 v5, s[20:21], 0, v5, s[20:21]
	global_store_dword v[4:5], v6, off
.LBB131_51:
	s_or_b64 exec, exec, s[22:23]
	v_add_u32_e32 v30, 0x600, v8
	v_cmp_gt_u32_e64 s[20:21], s50, v30
	s_and_saveexec_b64 s[24:25], s[20:21]
	s_cbranch_execz .LBB131_53
; %bb.52:
	ds_read_b32 v6, v21 offset:8192
	s_brev_b32 s22, 1
	v_bfrev_b32_e32 v7, -2
	v_mov_b32_e32 v10, s39
	s_waitcnt lgkmcnt(0)
	v_cmp_ne_u32_e64 s[22:23], s22, v6
	v_cndmask_b32_e64 v4, v7, v6, s[22:23]
	v_lshrrev_b32_e32 v4, s48, v4
	v_and_b32_e32 v4, s33, v4
	v_lshlrev_b32_e32 v4, 3, v4
	ds_read_b64 v[4:5], v4
	v_cmp_gt_i32_e64 s[22:23], 0, v6
	v_cndmask_b32_e64 v7, v7, 0, s[22:23]
	v_xor_b32_e32 v6, v7, v6
	v_lshlrev_b32_e32 v7, 2, v30
	s_waitcnt lgkmcnt(0)
	v_lshlrev_b64 v[4:5], 2, v[4:5]
	v_add_co_u32_e64 v4, s[22:23], s38, v4
	v_addc_co_u32_e64 v5, s[22:23], v10, v5, s[22:23]
	v_add_co_u32_e64 v4, s[22:23], v4, v7
	v_addc_co_u32_e64 v5, s[22:23], 0, v5, s[22:23]
	global_store_dword v[4:5], v6, off
.LBB131_53:
	s_or_b64 exec, exec, s[24:25]
	v_or_b32_e32 v31, 0x800, v8
	v_cmp_gt_u32_e64 s[22:23], s50, v31
	s_and_saveexec_b64 s[28:29], s[22:23]
	s_cbranch_execz .LBB131_55
; %bb.54:
	ds_read_b32 v6, v21 offset:10240
	s_brev_b32 s24, 1
	v_bfrev_b32_e32 v7, -2
	v_mov_b32_e32 v10, s39
	s_waitcnt lgkmcnt(0)
	v_cmp_ne_u32_e64 s[24:25], s24, v6
	v_cndmask_b32_e64 v4, v7, v6, s[24:25]
	v_lshrrev_b32_e32 v4, s48, v4
	v_and_b32_e32 v4, s33, v4
	v_lshlrev_b32_e32 v4, 3, v4
	ds_read_b64 v[4:5], v4
	v_cmp_gt_i32_e64 s[24:25], 0, v6
	v_cndmask_b32_e64 v7, v7, 0, s[24:25]
	v_xor_b32_e32 v6, v7, v6
	v_lshlrev_b32_e32 v7, 2, v31
	s_waitcnt lgkmcnt(0)
	v_lshlrev_b64 v[4:5], 2, v[4:5]
	v_add_co_u32_e64 v4, s[24:25], s38, v4
	v_addc_co_u32_e64 v5, s[24:25], v10, v5, s[24:25]
	v_add_co_u32_e64 v4, s[24:25], v4, v7
	v_addc_co_u32_e64 v5, s[24:25], 0, v5, s[24:25]
	global_store_dword v[4:5], v6, off
.LBB131_55:
	s_or_b64 exec, exec, s[28:29]
	v_add_u32_e32 v32, 0xa00, v8
	v_cmp_gt_u32_e64 s[24:25], s50, v32
	s_and_saveexec_b64 s[50:51], s[24:25]
	s_cbranch_execz .LBB131_57
; %bb.56:
	ds_read_b32 v6, v21 offset:12288
	s_brev_b32 s28, 1
	v_bfrev_b32_e32 v7, -2
	v_mov_b32_e32 v10, s39
	s_waitcnt lgkmcnt(0)
	v_cmp_ne_u32_e64 s[28:29], s28, v6
	v_cndmask_b32_e64 v4, v7, v6, s[28:29]
	v_lshrrev_b32_e32 v4, s48, v4
	v_and_b32_e32 v4, s33, v4
	v_lshlrev_b32_e32 v4, 3, v4
	ds_read_b64 v[4:5], v4
	v_cmp_gt_i32_e64 s[28:29], 0, v6
	v_cndmask_b32_e64 v7, v7, 0, s[28:29]
	v_xor_b32_e32 v6, v7, v6
	v_lshlrev_b32_e32 v7, 2, v32
	s_waitcnt lgkmcnt(0)
	v_lshlrev_b64 v[4:5], 2, v[4:5]
	v_add_co_u32_e64 v4, s[28:29], s38, v4
	v_addc_co_u32_e64 v5, s[28:29], v10, v5, s[28:29]
	v_add_co_u32_e64 v4, s[28:29], v4, v7
	v_addc_co_u32_e64 v5, s[28:29], 0, v5, s[28:29]
	global_store_dword v[4:5], v6, off
.LBB131_57:
	s_or_b64 exec, exec, s[50:51]
	s_lshl_b64 s[28:29], s[30:31], 3
	s_add_u32 s28, s40, s28
	s_addc_u32 s29, s41, s29
	v_lshlrev_b32_e32 v4, 3, v14
	v_mov_b32_e32 v5, s29
	v_add_co_u32_e64 v4, s[28:29], s28, v4
	v_addc_co_u32_e64 v5, s[28:29], 0, v5, s[28:29]
	v_lshlrev_b32_e32 v6, 3, v9
	v_add_co_u32_e64 v18, s[28:29], v4, v6
	v_addc_co_u32_e64 v19, s[28:29], 0, v5, s[28:29]
                                        ; implicit-def: $vgpr4_vgpr5
	s_and_saveexec_b64 s[28:29], vcc
	s_xor_b64 s[28:29], exec, s[28:29]
	s_cbranch_execnz .LBB131_127
; %bb.58:
	s_or_b64 exec, exec, s[28:29]
                                        ; implicit-def: $vgpr6_vgpr7
	s_and_saveexec_b64 s[28:29], s[0:1]
	s_cbranch_execnz .LBB131_128
.LBB131_59:
	s_or_b64 exec, exec, s[28:29]
                                        ; implicit-def: $vgpr10_vgpr11
	s_and_saveexec_b64 s[0:1], s[2:3]
	s_cbranch_execnz .LBB131_129
.LBB131_60:
	s_or_b64 exec, exec, s[0:1]
                                        ; implicit-def: $vgpr12_vgpr13
	s_and_saveexec_b64 s[0:1], s[26:27]
	s_cbranch_execnz .LBB131_130
.LBB131_61:
	s_or_b64 exec, exec, s[0:1]
                                        ; implicit-def: $vgpr14_vgpr15
	s_and_saveexec_b64 s[0:1], s[8:9]
	s_cbranch_execnz .LBB131_131
.LBB131_62:
	s_or_b64 exec, exec, s[0:1]
                                        ; implicit-def: $vgpr16_vgpr17
	s_and_saveexec_b64 s[0:1], s[10:11]
	s_cbranch_execz .LBB131_64
.LBB131_63:
	global_load_dwordx2 v[16:17], v[18:19], off offset:2560
.LBB131_64:
	s_or_b64 exec, exec, s[0:1]
	v_mov_b32_e32 v19, 0
	v_mov_b32_e32 v35, 0
	s_and_saveexec_b64 s[0:1], s[14:15]
	s_cbranch_execz .LBB131_66
; %bb.65:
	ds_read_b32 v9, v21 offset:2048
	s_brev_b32 s2, 1
	v_bfrev_b32_e32 v18, -2
	s_waitcnt lgkmcnt(0)
	v_cmp_ne_u32_e32 vcc, s2, v9
	v_cndmask_b32_e32 v9, v18, v9, vcc
	v_lshrrev_b32_e32 v9, s48, v9
	v_and_b32_e32 v35, s33, v9
.LBB131_66:
	s_or_b64 exec, exec, s[0:1]
	s_and_saveexec_b64 s[0:1], s[16:17]
	s_cbranch_execz .LBB131_68
; %bb.67:
	ds_read_b32 v9, v21 offset:4096
	s_brev_b32 s2, 1
	v_bfrev_b32_e32 v18, -2
	s_waitcnt lgkmcnt(0)
	v_cmp_ne_u32_e32 vcc, s2, v9
	v_cndmask_b32_e32 v9, v18, v9, vcc
	v_lshrrev_b32_e32 v9, s48, v9
	v_and_b32_e32 v19, s33, v9
.LBB131_68:
	s_or_b64 exec, exec, s[0:1]
	v_mov_b32_e32 v18, 0
	v_mov_b32_e32 v34, 0
	s_and_saveexec_b64 s[0:1], s[18:19]
	s_cbranch_execz .LBB131_70
; %bb.69:
	ds_read_b32 v9, v21 offset:6144
	s_brev_b32 s2, 1
	v_bfrev_b32_e32 v33, -2
	s_waitcnt lgkmcnt(0)
	v_cmp_ne_u32_e32 vcc, s2, v9
	v_cndmask_b32_e32 v9, v33, v9, vcc
	v_lshrrev_b32_e32 v9, s48, v9
	v_and_b32_e32 v34, s33, v9
.LBB131_70:
	s_or_b64 exec, exec, s[0:1]
	s_and_saveexec_b64 s[0:1], s[20:21]
	s_cbranch_execz .LBB131_72
; %bb.71:
	ds_read_b32 v9, v21 offset:8192
	s_brev_b32 s2, 1
	v_bfrev_b32_e32 v18, -2
	s_waitcnt lgkmcnt(0)
	v_cmp_ne_u32_e32 vcc, s2, v9
	v_cndmask_b32_e32 v9, v18, v9, vcc
	v_lshrrev_b32_e32 v9, s48, v9
	v_and_b32_e32 v18, s33, v9
.LBB131_72:
	;; [unrolled: 28-line block ×3, first 2 shown]
	s_or_b64 exec, exec, s[0:1]
	v_lshlrev_b32_e32 v21, 3, v28
	s_barrier
	s_waitcnt vmcnt(0)
	ds_write_b64 v21, v[4:5] offset:2048
	v_lshlrev_b32_e32 v4, 3, v27
	ds_write_b64 v4, v[6:7] offset:2048
	v_lshlrev_b32_e32 v4, 3, v26
	;; [unrolled: 2-line block ×6, first 2 shown]
	s_waitcnt lgkmcnt(0)
	s_barrier
	s_and_saveexec_b64 s[0:1], s[14:15]
	s_cbranch_execnz .LBB131_132
; %bb.77:
	s_or_b64 exec, exec, s[0:1]
	s_and_saveexec_b64 s[0:1], s[16:17]
	s_cbranch_execnz .LBB131_133
.LBB131_78:
	s_or_b64 exec, exec, s[0:1]
	s_and_saveexec_b64 s[0:1], s[18:19]
	s_cbranch_execnz .LBB131_134
.LBB131_79:
	s_or_b64 exec, exec, s[0:1]
	s_and_saveexec_b64 s[0:1], s[20:21]
	s_cbranch_execnz .LBB131_135
.LBB131_80:
	s_or_b64 exec, exec, s[0:1]
	s_and_saveexec_b64 s[0:1], s[22:23]
	s_cbranch_execnz .LBB131_136
.LBB131_81:
	s_or_b64 exec, exec, s[0:1]
	s_and_saveexec_b64 s[0:1], s[24:25]
	s_cbranch_execz .LBB131_83
.LBB131_82:
	v_lshlrev_b32_e32 v5, 3, v9
	ds_read_b64 v[6:7], v5
	ds_read_b64 v[4:5], v4 offset:22528
	v_mov_b32_e32 v9, s43
	s_waitcnt lgkmcnt(1)
	v_lshlrev_b64 v[6:7], 3, v[6:7]
	v_add_co_u32_e32 v6, vcc, s42, v6
	v_addc_co_u32_e32 v7, vcc, v9, v7, vcc
	v_lshlrev_b32_e32 v9, 3, v32
	v_add_co_u32_e32 v6, vcc, v6, v9
	v_addc_co_u32_e32 v7, vcc, 0, v7, vcc
	s_waitcnt lgkmcnt(0)
	global_store_dwordx2 v[6:7], v[4:5], off
.LBB131_83:
	s_or_b64 exec, exec, s[0:1]
	s_add_i32 s7, s7, -1
	s_cmp_eq_u32 s6, s7
	s_cselect_b64 s[0:1], -1, 0
	s_and_b64 s[2:3], s[12:13], s[0:1]
	s_mov_b64 s[0:1], 0
	s_mov_b64 s[8:9], 0
                                        ; implicit-def: $vgpr4_vgpr5
	s_and_saveexec_b64 s[10:11], s[2:3]
	s_xor_b64 s[2:3], exec, s[10:11]
; %bb.84:
	v_add_co_u32_e32 v4, vcc, v2, v20
	s_mov_b64 s[8:9], exec
	v_mov_b32_e32 v9, 0
	v_addc_co_u32_e32 v5, vcc, 0, v3, vcc
; %bb.85:
	s_or_b64 exec, exec, s[2:3]
	s_and_b64 vcc, exec, s[0:1]
	s_cbranch_vccnz .LBB131_87
	s_branch .LBB131_124
.LBB131_86:
	s_mov_b64 s[8:9], 0
                                        ; implicit-def: $vgpr4_vgpr5
                                        ; implicit-def: $vgpr8_vgpr9
	s_cbranch_execz .LBB131_124
.LBB131_87:
	s_mov_b32 s31, 0
	s_lshl_b64 s[0:1], s[30:31], 2
	v_mbcnt_hi_u32_b32 v11, -1, v1
	s_add_u32 s0, s36, s0
	v_lshlrev_b32_e32 v1, 2, v11
	v_and_b32_e32 v8, 0x3ff, v0
	v_add_co_u32_e32 v1, vcc, s0, v1
	s_load_dword s7, s[4:5], 0x50
	s_load_dword s0, s[4:5], 0x5c
	s_addc_u32 s1, s37, s1
	v_and_b32_e32 v6, 0x1c0, v8
	v_mul_u32_u24_e32 v10, 6, v6
	v_mov_b32_e32 v3, s1
	v_addc_co_u32_e32 v3, vcc, 0, v3, vcc
	v_lshlrev_b32_e32 v4, 2, v10
	v_add_co_u32_e32 v14, vcc, v1, v4
	s_add_u32 s1, s4, 0x50
	v_addc_co_u32_e32 v15, vcc, 0, v3, vcc
	s_addc_u32 s2, s5, 0
	s_waitcnt lgkmcnt(0)
	s_lshr_b32 s3, s0, 16
	global_load_dword v1, v[14:15], off
	s_cmp_lt_u32 s6, s7
	s_cselect_b32 s0, 12, 18
	s_add_u32 s0, s1, s0
	v_mov_b32_e32 v2, 0
	s_addc_u32 s1, s2, 0
	global_load_ushort v3, v2, s[0:1]
	v_mul_u32_u24_e32 v5, 5, v8
	v_lshlrev_b32_e32 v5, 2, v5
	ds_write2_b32 v5, v2, v2 offset0:8 offset1:9
	ds_write2_b32 v5, v2, v2 offset0:10 offset1:11
	ds_write_b32 v5, v2 offset:48
	global_load_dword v12, v[14:15], off offset:256
	global_load_dword v16, v[14:15], off offset:512
	;; [unrolled: 1-line block ×5, first 2 shown]
	v_bfrev_b32_e32 v13, -2
	v_bfe_u32 v4, v0, 10, 10
	v_bfe_u32 v0, v0, 20, 10
	v_mad_u32_u24 v0, v0, s3, v4
	s_brev_b32 s2, 1
	s_lshl_b32 s0, -1, s49
	s_not_b32 s14, s0
	s_waitcnt lgkmcnt(0)
	s_barrier
	s_waitcnt lgkmcnt(0)
	; wave barrier
	s_waitcnt vmcnt(6)
	v_cmp_gt_i32_e32 vcc, 0, v1
	v_cndmask_b32_e64 v4, v13, 0, vcc
	v_xor_b32_e32 v4, v4, v1
	v_cmp_ne_u32_e32 vcc, s2, v4
	v_cndmask_b32_e32 v7, v13, v4, vcc
	s_waitcnt vmcnt(5)
	v_mad_u64_u32 v[0:1], s[0:1], v0, v3, v[8:9]
	v_lshrrev_b32_e32 v1, s48, v7
	v_lshrrev_b32_e32 v19, 6, v0
	v_and_b32_e32 v0, s14, v1
	v_lshl_add_u32 v1, v0, 3, v0
	v_and_b32_e32 v9, 1, v0
	v_add_lshl_u32 v7, v19, v1, 2
	v_add_co_u32_e32 v1, vcc, -1, v9
	v_lshlrev_b32_e32 v3, 30, v0
	v_addc_co_u32_e64 v14, s[0:1], 0, -1, vcc
	v_cmp_ne_u32_e32 vcc, 0, v9
	v_cmp_gt_i64_e64 s[0:1], 0, v[2:3]
	v_not_b32_e32 v9, v3
	v_lshlrev_b32_e32 v3, 29, v0
	v_xor_b32_e32 v14, vcc_hi, v14
	v_xor_b32_e32 v1, vcc_lo, v1
	v_ashrrev_i32_e32 v9, 31, v9
	v_cmp_gt_i64_e32 vcc, 0, v[2:3]
	v_not_b32_e32 v15, v3
	v_lshlrev_b32_e32 v3, 28, v0
	v_and_b32_e32 v14, exec_hi, v14
	v_and_b32_e32 v1, exec_lo, v1
	v_xor_b32_e32 v17, s1, v9
	v_xor_b32_e32 v9, s0, v9
	v_ashrrev_i32_e32 v15, 31, v15
	v_cmp_gt_i64_e64 s[0:1], 0, v[2:3]
	v_not_b32_e32 v20, v3
	v_lshlrev_b32_e32 v3, 27, v0
	v_and_b32_e32 v14, v14, v17
	v_and_b32_e32 v1, v1, v9
	v_xor_b32_e32 v9, vcc_hi, v15
	v_xor_b32_e32 v15, vcc_lo, v15
	v_ashrrev_i32_e32 v17, 31, v20
	v_cmp_gt_i64_e32 vcc, 0, v[2:3]
	v_not_b32_e32 v3, v3
	v_and_b32_e32 v9, v14, v9
	v_and_b32_e32 v1, v1, v15
	v_xor_b32_e32 v14, s1, v17
	v_xor_b32_e32 v15, s0, v17
	v_ashrrev_i32_e32 v3, 31, v3
	v_and_b32_e32 v9, v9, v14
	v_and_b32_e32 v1, v1, v15
	v_xor_b32_e32 v14, vcc_hi, v3
	v_xor_b32_e32 v3, vcc_lo, v3
	v_and_b32_e32 v1, v1, v3
	v_lshlrev_b32_e32 v3, 26, v0
	v_cmp_gt_i64_e32 vcc, 0, v[2:3]
	v_not_b32_e32 v3, v3
	v_ashrrev_i32_e32 v3, 31, v3
	v_and_b32_e32 v9, v9, v14
	v_xor_b32_e32 v14, vcc_hi, v3
	v_xor_b32_e32 v3, vcc_lo, v3
	v_and_b32_e32 v1, v1, v3
	v_lshlrev_b32_e32 v3, 25, v0
	v_cmp_gt_i64_e32 vcc, 0, v[2:3]
	v_not_b32_e32 v3, v3
	v_ashrrev_i32_e32 v3, 31, v3
	v_and_b32_e32 v9, v9, v14
	v_xor_b32_e32 v14, vcc_hi, v3
	v_xor_b32_e32 v3, vcc_lo, v3
	v_and_b32_e32 v9, v9, v14
	v_and_b32_e32 v14, v1, v3
	v_lshlrev_b32_e32 v3, 24, v0
	v_not_b32_e32 v0, v3
	v_cmp_gt_i64_e32 vcc, 0, v[2:3]
	v_ashrrev_i32_e32 v0, 31, v0
	v_xor_b32_e32 v1, vcc_hi, v0
	v_xor_b32_e32 v0, vcc_lo, v0
	v_and_b32_e32 v0, v14, v0
	v_and_b32_e32 v1, v9, v1
	v_mbcnt_lo_u32_b32 v3, v0, 0
	v_mbcnt_hi_u32_b32 v9, v1, v3
	v_cmp_eq_u32_e32 vcc, 0, v9
	v_cmp_ne_u64_e64 s[0:1], 0, v[0:1]
	s_and_b64 s[4:5], s[0:1], vcc
	s_and_saveexec_b64 s[0:1], s[4:5]
	s_cbranch_execz .LBB131_89
; %bb.88:
	v_bcnt_u32_b32 v0, v0, 0
	v_bcnt_u32_b32 v0, v1, v0
	ds_write_b32 v7, v0 offset:32
.LBB131_89:
	s_or_b64 exec, exec, s[0:1]
	s_waitcnt vmcnt(4)
	v_cmp_gt_i32_e32 vcc, 0, v12
	v_cndmask_b32_e64 v0, v13, 0, vcc
	v_xor_b32_e32 v12, v0, v12
	v_cmp_ne_u32_e32 vcc, s2, v12
	v_cndmask_b32_e32 v0, v13, v12, vcc
	v_lshrrev_b32_e32 v0, s48, v0
	v_and_b32_e32 v0, s14, v0
	v_lshl_add_u32 v1, v0, 3, v0
	v_add_lshl_u32 v14, v19, v1, 2
	v_and_b32_e32 v1, 1, v0
	v_add_co_u32_e32 v3, vcc, -1, v1
	v_addc_co_u32_e64 v15, s[0:1], 0, -1, vcc
	v_cmp_ne_u32_e32 vcc, 0, v1
	v_xor_b32_e32 v3, vcc_lo, v3
	v_xor_b32_e32 v1, vcc_hi, v15
	v_and_b32_e32 v15, exec_lo, v3
	v_lshlrev_b32_e32 v3, 30, v0
	v_cmp_gt_i64_e32 vcc, 0, v[2:3]
	v_not_b32_e32 v3, v3
	v_ashrrev_i32_e32 v3, 31, v3
	v_xor_b32_e32 v17, vcc_hi, v3
	v_xor_b32_e32 v3, vcc_lo, v3
	v_and_b32_e32 v15, v15, v3
	v_lshlrev_b32_e32 v3, 29, v0
	v_cmp_gt_i64_e32 vcc, 0, v[2:3]
	v_not_b32_e32 v3, v3
	v_and_b32_e32 v1, exec_hi, v1
	v_ashrrev_i32_e32 v3, 31, v3
	v_and_b32_e32 v1, v1, v17
	v_xor_b32_e32 v17, vcc_hi, v3
	v_xor_b32_e32 v3, vcc_lo, v3
	v_and_b32_e32 v15, v15, v3
	v_lshlrev_b32_e32 v3, 28, v0
	v_cmp_gt_i64_e32 vcc, 0, v[2:3]
	v_not_b32_e32 v3, v3
	v_ashrrev_i32_e32 v3, 31, v3
	v_and_b32_e32 v1, v1, v17
	v_xor_b32_e32 v17, vcc_hi, v3
	v_xor_b32_e32 v3, vcc_lo, v3
	v_and_b32_e32 v15, v15, v3
	v_lshlrev_b32_e32 v3, 27, v0
	v_cmp_gt_i64_e32 vcc, 0, v[2:3]
	v_not_b32_e32 v3, v3
	;; [unrolled: 8-line block ×4, first 2 shown]
	v_ashrrev_i32_e32 v3, 31, v3
	v_and_b32_e32 v1, v1, v17
	v_xor_b32_e32 v17, vcc_hi, v3
	v_xor_b32_e32 v3, vcc_lo, v3
	v_and_b32_e32 v15, v15, v3
	v_lshlrev_b32_e32 v3, 24, v0
	v_not_b32_e32 v0, v3
	v_cmp_gt_i64_e32 vcc, 0, v[2:3]
	v_ashrrev_i32_e32 v0, 31, v0
	v_xor_b32_e32 v2, vcc_hi, v0
	v_xor_b32_e32 v0, vcc_lo, v0
	; wave barrier
	ds_read_b32 v13, v14 offset:32
	v_and_b32_e32 v1, v1, v17
	v_and_b32_e32 v0, v15, v0
	;; [unrolled: 1-line block ×3, first 2 shown]
	v_mbcnt_lo_u32_b32 v2, v0, 0
	v_mbcnt_hi_u32_b32 v15, v1, v2
	v_cmp_eq_u32_e32 vcc, 0, v15
	v_cmp_ne_u64_e64 s[0:1], 0, v[0:1]
	s_and_b64 s[2:3], s[0:1], vcc
	; wave barrier
	s_and_saveexec_b64 s[0:1], s[2:3]
	s_cbranch_execz .LBB131_91
; %bb.90:
	v_bcnt_u32_b32 v0, v0, 0
	v_bcnt_u32_b32 v0, v1, v0
	s_waitcnt lgkmcnt(0)
	v_add_u32_e32 v0, v13, v0
	ds_write_b32 v14, v0 offset:32
.LBB131_91:
	s_or_b64 exec, exec, s[0:1]
	v_bfrev_b32_e32 v23, -2
	s_waitcnt vmcnt(3)
	v_cmp_gt_i32_e32 vcc, 0, v16
	v_cndmask_b32_e64 v1, v23, 0, vcc
	v_xor_b32_e32 v16, v1, v16
	s_brev_b32 s2, 1
	v_cmp_ne_u32_e32 vcc, s2, v16
	v_cndmask_b32_e32 v1, v23, v16, vcc
	v_lshrrev_b32_e32 v1, s48, v1
	v_and_b32_e32 v2, s14, v1
	v_lshl_add_u32 v1, v2, 3, v2
	v_add_lshl_u32 v20, v19, v1, 2
	v_and_b32_e32 v1, 1, v2
	v_add_co_u32_e32 v3, vcc, -1, v1
	v_addc_co_u32_e64 v21, s[0:1], 0, -1, vcc
	v_cmp_ne_u32_e32 vcc, 0, v1
	v_xor_b32_e32 v1, vcc_hi, v21
	v_mov_b32_e32 v0, 0
	v_and_b32_e32 v21, exec_hi, v1
	v_lshlrev_b32_e32 v1, 30, v2
	v_xor_b32_e32 v3, vcc_lo, v3
	v_cmp_gt_i64_e32 vcc, 0, v[0:1]
	v_not_b32_e32 v1, v1
	v_ashrrev_i32_e32 v1, 31, v1
	v_and_b32_e32 v3, exec_lo, v3
	v_xor_b32_e32 v25, vcc_hi, v1
	v_xor_b32_e32 v1, vcc_lo, v1
	v_and_b32_e32 v3, v3, v1
	v_lshlrev_b32_e32 v1, 29, v2
	v_cmp_gt_i64_e32 vcc, 0, v[0:1]
	v_not_b32_e32 v1, v1
	v_ashrrev_i32_e32 v1, 31, v1
	v_and_b32_e32 v21, v21, v25
	v_xor_b32_e32 v25, vcc_hi, v1
	v_xor_b32_e32 v1, vcc_lo, v1
	v_and_b32_e32 v3, v3, v1
	v_lshlrev_b32_e32 v1, 28, v2
	v_cmp_gt_i64_e32 vcc, 0, v[0:1]
	v_not_b32_e32 v1, v1
	v_ashrrev_i32_e32 v1, 31, v1
	v_and_b32_e32 v21, v21, v25
	;; [unrolled: 8-line block ×5, first 2 shown]
	v_xor_b32_e32 v25, vcc_hi, v1
	v_xor_b32_e32 v1, vcc_lo, v1
	v_and_b32_e32 v21, v21, v25
	v_and_b32_e32 v25, v3, v1
	v_lshlrev_b32_e32 v1, 24, v2
	v_cmp_gt_i64_e32 vcc, 0, v[0:1]
	v_not_b32_e32 v1, v1
	v_ashrrev_i32_e32 v1, 31, v1
	v_xor_b32_e32 v2, vcc_hi, v1
	v_xor_b32_e32 v1, vcc_lo, v1
	; wave barrier
	ds_read_b32 v17, v20 offset:32
	v_and_b32_e32 v3, v21, v2
	v_and_b32_e32 v2, v25, v1
	v_mbcnt_lo_u32_b32 v1, v2, 0
	v_mbcnt_hi_u32_b32 v21, v3, v1
	v_cmp_eq_u32_e32 vcc, 0, v21
	v_cmp_ne_u64_e64 s[0:1], 0, v[2:3]
	s_and_b64 s[4:5], s[0:1], vcc
	; wave barrier
	s_and_saveexec_b64 s[0:1], s[4:5]
	s_cbranch_execz .LBB131_93
; %bb.92:
	v_bcnt_u32_b32 v1, v2, 0
	v_bcnt_u32_b32 v1, v3, v1
	s_waitcnt lgkmcnt(0)
	v_add_u32_e32 v1, v17, v1
	ds_write_b32 v20, v1 offset:32
.LBB131_93:
	s_or_b64 exec, exec, s[0:1]
	s_waitcnt vmcnt(2)
	v_cmp_gt_i32_e32 vcc, 0, v22
	v_cndmask_b32_e64 v1, v23, 0, vcc
	v_xor_b32_e32 v22, v1, v22
	v_cmp_ne_u32_e32 vcc, s2, v22
	v_cndmask_b32_e32 v1, v23, v22, vcc
	v_lshrrev_b32_e32 v1, s48, v1
	v_and_b32_e32 v2, s14, v1
	v_lshl_add_u32 v1, v2, 3, v2
	v_add_lshl_u32 v25, v19, v1, 2
	v_and_b32_e32 v1, 1, v2
	v_add_co_u32_e32 v3, vcc, -1, v1
	v_addc_co_u32_e64 v26, s[0:1], 0, -1, vcc
	v_cmp_ne_u32_e32 vcc, 0, v1
	v_xor_b32_e32 v1, vcc_hi, v26
	v_and_b32_e32 v26, exec_hi, v1
	v_lshlrev_b32_e32 v1, 30, v2
	v_xor_b32_e32 v3, vcc_lo, v3
	v_cmp_gt_i64_e32 vcc, 0, v[0:1]
	v_not_b32_e32 v1, v1
	v_ashrrev_i32_e32 v1, 31, v1
	v_and_b32_e32 v3, exec_lo, v3
	v_xor_b32_e32 v27, vcc_hi, v1
	v_xor_b32_e32 v1, vcc_lo, v1
	v_and_b32_e32 v3, v3, v1
	v_lshlrev_b32_e32 v1, 29, v2
	v_cmp_gt_i64_e32 vcc, 0, v[0:1]
	v_not_b32_e32 v1, v1
	v_ashrrev_i32_e32 v1, 31, v1
	v_and_b32_e32 v26, v26, v27
	v_xor_b32_e32 v27, vcc_hi, v1
	v_xor_b32_e32 v1, vcc_lo, v1
	v_and_b32_e32 v3, v3, v1
	v_lshlrev_b32_e32 v1, 28, v2
	v_cmp_gt_i64_e32 vcc, 0, v[0:1]
	v_not_b32_e32 v1, v1
	v_ashrrev_i32_e32 v1, 31, v1
	v_and_b32_e32 v26, v26, v27
	;; [unrolled: 8-line block ×5, first 2 shown]
	v_xor_b32_e32 v27, vcc_hi, v1
	v_xor_b32_e32 v1, vcc_lo, v1
	v_and_b32_e32 v3, v3, v1
	v_lshlrev_b32_e32 v1, 24, v2
	v_cmp_gt_i64_e32 vcc, 0, v[0:1]
	v_not_b32_e32 v0, v1
	v_ashrrev_i32_e32 v0, 31, v0
	v_xor_b32_e32 v1, vcc_hi, v0
	v_xor_b32_e32 v0, vcc_lo, v0
	; wave barrier
	ds_read_b32 v23, v25 offset:32
	v_and_b32_e32 v26, v26, v27
	v_and_b32_e32 v0, v3, v0
	;; [unrolled: 1-line block ×3, first 2 shown]
	v_mbcnt_lo_u32_b32 v2, v0, 0
	v_mbcnt_hi_u32_b32 v26, v1, v2
	v_cmp_eq_u32_e32 vcc, 0, v26
	v_cmp_ne_u64_e64 s[0:1], 0, v[0:1]
	s_and_b64 s[2:3], s[0:1], vcc
	; wave barrier
	s_and_saveexec_b64 s[0:1], s[2:3]
	s_cbranch_execz .LBB131_95
; %bb.94:
	v_bcnt_u32_b32 v0, v0, 0
	v_bcnt_u32_b32 v0, v1, v0
	s_waitcnt lgkmcnt(0)
	v_add_u32_e32 v0, v23, v0
	ds_write_b32 v25, v0 offset:32
.LBB131_95:
	s_or_b64 exec, exec, s[0:1]
	v_bfrev_b32_e32 v31, -2
	s_waitcnt vmcnt(1)
	v_cmp_gt_i32_e32 vcc, 0, v24
	v_cndmask_b32_e64 v1, v31, 0, vcc
	v_xor_b32_e32 v27, v1, v24
	s_brev_b32 s2, 1
	v_cmp_ne_u32_e32 vcc, s2, v27
	v_cndmask_b32_e32 v1, v31, v27, vcc
	v_lshrrev_b32_e32 v1, s48, v1
	v_and_b32_e32 v2, s14, v1
	v_lshl_add_u32 v1, v2, 3, v2
	v_add_lshl_u32 v24, v19, v1, 2
	v_and_b32_e32 v1, 1, v2
	v_add_co_u32_e32 v3, vcc, -1, v1
	v_addc_co_u32_e64 v29, s[0:1], 0, -1, vcc
	v_cmp_ne_u32_e32 vcc, 0, v1
	v_xor_b32_e32 v1, vcc_hi, v29
	v_mov_b32_e32 v0, 0
	v_and_b32_e32 v29, exec_hi, v1
	v_lshlrev_b32_e32 v1, 30, v2
	v_xor_b32_e32 v3, vcc_lo, v3
	v_cmp_gt_i64_e32 vcc, 0, v[0:1]
	v_not_b32_e32 v1, v1
	v_ashrrev_i32_e32 v1, 31, v1
	v_and_b32_e32 v3, exec_lo, v3
	v_xor_b32_e32 v30, vcc_hi, v1
	v_xor_b32_e32 v1, vcc_lo, v1
	v_and_b32_e32 v3, v3, v1
	v_lshlrev_b32_e32 v1, 29, v2
	v_cmp_gt_i64_e32 vcc, 0, v[0:1]
	v_not_b32_e32 v1, v1
	v_ashrrev_i32_e32 v1, 31, v1
	v_and_b32_e32 v29, v29, v30
	v_xor_b32_e32 v30, vcc_hi, v1
	v_xor_b32_e32 v1, vcc_lo, v1
	v_and_b32_e32 v3, v3, v1
	v_lshlrev_b32_e32 v1, 28, v2
	v_cmp_gt_i64_e32 vcc, 0, v[0:1]
	v_not_b32_e32 v1, v1
	v_ashrrev_i32_e32 v1, 31, v1
	v_and_b32_e32 v29, v29, v30
	v_xor_b32_e32 v30, vcc_hi, v1
	v_xor_b32_e32 v1, vcc_lo, v1
	v_and_b32_e32 v3, v3, v1
	v_lshlrev_b32_e32 v1, 27, v2
	v_cmp_gt_i64_e32 vcc, 0, v[0:1]
	v_not_b32_e32 v1, v1
	v_ashrrev_i32_e32 v1, 31, v1
	v_and_b32_e32 v29, v29, v30
	v_xor_b32_e32 v30, vcc_hi, v1
	v_xor_b32_e32 v1, vcc_lo, v1
	v_and_b32_e32 v3, v3, v1
	v_lshlrev_b32_e32 v1, 26, v2
	v_cmp_gt_i64_e32 vcc, 0, v[0:1]
	v_not_b32_e32 v1, v1
	v_ashrrev_i32_e32 v1, 31, v1
	v_and_b32_e32 v29, v29, v30
	v_xor_b32_e32 v30, vcc_hi, v1
	v_xor_b32_e32 v1, vcc_lo, v1
	v_and_b32_e32 v3, v3, v1
	v_lshlrev_b32_e32 v1, 25, v2
	v_cmp_gt_i64_e32 vcc, 0, v[0:1]
	v_not_b32_e32 v1, v1
	v_ashrrev_i32_e32 v1, 31, v1
	v_and_b32_e32 v29, v29, v30
	v_xor_b32_e32 v30, vcc_hi, v1
	v_xor_b32_e32 v1, vcc_lo, v1
	v_and_b32_e32 v29, v29, v30
	v_and_b32_e32 v30, v3, v1
	v_lshlrev_b32_e32 v1, 24, v2
	v_cmp_gt_i64_e32 vcc, 0, v[0:1]
	v_not_b32_e32 v1, v1
	v_ashrrev_i32_e32 v1, 31, v1
	v_xor_b32_e32 v2, vcc_hi, v1
	v_xor_b32_e32 v1, vcc_lo, v1
	; wave barrier
	ds_read_b32 v28, v24 offset:32
	v_and_b32_e32 v3, v29, v2
	v_and_b32_e32 v2, v30, v1
	v_mbcnt_lo_u32_b32 v1, v2, 0
	v_mbcnt_hi_u32_b32 v29, v3, v1
	v_cmp_eq_u32_e32 vcc, 0, v29
	v_cmp_ne_u64_e64 s[0:1], 0, v[2:3]
	s_and_b64 s[4:5], s[0:1], vcc
	; wave barrier
	s_and_saveexec_b64 s[0:1], s[4:5]
	s_cbranch_execz .LBB131_97
; %bb.96:
	v_bcnt_u32_b32 v1, v2, 0
	v_bcnt_u32_b32 v1, v3, v1
	s_waitcnt lgkmcnt(0)
	v_add_u32_e32 v1, v28, v1
	ds_write_b32 v24, v1 offset:32
.LBB131_97:
	s_or_b64 exec, exec, s[0:1]
	s_waitcnt vmcnt(0)
	v_cmp_gt_i32_e32 vcc, 0, v18
	v_cndmask_b32_e64 v1, v31, 0, vcc
	v_xor_b32_e32 v30, v1, v18
	v_cmp_ne_u32_e32 vcc, s2, v30
	v_cndmask_b32_e32 v1, v31, v30, vcc
	v_lshrrev_b32_e32 v1, s48, v1
	v_and_b32_e32 v2, s14, v1
	v_lshl_add_u32 v1, v2, 3, v2
	v_add_lshl_u32 v19, v1, v19, 2
	v_and_b32_e32 v1, 1, v2
	v_add_co_u32_e32 v3, vcc, -1, v1
	v_addc_co_u32_e64 v18, s[0:1], 0, -1, vcc
	v_cmp_ne_u32_e32 vcc, 0, v1
	v_xor_b32_e32 v1, vcc_hi, v18
	v_and_b32_e32 v18, exec_hi, v1
	v_lshlrev_b32_e32 v1, 30, v2
	v_xor_b32_e32 v3, vcc_lo, v3
	v_cmp_gt_i64_e32 vcc, 0, v[0:1]
	v_not_b32_e32 v1, v1
	v_ashrrev_i32_e32 v1, 31, v1
	v_and_b32_e32 v3, exec_lo, v3
	v_xor_b32_e32 v33, vcc_hi, v1
	v_xor_b32_e32 v1, vcc_lo, v1
	v_and_b32_e32 v3, v3, v1
	v_lshlrev_b32_e32 v1, 29, v2
	v_cmp_gt_i64_e32 vcc, 0, v[0:1]
	v_not_b32_e32 v1, v1
	v_ashrrev_i32_e32 v1, 31, v1
	v_and_b32_e32 v18, v18, v33
	v_xor_b32_e32 v33, vcc_hi, v1
	v_xor_b32_e32 v1, vcc_lo, v1
	v_and_b32_e32 v3, v3, v1
	v_lshlrev_b32_e32 v1, 28, v2
	v_cmp_gt_i64_e32 vcc, 0, v[0:1]
	v_not_b32_e32 v1, v1
	v_ashrrev_i32_e32 v1, 31, v1
	v_and_b32_e32 v18, v18, v33
	;; [unrolled: 8-line block ×5, first 2 shown]
	v_xor_b32_e32 v33, vcc_hi, v1
	v_xor_b32_e32 v1, vcc_lo, v1
	v_and_b32_e32 v3, v3, v1
	v_lshlrev_b32_e32 v1, 24, v2
	v_cmp_gt_i64_e32 vcc, 0, v[0:1]
	v_not_b32_e32 v0, v1
	v_ashrrev_i32_e32 v0, 31, v0
	v_xor_b32_e32 v1, vcc_hi, v0
	v_xor_b32_e32 v0, vcc_lo, v0
	; wave barrier
	ds_read_b32 v31, v19 offset:32
	v_and_b32_e32 v18, v18, v33
	v_and_b32_e32 v0, v3, v0
	;; [unrolled: 1-line block ×3, first 2 shown]
	v_mbcnt_lo_u32_b32 v2, v0, 0
	v_mbcnt_hi_u32_b32 v33, v1, v2
	v_cmp_eq_u32_e32 vcc, 0, v33
	v_cmp_ne_u64_e64 s[0:1], 0, v[0:1]
	v_add_u32_e32 v32, 32, v5
	s_and_b64 s[2:3], s[0:1], vcc
	; wave barrier
	s_and_saveexec_b64 s[0:1], s[2:3]
	s_cbranch_execz .LBB131_99
; %bb.98:
	v_bcnt_u32_b32 v0, v0, 0
	v_bcnt_u32_b32 v0, v1, v0
	s_waitcnt lgkmcnt(0)
	v_add_u32_e32 v0, v31, v0
	ds_write_b32 v19, v0 offset:32
.LBB131_99:
	s_or_b64 exec, exec, s[0:1]
	; wave barrier
	s_waitcnt lgkmcnt(0)
	s_barrier
	ds_read2_b32 v[2:3], v5 offset0:8 offset1:9
	ds_read2_b32 v[0:1], v32 offset0:2 offset1:3
	ds_read_b32 v18, v32 offset:16
	v_min_u32_e32 v6, 0x1c0, v6
	v_or_b32_e32 v6, 63, v6
	s_waitcnt lgkmcnt(1)
	v_add3_u32 v34, v3, v2, v0
	s_waitcnt lgkmcnt(0)
	v_add3_u32 v18, v34, v1, v18
	v_and_b32_e32 v34, 15, v11
	v_cmp_ne_u32_e32 vcc, 0, v34
	v_mov_b32_dpp v35, v18 row_shr:1 row_mask:0xf bank_mask:0xf
	v_cndmask_b32_e32 v35, 0, v35, vcc
	v_add_u32_e32 v18, v35, v18
	v_cmp_lt_u32_e32 vcc, 1, v34
	s_nop 0
	v_mov_b32_dpp v35, v18 row_shr:2 row_mask:0xf bank_mask:0xf
	v_cndmask_b32_e32 v35, 0, v35, vcc
	v_add_u32_e32 v18, v18, v35
	v_cmp_lt_u32_e32 vcc, 3, v34
	s_nop 0
	;; [unrolled: 5-line block ×3, first 2 shown]
	v_mov_b32_dpp v35, v18 row_shr:8 row_mask:0xf bank_mask:0xf
	v_cndmask_b32_e32 v34, 0, v35, vcc
	v_add_u32_e32 v18, v18, v34
	v_bfe_i32 v35, v11, 4, 1
	v_cmp_lt_u32_e32 vcc, 31, v11
	v_mov_b32_dpp v34, v18 row_bcast:15 row_mask:0xf bank_mask:0xf
	v_and_b32_e32 v34, v35, v34
	v_add_u32_e32 v18, v18, v34
	v_lshrrev_b32_e32 v35, 6, v8
	s_nop 0
	v_mov_b32_dpp v34, v18 row_bcast:31 row_mask:0xf bank_mask:0xf
	v_cndmask_b32_e32 v34, 0, v34, vcc
	v_add_u32_e32 v34, v18, v34
	v_cmp_eq_u32_e32 vcc, v6, v8
	s_and_saveexec_b64 s[0:1], vcc
	s_cbranch_execz .LBB131_101
; %bb.100:
	v_lshlrev_b32_e32 v6, 2, v35
	ds_write_b32 v6, v34
.LBB131_101:
	s_or_b64 exec, exec, s[0:1]
	v_cmp_gt_u32_e32 vcc, 8, v8
	v_lshlrev_b32_e32 v18, 2, v8
	s_waitcnt lgkmcnt(0)
	s_barrier
	s_and_saveexec_b64 s[0:1], vcc
	s_cbranch_execz .LBB131_103
; %bb.102:
	ds_read_b32 v6, v18
	v_and_b32_e32 v36, 7, v11
	v_cmp_ne_u32_e32 vcc, 0, v36
	s_waitcnt lgkmcnt(0)
	v_mov_b32_dpp v37, v6 row_shr:1 row_mask:0xf bank_mask:0xf
	v_cndmask_b32_e32 v37, 0, v37, vcc
	v_add_u32_e32 v6, v37, v6
	v_cmp_lt_u32_e32 vcc, 1, v36
	s_nop 0
	v_mov_b32_dpp v37, v6 row_shr:2 row_mask:0xf bank_mask:0xf
	v_cndmask_b32_e32 v37, 0, v37, vcc
	v_add_u32_e32 v6, v6, v37
	v_cmp_lt_u32_e32 vcc, 3, v36
	s_nop 0
	v_mov_b32_dpp v37, v6 row_shr:4 row_mask:0xf bank_mask:0xf
	v_cndmask_b32_e32 v36, 0, v37, vcc
	v_add_u32_e32 v6, v6, v36
	ds_write_b32 v18, v6
.LBB131_103:
	s_or_b64 exec, exec, s[0:1]
	v_cmp_lt_u32_e32 vcc, 63, v8
	v_mov_b32_e32 v6, 0
	s_waitcnt lgkmcnt(0)
	s_barrier
	s_and_saveexec_b64 s[0:1], vcc
	s_cbranch_execz .LBB131_105
; %bb.104:
	v_lshl_add_u32 v6, v35, 2, -4
	ds_read_b32 v6, v6
.LBB131_105:
	s_or_b64 exec, exec, s[0:1]
	v_add_u32_e32 v35, -1, v11
	v_and_b32_e32 v36, 64, v11
	v_cmp_lt_i32_e32 vcc, v35, v36
	v_cndmask_b32_e32 v35, v35, v11, vcc
	s_waitcnt lgkmcnt(0)
	v_add_u32_e32 v34, v6, v34
	v_lshlrev_b32_e32 v35, 2, v35
	ds_bpermute_b32 v34, v35, v34
	v_cmp_eq_u32_e32 vcc, 0, v11
	s_movk_i32 s2, 0xff
	s_movk_i32 s3, 0x100
	v_cmp_lt_u32_e64 s[0:1], s2, v8
	s_waitcnt lgkmcnt(0)
	v_cndmask_b32_e32 v6, v34, v6, vcc
	v_cmp_ne_u32_e32 vcc, 0, v8
	v_cndmask_b32_e32 v6, 0, v6, vcc
	v_add_u32_e32 v2, v6, v2
	v_add_u32_e32 v3, v2, v3
	;; [unrolled: 1-line block ×4, first 2 shown]
	ds_write2_b32 v5, v6, v2 offset0:8 offset1:9
	ds_write2_b32 v32, v3, v0 offset0:2 offset1:3
	ds_write_b32 v32, v1 offset:16
	s_waitcnt lgkmcnt(0)
	s_barrier
	ds_read_b32 v2, v7 offset:32
	ds_read_b32 v3, v14 offset:32
	;; [unrolled: 1-line block ×6, first 2 shown]
	v_cmp_gt_u32_e32 vcc, s3, v8
	v_pk_mov_b32 v[0:1], 0, 0
                                        ; implicit-def: $vgpr14
	s_and_saveexec_b64 s[4:5], vcc
	s_cbranch_execz .LBB131_109
; %bb.106:
	v_mul_u32_u24_e32 v0, 9, v8
	v_lshlrev_b32_e32 v14, 2, v0
	ds_read_b32 v0, v14 offset:32
	v_cmp_ne_u32_e64 s[2:3], s2, v8
	v_mov_b32_e32 v1, 0xc00
	s_and_saveexec_b64 s[10:11], s[2:3]
	s_cbranch_execz .LBB131_108
; %bb.107:
	ds_read_b32 v1, v14 offset:68
.LBB131_108:
	s_or_b64 exec, exec, s[10:11]
	s_waitcnt lgkmcnt(0)
	v_sub_u32_e32 v14, v1, v0
	v_mov_b32_e32 v1, 0
.LBB131_109:
	s_or_b64 exec, exec, s[4:5]
	s_waitcnt lgkmcnt(5)
	v_add_u32_e32 v24, v2, v9
	s_waitcnt lgkmcnt(4)
	v_add3_u32 v20, v15, v13, v3
	v_lshlrev_b32_e32 v2, 2, v24
	s_waitcnt lgkmcnt(3)
	v_add3_u32 v19, v21, v17, v5
	s_waitcnt lgkmcnt(0)
	s_barrier
	ds_write_b32 v2, v4 offset:2048
	v_lshlrev_b32_e32 v2, 2, v20
	v_add3_u32 v17, v26, v23, v6
	ds_write_b32 v2, v12 offset:2048
	v_lshlrev_b32_e32 v2, 2, v19
	v_add3_u32 v15, v29, v28, v7
	;; [unrolled: 3-line block ×3, first 2 shown]
	ds_write_b32 v2, v22 offset:2048
	v_lshlrev_b32_e32 v2, 2, v15
	ds_write_b32 v2, v27 offset:2048
	v_lshlrev_b32_e32 v2, 2, v13
	ds_write_b32 v2, v30 offset:2048
	s_waitcnt lgkmcnt(0)
	s_barrier
	s_and_saveexec_b64 s[2:3], s[0:1]
	s_xor_b64 s[0:1], exec, s[2:3]
; %bb.110:
	v_mov_b32_e32 v9, 0
; %bb.111:
	s_andn2_saveexec_b64 s[2:3], s[0:1]
	s_cbranch_execz .LBB131_121
; %bb.112:
	v_lshl_or_b32 v2, s6, 8, v8
	v_mov_b32_e32 v3, 0
	v_lshlrev_b64 v[4:5], 2, v[2:3]
	v_mov_b32_e32 v9, s35
	v_add_co_u32_e64 v4, s[0:1], s34, v4
	v_addc_co_u32_e64 v5, s[0:1], v9, v5, s[0:1]
	v_or_b32_e32 v2, 2.0, v14
	s_mov_b64 s[4:5], 0
	s_brev_b32 s15, 1
	s_mov_b32 s16, s6
	v_mov_b32_e32 v12, 0
	global_store_dword v[4:5], v2, off
                                        ; implicit-def: $sgpr0_sgpr1
	s_branch .LBB131_115
.LBB131_113:                            ;   in Loop: Header=BB131_115 Depth=1
	s_or_b64 exec, exec, s[12:13]
.LBB131_114:                            ;   in Loop: Header=BB131_115 Depth=1
	s_or_b64 exec, exec, s[10:11]
	v_and_b32_e32 v6, 0x3fffffff, v16
	v_add_u32_e32 v12, v6, v12
	v_cmp_eq_u32_e64 s[0:1], s15, v2
	s_and_b64 s[10:11], exec, s[0:1]
	s_or_b64 s[4:5], s[10:11], s[4:5]
	s_andn2_b64 exec, exec, s[4:5]
	s_cbranch_execz .LBB131_120
.LBB131_115:                            ; =>This Loop Header: Depth=1
                                        ;     Child Loop BB131_118 Depth 2
	s_or_b64 s[0:1], s[0:1], exec
	s_cmp_eq_u32 s16, 0
	s_cbranch_scc1 .LBB131_119
; %bb.116:                              ;   in Loop: Header=BB131_115 Depth=1
	s_add_i32 s16, s16, -1
	v_lshl_or_b32 v2, s16, 8, v8
	v_lshlrev_b64 v[6:7], 2, v[2:3]
	v_add_co_u32_e64 v6, s[0:1], s34, v6
	v_addc_co_u32_e64 v7, s[0:1], v9, v7, s[0:1]
	global_load_dword v16, v[6:7], off glc
	s_waitcnt vmcnt(0)
	v_and_b32_e32 v2, -2.0, v16
	v_cmp_eq_u32_e64 s[0:1], 0, v2
	s_and_saveexec_b64 s[10:11], s[0:1]
	s_cbranch_execz .LBB131_114
; %bb.117:                              ;   in Loop: Header=BB131_115 Depth=1
	s_mov_b64 s[12:13], 0
.LBB131_118:                            ;   Parent Loop BB131_115 Depth=1
                                        ; =>  This Inner Loop Header: Depth=2
	global_load_dword v16, v[6:7], off glc
	s_waitcnt vmcnt(0)
	v_and_b32_e32 v2, -2.0, v16
	v_cmp_ne_u32_e64 s[0:1], 0, v2
	s_or_b64 s[12:13], s[0:1], s[12:13]
	s_andn2_b64 exec, exec, s[12:13]
	s_cbranch_execnz .LBB131_118
	s_branch .LBB131_113
.LBB131_119:                            ;   in Loop: Header=BB131_115 Depth=1
                                        ; implicit-def: $sgpr16
	s_and_b64 s[10:11], exec, s[0:1]
	s_or_b64 s[4:5], s[10:11], s[4:5]
	s_andn2_b64 exec, exec, s[4:5]
	s_cbranch_execnz .LBB131_115
.LBB131_120:
	s_or_b64 exec, exec, s[4:5]
	v_add_u32_e32 v2, v12, v14
	v_or_b32_e32 v2, 0x80000000, v2
	global_store_dword v[4:5], v2, off
	v_lshlrev_b32_e32 v4, 3, v8
	global_load_dwordx2 v[2:3], v4, s[44:45]
	v_sub_co_u32_e64 v5, s[0:1], v12, v0
	v_subb_co_u32_e64 v6, s[0:1], 0, v1, s[0:1]
	v_mov_b32_e32 v9, 0
	s_waitcnt vmcnt(0)
	v_add_co_u32_e64 v2, s[0:1], v5, v2
	v_addc_co_u32_e64 v3, s[0:1], v6, v3, s[0:1]
	ds_write_b64 v4, v[2:3]
.LBB131_121:
	s_or_b64 exec, exec, s[2:3]
	s_waitcnt lgkmcnt(0)
	s_barrier
	ds_read2st64_b32 v[2:3], v18 offset0:16 offset1:24
	ds_read2st64_b32 v[4:5], v18 offset0:32 offset1:40
	s_brev_b32 s2, 1
	v_bfrev_b32_e32 v12, -2
	v_lshlrev_b32_e32 v6, 2, v8
	s_waitcnt lgkmcnt(1)
	v_cmp_ne_u32_e64 s[0:1], s2, v2
	v_cndmask_b32_e64 v7, v12, v2, s[0:1]
	ds_read_b32 v21, v18 offset:12288
	ds_read_b32 v28, v6 offset:2048
	v_lshrrev_b32_e32 v7, s48, v7
	v_and_b32_e32 v7, s14, v7
	s_waitcnt lgkmcnt(2)
	v_cmp_ne_u32_e64 s[0:1], s2, v4
	v_lshlrev_b32_e32 v16, 3, v7
	v_cndmask_b32_e64 v7, v12, v4, s[0:1]
	v_lshrrev_b32_e32 v7, s48, v7
	v_and_b32_e32 v7, s14, v7
	s_waitcnt lgkmcnt(1)
	v_cmp_ne_u32_e64 s[0:1], s2, v21
	v_lshlrev_b32_e32 v25, 3, v7
	v_cndmask_b32_e64 v7, v12, v21, s[0:1]
	s_waitcnt lgkmcnt(0)
	v_cmp_ne_u32_e64 s[0:1], s2, v28
	v_cndmask_b32_e64 v29, v12, v28, s[0:1]
	v_cmp_gt_i32_e64 s[0:1], 0, v28
	v_cndmask_b32_e64 v30, v12, 0, s[0:1]
	v_cmp_ne_u32_e64 s[0:1], s2, v3
	v_xor_b32_e32 v36, v30, v28
	v_cndmask_b32_e64 v28, v12, v3, s[0:1]
	v_lshrrev_b32_e32 v29, s48, v29
	v_lshrrev_b32_e32 v28, s48, v28
	;; [unrolled: 1-line block ×3, first 2 shown]
	v_and_b32_e32 v29, s14, v29
	v_and_b32_e32 v28, s14, v28
	v_cmp_ne_u32_e64 s[0:1], s2, v5
	v_and_b32_e32 v7, s14, v7
	v_lshlrev_b32_e32 v43, 3, v29
	v_lshlrev_b32_e32 v44, 3, v28
	v_cndmask_b32_e64 v28, v12, v5, s[0:1]
	v_lshlrev_b32_e32 v42, 3, v7
	ds_read_b64 v[6:7], v16
	ds_read_b64 v[22:23], v25
	ds_read_b64 v[26:27], v42
	v_lshrrev_b32_e32 v30, s48, v28
	ds_read_b64 v[28:29], v43
	v_mov_b32_e32 v34, s39
	v_and_b32_e32 v30, s14, v30
	v_lshlrev_b32_e32 v45, 3, v30
	ds_read_b64 v[30:31], v44
	ds_read_b64 v[32:33], v45
	s_waitcnt lgkmcnt(2)
	v_lshlrev_b64 v[28:29], 2, v[28:29]
	v_add_co_u32_e64 v35, s[0:1], s38, v28
	v_addc_co_u32_e64 v37, s[0:1], v34, v29, s[0:1]
	v_lshlrev_b64 v[28:29], 2, v[8:9]
	v_add_co_u32_e64 v34, s[0:1], v35, v28
	v_addc_co_u32_e64 v35, s[0:1], v37, v29, s[0:1]
	v_cmp_gt_i32_e64 s[0:1], 0, v2
	global_store_dword v[34:35], v36, off
	v_cndmask_b32_e64 v34, v12, 0, s[0:1]
	v_lshlrev_b64 v[6:7], 2, v[6:7]
	v_xor_b32_e32 v2, v34, v2
	v_mov_b32_e32 v34, s39
	v_add_co_u32_e64 v40, s[0:1], s38, v6
	v_addc_co_u32_e64 v41, s[0:1], v34, v7, s[0:1]
	s_lshl_b64 s[0:1], s[30:31], 3
	s_add_u32 s0, s40, s0
	s_addc_u32 s1, s41, s1
	v_lshlrev_b32_e32 v6, 3, v11
	v_mov_b32_e32 v7, s1
	v_add_co_u32_e64 v6, s[0:1], s0, v6
	v_addc_co_u32_e64 v7, s[0:1], 0, v7, s[0:1]
	v_lshlrev_b32_e32 v10, 3, v10
	v_add_co_u32_e64 v6, s[0:1], v6, v10
	v_addc_co_u32_e64 v7, s[0:1], 0, v7, s[0:1]
	global_load_dwordx2 v[10:11], v[6:7], off
	global_load_dwordx2 v[34:35], v[6:7], off offset:512
	global_load_dwordx2 v[36:37], v[6:7], off offset:1024
	;; [unrolled: 1-line block ×3, first 2 shown]
	v_add_co_u32_e64 v28, s[0:1], v40, v28
	v_addc_co_u32_e64 v29, s[0:1], v41, v29, s[0:1]
	global_load_dwordx2 v[40:41], v[6:7], off offset:2048
	v_cmp_gt_i32_e64 s[0:1], 0, v3
	global_load_dwordx2 v[6:7], v[6:7], off offset:2560
	s_movk_i32 s2, 0x800
	global_store_dword v[28:29], v2, off offset:2048
	v_cndmask_b32_e64 v2, v12, 0, s[0:1]
	v_xor_b32_e32 v29, v2, v3
	s_waitcnt lgkmcnt(1)
	v_lshlrev_b64 v[2:3], 2, v[30:31]
	v_or_b32_e32 v28, 0x400, v8
	v_mov_b32_e32 v30, s39
	v_add_co_u32_e64 v2, s[0:1], s38, v2
	v_addc_co_u32_e64 v3, s[0:1], v30, v3, s[0:1]
	v_lshlrev_b32_e32 v30, 2, v28
	v_add_co_u32_e64 v2, s[0:1], v2, v30
	v_addc_co_u32_e64 v3, s[0:1], 0, v3, s[0:1]
	v_cmp_gt_i32_e64 s[0:1], 0, v4
	global_store_dword v[2:3], v29, off
	v_cndmask_b32_e64 v2, v12, 0, s[0:1]
	v_xor_b32_e32 v4, v2, v4
	v_lshlrev_b64 v[2:3], 2, v[22:23]
	v_add_u32_e32 v29, 0x600, v8
	v_mov_b32_e32 v22, s39
	v_add_co_u32_e64 v2, s[0:1], s38, v2
	v_addc_co_u32_e64 v3, s[0:1], v22, v3, s[0:1]
	v_lshlrev_b32_e32 v22, 2, v29
	v_add_co_u32_e64 v2, s[0:1], v2, v22
	v_addc_co_u32_e64 v3, s[0:1], 0, v3, s[0:1]
	v_cmp_gt_i32_e64 s[0:1], 0, v5
	global_store_dword v[2:3], v4, off
	v_cndmask_b32_e64 v2, v12, 0, s[0:1]
	v_xor_b32_e32 v4, v2, v5
	s_waitcnt lgkmcnt(0)
	v_lshlrev_b64 v[2:3], 2, v[32:33]
	v_or_b32_e32 v22, 0x800, v8
	v_mov_b32_e32 v5, s39
	v_add_co_u32_e64 v2, s[0:1], s38, v2
	v_addc_co_u32_e64 v3, s[0:1], v5, v3, s[0:1]
	v_lshlrev_b32_e32 v5, 2, v22
	v_add_co_u32_e64 v2, s[0:1], v2, v5
	v_addc_co_u32_e64 v3, s[0:1], 0, v3, s[0:1]
	v_cmp_gt_i32_e64 s[0:1], 0, v21
	global_store_dword v[2:3], v4, off
	v_cndmask_b32_e64 v2, v12, 0, s[0:1]
	v_xor_b32_e32 v4, v2, v21
	v_lshlrev_b64 v[2:3], 2, v[26:27]
	v_add_u32_e32 v23, 0xa00, v8
	v_mov_b32_e32 v5, s39
	v_add_co_u32_e64 v2, s[0:1], s38, v2
	v_addc_co_u32_e64 v3, s[0:1], v5, v3, s[0:1]
	v_lshlrev_b32_e32 v5, 2, v23
	v_add_co_u32_e64 v2, s[0:1], v2, v5
	v_addc_co_u32_e64 v3, s[0:1], 0, v3, s[0:1]
	global_store_dword v[2:3], v4, off
	v_lshlrev_b32_e32 v2, 3, v24
	s_barrier
	s_waitcnt vmcnt(10)
	ds_write_b64 v2, v[10:11] offset:2048
	v_lshlrev_b32_e32 v2, 3, v20
	s_waitcnt vmcnt(9)
	ds_write_b64 v2, v[34:35] offset:2048
	v_lshlrev_b32_e32 v2, 3, v19
	;; [unrolled: 3-line block ×5, first 2 shown]
	s_waitcnt vmcnt(5)
	ds_write_b64 v2, v[6:7] offset:2048
	s_waitcnt lgkmcnt(0)
	s_barrier
	ds_read_b64 v[2:3], v43
	v_mov_b32_e32 v5, s43
	v_lshlrev_b32_e32 v4, 3, v8
	ds_read_b64 v[6:7], v16
	ds_read_b64 v[10:11], v44
	;; [unrolled: 1-line block ×3, first 2 shown]
	v_mov_b32_e32 v24, s43
	s_waitcnt lgkmcnt(3)
	v_lshlrev_b64 v[2:3], 3, v[2:3]
	v_add_co_u32_e64 v15, s[0:1], s42, v2
	v_addc_co_u32_e64 v5, s[0:1], v5, v3, s[0:1]
	v_lshlrev_b64 v[2:3], 3, v[8:9]
	v_add_co_u32_e64 v2, s[0:1], v15, v2
	v_addc_co_u32_e64 v3, s[0:1], v5, v3, s[0:1]
	ds_read_b64 v[4:5], v4 offset:2048
	v_add3_u32 v15, v18, s2, v18
	s_waitcnt lgkmcnt(3)
	v_lshlrev_b64 v[6:7], 3, v[6:7]
	ds_read_b64 v[16:17], v45
	ds_read_b64 v[18:19], v15 offset:20480
	ds_read_b64 v[20:21], v42
	v_add_co_u32_e64 v6, s[0:1], s42, v6
	s_waitcnt lgkmcnt(3)
	global_store_dwordx2 v[2:3], v[4:5], off
	ds_read2st64_b64 v[2:5], v15 offset0:8 offset1:16
	v_addc_co_u32_e64 v7, s[0:1], v24, v7, s[0:1]
	v_mov_b32_e32 v24, 0x1000
	v_lshl_add_u32 v24, v8, 3, v24
	v_add_co_u32_e64 v6, s[0:1], v6, v24
	v_addc_co_u32_e64 v7, s[0:1], 0, v7, s[0:1]
	s_waitcnt lgkmcnt(0)
	global_store_dwordx2 v[6:7], v[2:3], off
	v_lshlrev_b64 v[2:3], 3, v[10:11]
	v_mov_b32_e32 v6, s43
	v_add_co_u32_e64 v2, s[0:1], s42, v2
	v_addc_co_u32_e64 v3, s[0:1], v6, v3, s[0:1]
	v_lshlrev_b32_e32 v6, 3, v28
	v_add_co_u32_e64 v2, s[0:1], v2, v6
	v_addc_co_u32_e64 v3, s[0:1], 0, v3, s[0:1]
	global_store_dwordx2 v[2:3], v[4:5], off
	ds_read2st64_b64 v[2:5], v15 offset0:24 offset1:32
	v_lshlrev_b64 v[6:7], 3, v[12:13]
	v_mov_b32_e32 v10, s43
	v_add_co_u32_e64 v6, s[0:1], s42, v6
	v_addc_co_u32_e64 v7, s[0:1], v10, v7, s[0:1]
	v_lshlrev_b32_e32 v10, 3, v29
	v_add_co_u32_e64 v6, s[0:1], v6, v10
	v_addc_co_u32_e64 v7, s[0:1], 0, v7, s[0:1]
	s_waitcnt lgkmcnt(0)
	global_store_dwordx2 v[6:7], v[2:3], off
	v_lshlrev_b64 v[2:3], 3, v[16:17]
	v_mov_b32_e32 v6, s43
	v_add_co_u32_e64 v2, s[0:1], s42, v2
	v_addc_co_u32_e64 v3, s[0:1], v6, v3, s[0:1]
	v_lshlrev_b32_e32 v6, 3, v22
	v_add_co_u32_e64 v2, s[0:1], v2, v6
	v_addc_co_u32_e64 v3, s[0:1], 0, v3, s[0:1]
	global_store_dwordx2 v[2:3], v[4:5], off
	v_lshlrev_b64 v[2:3], 3, v[20:21]
	v_mov_b32_e32 v4, s43
	v_add_co_u32_e64 v2, s[0:1], s42, v2
	v_addc_co_u32_e64 v3, s[0:1], v4, v3, s[0:1]
	v_lshlrev_b32_e32 v4, 3, v23
	v_add_co_u32_e64 v2, s[0:1], v2, v4
	s_add_i32 s7, s7, -1
	v_addc_co_u32_e64 v3, s[0:1], 0, v3, s[0:1]
	s_cmp_eq_u32 s6, s7
	s_cselect_b64 s[0:1], -1, 0
	s_and_b64 s[2:3], vcc, s[0:1]
	global_store_dwordx2 v[2:3], v[18:19], off
                                        ; implicit-def: $vgpr4_vgpr5
	s_and_saveexec_b64 s[0:1], s[2:3]
; %bb.122:
	v_add_co_u32_e32 v4, vcc, v0, v14
	v_addc_co_u32_e32 v5, vcc, 0, v1, vcc
	s_or_b64 s[8:9], s[8:9], exec
; %bb.123:
	s_or_b64 exec, exec, s[0:1]
.LBB131_124:
	s_and_saveexec_b64 s[0:1], s[8:9]
	s_cbranch_execnz .LBB131_126
; %bb.125:
	s_endpgm
.LBB131_126:
	v_lshlrev_b32_e32 v2, 3, v8
	ds_read_b64 v[2:3], v2
	v_lshlrev_b64 v[0:1], 3, v[8:9]
	v_mov_b32_e32 v6, s47
	v_add_co_u32_e32 v0, vcc, s46, v0
	v_addc_co_u32_e32 v1, vcc, v6, v1, vcc
	s_waitcnt lgkmcnt(0)
	v_add_co_u32_e32 v2, vcc, v2, v4
	v_addc_co_u32_e32 v3, vcc, v3, v5, vcc
	global_store_dwordx2 v[0:1], v[2:3], off
	s_endpgm
.LBB131_127:
	global_load_dwordx2 v[4:5], v[18:19], off
	s_or_b64 exec, exec, s[28:29]
                                        ; implicit-def: $vgpr6_vgpr7
	s_and_saveexec_b64 s[28:29], s[0:1]
	s_cbranch_execz .LBB131_59
.LBB131_128:
	global_load_dwordx2 v[6:7], v[18:19], off offset:512
	s_or_b64 exec, exec, s[28:29]
                                        ; implicit-def: $vgpr10_vgpr11
	s_and_saveexec_b64 s[0:1], s[2:3]
	s_cbranch_execz .LBB131_60
.LBB131_129:
	global_load_dwordx2 v[10:11], v[18:19], off offset:1024
	s_or_b64 exec, exec, s[0:1]
                                        ; implicit-def: $vgpr12_vgpr13
	s_and_saveexec_b64 s[0:1], s[26:27]
	s_cbranch_execz .LBB131_61
.LBB131_130:
	global_load_dwordx2 v[12:13], v[18:19], off offset:1536
	s_or_b64 exec, exec, s[0:1]
                                        ; implicit-def: $vgpr14_vgpr15
	s_and_saveexec_b64 s[0:1], s[8:9]
	s_cbranch_execz .LBB131_62
.LBB131_131:
	global_load_dwordx2 v[14:15], v[18:19], off offset:2048
	s_or_b64 exec, exec, s[0:1]
                                        ; implicit-def: $vgpr16_vgpr17
	s_and_saveexec_b64 s[0:1], s[10:11]
	s_cbranch_execnz .LBB131_63
	s_branch .LBB131_64
.LBB131_132:
	v_lshlrev_b32_e32 v5, 3, v35
	ds_read_b64 v[6:7], v5
	ds_read_b64 v[10:11], v4 offset:2048
	v_mov_b32_e32 v5, s43
	s_waitcnt lgkmcnt(1)
	v_lshlrev_b64 v[6:7], 3, v[6:7]
	v_add_co_u32_e32 v6, vcc, s42, v6
	v_addc_co_u32_e32 v5, vcc, v5, v7, vcc
	v_add_co_u32_e32 v6, vcc, v6, v4
	v_addc_co_u32_e32 v7, vcc, 0, v5, vcc
	s_waitcnt lgkmcnt(0)
	global_store_dwordx2 v[6:7], v[10:11], off
	s_or_b64 exec, exec, s[0:1]
	s_and_saveexec_b64 s[0:1], s[16:17]
	s_cbranch_execz .LBB131_78
.LBB131_133:
	v_lshlrev_b32_e32 v5, 3, v19
	ds_read_b64 v[6:7], v5
	ds_read_b64 v[10:11], v4 offset:6144
	v_mov_b32_e32 v5, s43
	s_waitcnt lgkmcnt(1)
	v_lshlrev_b64 v[6:7], 3, v[6:7]
	v_add_co_u32_e32 v6, vcc, s42, v6
	v_addc_co_u32_e32 v5, vcc, v5, v7, vcc
	v_lshlrev_b32_e32 v7, 3, v23
	v_add_co_u32_e32 v6, vcc, v6, v7
	v_addc_co_u32_e32 v7, vcc, 0, v5, vcc
	s_waitcnt lgkmcnt(0)
	global_store_dwordx2 v[6:7], v[10:11], off
	s_or_b64 exec, exec, s[0:1]
	s_and_saveexec_b64 s[0:1], s[18:19]
	s_cbranch_execz .LBB131_79
.LBB131_134:
	v_lshlrev_b32_e32 v5, 3, v34
	ds_read_b64 v[6:7], v5
	ds_read_b64 v[10:11], v4 offset:10240
	v_mov_b32_e32 v5, s43
	s_waitcnt lgkmcnt(1)
	v_lshlrev_b64 v[6:7], 3, v[6:7]
	v_add_co_u32_e32 v6, vcc, s42, v6
	v_addc_co_u32_e32 v5, vcc, v5, v7, vcc
	v_lshlrev_b32_e32 v7, 3, v29
	v_add_co_u32_e32 v6, vcc, v6, v7
	v_addc_co_u32_e32 v7, vcc, 0, v5, vcc
	s_waitcnt lgkmcnt(0)
	global_store_dwordx2 v[6:7], v[10:11], off
	s_or_b64 exec, exec, s[0:1]
	s_and_saveexec_b64 s[0:1], s[20:21]
	s_cbranch_execz .LBB131_80
.LBB131_135:
	v_lshlrev_b32_e32 v5, 3, v18
	ds_read_b64 v[6:7], v5
	ds_read_b64 v[10:11], v4 offset:14336
	v_mov_b32_e32 v5, s43
	s_waitcnt lgkmcnt(1)
	v_lshlrev_b64 v[6:7], 3, v[6:7]
	v_add_co_u32_e32 v6, vcc, s42, v6
	v_addc_co_u32_e32 v5, vcc, v5, v7, vcc
	v_lshlrev_b32_e32 v7, 3, v30
	v_add_co_u32_e32 v6, vcc, v6, v7
	v_addc_co_u32_e32 v7, vcc, 0, v5, vcc
	s_waitcnt lgkmcnt(0)
	global_store_dwordx2 v[6:7], v[10:11], off
	s_or_b64 exec, exec, s[0:1]
	s_and_saveexec_b64 s[0:1], s[22:23]
	s_cbranch_execz .LBB131_81
.LBB131_136:
	v_lshlrev_b32_e32 v5, 3, v33
	ds_read_b64 v[6:7], v5
	ds_read_b64 v[10:11], v4 offset:18432
	v_mov_b32_e32 v5, s43
	s_waitcnt lgkmcnt(1)
	v_lshlrev_b64 v[6:7], 3, v[6:7]
	v_add_co_u32_e32 v6, vcc, s42, v6
	v_addc_co_u32_e32 v5, vcc, v5, v7, vcc
	v_lshlrev_b32_e32 v7, 3, v31
	v_add_co_u32_e32 v6, vcc, v6, v7
	v_addc_co_u32_e32 v7, vcc, 0, v5, vcc
	s_waitcnt lgkmcnt(0)
	global_store_dwordx2 v[6:7], v[10:11], off
	s_or_b64 exec, exec, s[0:1]
	s_and_saveexec_b64 s[0:1], s[24:25]
	s_cbranch_execnz .LBB131_82
	s_branch .LBB131_83
	.section	.rodata,"a",@progbits
	.p2align	6, 0x0
	.amdhsa_kernel _ZN7rocprim17ROCPRIM_304000_NS6detail25onesweep_iteration_kernelINS1_34wrapped_radix_sort_onesweep_configINS0_14default_configEfN2at4cuda3cub6detail10OpaqueTypeILi8EEEEELb1EPKfPfPKSA_PSA_mNS0_19identity_decomposerEEEvT1_T2_T3_T4_jPT5_SO_PNS1_23onesweep_lookback_stateET6_jjj
		.amdhsa_group_segment_fixed_size 26624
		.amdhsa_private_segment_fixed_size 0
		.amdhsa_kernarg_size 336
		.amdhsa_user_sgpr_count 6
		.amdhsa_user_sgpr_private_segment_buffer 1
		.amdhsa_user_sgpr_dispatch_ptr 0
		.amdhsa_user_sgpr_queue_ptr 0
		.amdhsa_user_sgpr_kernarg_segment_ptr 1
		.amdhsa_user_sgpr_dispatch_id 0
		.amdhsa_user_sgpr_flat_scratch_init 0
		.amdhsa_user_sgpr_kernarg_preload_length 0
		.amdhsa_user_sgpr_kernarg_preload_offset 0
		.amdhsa_user_sgpr_private_segment_size 0
		.amdhsa_uses_dynamic_stack 0
		.amdhsa_system_sgpr_private_segment_wavefront_offset 0
		.amdhsa_system_sgpr_workgroup_id_x 1
		.amdhsa_system_sgpr_workgroup_id_y 0
		.amdhsa_system_sgpr_workgroup_id_z 0
		.amdhsa_system_sgpr_workgroup_info 0
		.amdhsa_system_vgpr_workitem_id 2
		.amdhsa_next_free_vgpr 46
		.amdhsa_next_free_sgpr 52
		.amdhsa_accum_offset 48
		.amdhsa_reserve_vcc 1
		.amdhsa_reserve_flat_scratch 0
		.amdhsa_float_round_mode_32 0
		.amdhsa_float_round_mode_16_64 0
		.amdhsa_float_denorm_mode_32 3
		.amdhsa_float_denorm_mode_16_64 3
		.amdhsa_dx10_clamp 1
		.amdhsa_ieee_mode 1
		.amdhsa_fp16_overflow 0
		.amdhsa_tg_split 0
		.amdhsa_exception_fp_ieee_invalid_op 0
		.amdhsa_exception_fp_denorm_src 0
		.amdhsa_exception_fp_ieee_div_zero 0
		.amdhsa_exception_fp_ieee_overflow 0
		.amdhsa_exception_fp_ieee_underflow 0
		.amdhsa_exception_fp_ieee_inexact 0
		.amdhsa_exception_int_div_zero 0
	.end_amdhsa_kernel
	.section	.text._ZN7rocprim17ROCPRIM_304000_NS6detail25onesweep_iteration_kernelINS1_34wrapped_radix_sort_onesweep_configINS0_14default_configEfN2at4cuda3cub6detail10OpaqueTypeILi8EEEEELb1EPKfPfPKSA_PSA_mNS0_19identity_decomposerEEEvT1_T2_T3_T4_jPT5_SO_PNS1_23onesweep_lookback_stateET6_jjj,"axG",@progbits,_ZN7rocprim17ROCPRIM_304000_NS6detail25onesweep_iteration_kernelINS1_34wrapped_radix_sort_onesweep_configINS0_14default_configEfN2at4cuda3cub6detail10OpaqueTypeILi8EEEEELb1EPKfPfPKSA_PSA_mNS0_19identity_decomposerEEEvT1_T2_T3_T4_jPT5_SO_PNS1_23onesweep_lookback_stateET6_jjj,comdat
.Lfunc_end131:
	.size	_ZN7rocprim17ROCPRIM_304000_NS6detail25onesweep_iteration_kernelINS1_34wrapped_radix_sort_onesweep_configINS0_14default_configEfN2at4cuda3cub6detail10OpaqueTypeILi8EEEEELb1EPKfPfPKSA_PSA_mNS0_19identity_decomposerEEEvT1_T2_T3_T4_jPT5_SO_PNS1_23onesweep_lookback_stateET6_jjj, .Lfunc_end131-_ZN7rocprim17ROCPRIM_304000_NS6detail25onesweep_iteration_kernelINS1_34wrapped_radix_sort_onesweep_configINS0_14default_configEfN2at4cuda3cub6detail10OpaqueTypeILi8EEEEELb1EPKfPfPKSA_PSA_mNS0_19identity_decomposerEEEvT1_T2_T3_T4_jPT5_SO_PNS1_23onesweep_lookback_stateET6_jjj
                                        ; -- End function
	.section	.AMDGPU.csdata,"",@progbits
; Kernel info:
; codeLenInByte = 12168
; NumSgprs: 56
; NumVgprs: 46
; NumAgprs: 0
; TotalNumVgprs: 46
; ScratchSize: 0
; MemoryBound: 0
; FloatMode: 240
; IeeeMode: 1
; LDSByteSize: 26624 bytes/workgroup (compile time only)
; SGPRBlocks: 6
; VGPRBlocks: 5
; NumSGPRsForWavesPerEU: 56
; NumVGPRsForWavesPerEU: 46
; AccumOffset: 48
; Occupancy: 4
; WaveLimiterHint : 1
; COMPUTE_PGM_RSRC2:SCRATCH_EN: 0
; COMPUTE_PGM_RSRC2:USER_SGPR: 6
; COMPUTE_PGM_RSRC2:TRAP_HANDLER: 0
; COMPUTE_PGM_RSRC2:TGID_X_EN: 1
; COMPUTE_PGM_RSRC2:TGID_Y_EN: 0
; COMPUTE_PGM_RSRC2:TGID_Z_EN: 0
; COMPUTE_PGM_RSRC2:TIDIG_COMP_CNT: 2
; COMPUTE_PGM_RSRC3_GFX90A:ACCUM_OFFSET: 11
; COMPUTE_PGM_RSRC3_GFX90A:TG_SPLIT: 0
	.section	.text._ZN7rocprim17ROCPRIM_304000_NS6detail25onesweep_iteration_kernelINS1_34wrapped_radix_sort_onesweep_configINS0_14default_configEfN2at4cuda3cub6detail10OpaqueTypeILi8EEEEELb1EPfSC_PSA_SD_mNS0_19identity_decomposerEEEvT1_T2_T3_T4_jPT5_SK_PNS1_23onesweep_lookback_stateET6_jjj,"axG",@progbits,_ZN7rocprim17ROCPRIM_304000_NS6detail25onesweep_iteration_kernelINS1_34wrapped_radix_sort_onesweep_configINS0_14default_configEfN2at4cuda3cub6detail10OpaqueTypeILi8EEEEELb1EPfSC_PSA_SD_mNS0_19identity_decomposerEEEvT1_T2_T3_T4_jPT5_SK_PNS1_23onesweep_lookback_stateET6_jjj,comdat
	.protected	_ZN7rocprim17ROCPRIM_304000_NS6detail25onesweep_iteration_kernelINS1_34wrapped_radix_sort_onesweep_configINS0_14default_configEfN2at4cuda3cub6detail10OpaqueTypeILi8EEEEELb1EPfSC_PSA_SD_mNS0_19identity_decomposerEEEvT1_T2_T3_T4_jPT5_SK_PNS1_23onesweep_lookback_stateET6_jjj ; -- Begin function _ZN7rocprim17ROCPRIM_304000_NS6detail25onesweep_iteration_kernelINS1_34wrapped_radix_sort_onesweep_configINS0_14default_configEfN2at4cuda3cub6detail10OpaqueTypeILi8EEEEELb1EPfSC_PSA_SD_mNS0_19identity_decomposerEEEvT1_T2_T3_T4_jPT5_SK_PNS1_23onesweep_lookback_stateET6_jjj
	.globl	_ZN7rocprim17ROCPRIM_304000_NS6detail25onesweep_iteration_kernelINS1_34wrapped_radix_sort_onesweep_configINS0_14default_configEfN2at4cuda3cub6detail10OpaqueTypeILi8EEEEELb1EPfSC_PSA_SD_mNS0_19identity_decomposerEEEvT1_T2_T3_T4_jPT5_SK_PNS1_23onesweep_lookback_stateET6_jjj
	.p2align	8
	.type	_ZN7rocprim17ROCPRIM_304000_NS6detail25onesweep_iteration_kernelINS1_34wrapped_radix_sort_onesweep_configINS0_14default_configEfN2at4cuda3cub6detail10OpaqueTypeILi8EEEEELb1EPfSC_PSA_SD_mNS0_19identity_decomposerEEEvT1_T2_T3_T4_jPT5_SK_PNS1_23onesweep_lookback_stateET6_jjj,@function
_ZN7rocprim17ROCPRIM_304000_NS6detail25onesweep_iteration_kernelINS1_34wrapped_radix_sort_onesweep_configINS0_14default_configEfN2at4cuda3cub6detail10OpaqueTypeILi8EEEEELb1EPfSC_PSA_SD_mNS0_19identity_decomposerEEEvT1_T2_T3_T4_jPT5_SK_PNS1_23onesweep_lookback_stateET6_jjj: ; @_ZN7rocprim17ROCPRIM_304000_NS6detail25onesweep_iteration_kernelINS1_34wrapped_radix_sort_onesweep_configINS0_14default_configEfN2at4cuda3cub6detail10OpaqueTypeILi8EEEEELb1EPfSC_PSA_SD_mNS0_19identity_decomposerEEEvT1_T2_T3_T4_jPT5_SK_PNS1_23onesweep_lookback_stateET6_jjj
; %bb.0:
	s_load_dwordx4 s[48:51], s[4:5], 0x44
	s_load_dwordx8 s[36:43], s[4:5], 0x0
	s_load_dwordx4 s[44:47], s[4:5], 0x28
	s_load_dwordx2 s[34:35], s[4:5], 0x38
	s_mul_i32 s30, s6, 0xc00
	s_waitcnt lgkmcnt(0)
	s_cmp_ge_u32 s6, s50
	v_mbcnt_lo_u32_b32 v1, -1, 0
	s_cbranch_scc0 .LBB132_86
; %bb.1:
	s_load_dword s2, s[4:5], 0x20
	s_mulk_i32 s50, 0xf400
	s_mov_b32 s31, 0
	s_lshl_b64 s[0:1], s[30:31], 2
	v_and_b32_e32 v8, 0x3ff, v0
	s_waitcnt lgkmcnt(0)
	s_add_i32 s50, s50, s2
	s_add_u32 s0, s36, s0
	v_mbcnt_hi_u32_b32 v14, -1, v1
	s_addc_u32 s1, s37, s1
	v_and_b32_e32 v15, 0x1c0, v8
	v_lshlrev_b32_e32 v2, 2, v14
	v_mul_u32_u24_e32 v9, 6, v15
	v_mov_b32_e32 v3, s1
	v_add_co_u32_e32 v2, vcc, s0, v2
	s_mov_b32 s8, -1
	v_addc_co_u32_e32 v3, vcc, 0, v3, vcc
	v_lshlrev_b32_e32 v4, 2, v9
	v_add_co_u32_e32 v10, vcc, v2, v4
	s_mov_b32 s9, s8
	v_addc_co_u32_e32 v11, vcc, 0, v3, vcc
	v_or_b32_e32 v12, v14, v9
	s_mov_b32 s10, s8
	s_mov_b32 s11, s8
	;; [unrolled: 1-line block ×4, first 2 shown]
	v_pk_mov_b32 v[2:3], s[8:9], s[8:9] op_sel:[0,1]
	v_cmp_gt_u32_e32 vcc, s50, v12
	v_pk_mov_b32 v[4:5], s[10:11], s[10:11] op_sel:[0,1]
	v_pk_mov_b32 v[6:7], s[12:13], s[12:13] op_sel:[0,1]
	s_and_saveexec_b64 s[0:1], vcc
	s_cbranch_execz .LBB132_3
; %bb.2:
	global_load_dword v2, v[10:11], off
	v_mov_b32_e32 v3, -1
	v_mov_b32_e32 v4, v3
	v_mov_b32_e32 v5, v3
	;; [unrolled: 1-line block ×4, first 2 shown]
.LBB132_3:
	s_or_b64 exec, exec, s[0:1]
	v_add_u32_e32 v13, 64, v12
	v_cmp_gt_u32_e64 s[0:1], s50, v13
	s_and_saveexec_b64 s[2:3], s[0:1]
	s_cbranch_execz .LBB132_5
; %bb.4:
	global_load_dword v3, v[10:11], off offset:256
.LBB132_5:
	s_or_b64 exec, exec, s[2:3]
	v_add_u32_e32 v13, 0x80, v12
	v_cmp_gt_u32_e64 s[2:3], s50, v13
	s_and_saveexec_b64 s[8:9], s[2:3]
	s_cbranch_execz .LBB132_7
; %bb.6:
	global_load_dword v4, v[10:11], off offset:512
.LBB132_7:
	;; [unrolled: 8-line block ×5, first 2 shown]
	s_or_b64 exec, exec, s[12:13]
	s_load_dword s12, s[4:5], 0x5c
	s_load_dword s7, s[4:5], 0x50
	s_add_u32 s13, s4, 0x50
	s_addc_u32 s14, s5, 0
	v_mov_b32_e32 v10, 0
	s_waitcnt lgkmcnt(0)
	s_lshr_b32 s15, s12, 16
	s_cmp_lt_u32 s6, s7
	s_cselect_b32 s12, 12, 18
	s_add_u32 s12, s13, s12
	s_addc_u32 s13, s14, 0
	global_load_ushort v12, v10, s[12:13]
	v_bfrev_b32_e32 v20, -2
	s_waitcnt vmcnt(1)
	v_cmp_gt_i32_e64 s[12:13], 0, v2
	v_mul_u32_u24_e32 v16, 5, v8
	v_cndmask_b32_e64 v18, v20, 0, s[12:13]
	s_brev_b32 s16, 1
	v_lshlrev_b32_e32 v17, 2, v16
	v_xor_b32_e32 v16, v18, v2
	v_cmp_ne_u32_e64 s[12:13], s16, v16
	v_cndmask_b32_e64 v2, v20, v16, s[12:13]
	s_lshl_b32 s12, -1, s49
	v_lshrrev_b32_e32 v2, s48, v2
	s_not_b32 s33, s12
	v_and_b32_e32 v2, s33, v2
	v_and_b32_e32 v19, 1, v2
	v_bfe_u32 v11, v0, 10, 10
	v_bfe_u32 v13, v0, 20, 10
	v_add_co_u32_e64 v21, s[12:13], -1, v19
	v_mad_u32_u24 v13, v13, s15, v11
	v_lshlrev_b32_e32 v11, 30, v2
	v_addc_co_u32_e64 v22, s[12:13], 0, -1, s[12:13]
	v_cmp_ne_u32_e64 s[12:13], 0, v19
	v_cmp_gt_i64_e64 s[14:15], 0, v[10:11]
	v_not_b32_e32 v19, v11
	v_lshlrev_b32_e32 v11, 29, v2
	v_xor_b32_e32 v22, s13, v22
	v_xor_b32_e32 v21, s12, v21
	v_ashrrev_i32_e32 v19, 31, v19
	v_cmp_gt_i64_e64 s[12:13], 0, v[10:11]
	v_not_b32_e32 v23, v11
	v_lshlrev_b32_e32 v11, 28, v2
	v_and_b32_e32 v22, exec_hi, v22
	v_and_b32_e32 v21, exec_lo, v21
	v_xor_b32_e32 v24, s15, v19
	v_xor_b32_e32 v19, s14, v19
	v_ashrrev_i32_e32 v23, 31, v23
	v_cmp_gt_i64_e64 s[14:15], 0, v[10:11]
	v_not_b32_e32 v25, v11
	v_lshlrev_b32_e32 v11, 27, v2
	v_and_b32_e32 v22, v22, v24
	v_and_b32_e32 v19, v21, v19
	v_xor_b32_e32 v21, s13, v23
	v_xor_b32_e32 v23, s12, v23
	v_ashrrev_i32_e32 v24, 31, v25
	v_cmp_gt_i64_e64 s[12:13], 0, v[10:11]
	v_not_b32_e32 v25, v11
	v_lshlrev_b32_e32 v11, 26, v2
	v_and_b32_e32 v21, v22, v21
	v_and_b32_e32 v19, v19, v23
	v_xor_b32_e32 v22, s15, v24
	v_xor_b32_e32 v23, s14, v24
	v_ashrrev_i32_e32 v24, 31, v25
	v_cmp_gt_i64_e64 s[14:15], 0, v[10:11]
	v_not_b32_e32 v25, v11
	v_lshlrev_b32_e32 v11, 25, v2
	v_and_b32_e32 v21, v21, v22
	v_and_b32_e32 v19, v19, v23
	v_xor_b32_e32 v22, s13, v24
	v_xor_b32_e32 v23, s12, v24
	v_ashrrev_i32_e32 v24, 31, v25
	v_cmp_gt_i64_e64 s[12:13], 0, v[10:11]
	v_not_b32_e32 v11, v11
	v_and_b32_e32 v21, v21, v22
	v_and_b32_e32 v19, v19, v23
	v_xor_b32_e32 v22, s15, v24
	v_xor_b32_e32 v23, s14, v24
	v_ashrrev_i32_e32 v11, 31, v11
	v_lshl_add_u32 v18, v2, 3, v2
	v_and_b32_e32 v22, v21, v22
	v_and_b32_e32 v23, v19, v23
	v_xor_b32_e32 v24, s13, v11
	v_xor_b32_e32 v11, s12, v11
	ds_write2_b32 v17, v10, v10 offset0:8 offset1:9
	ds_write2_b32 v17, v10, v10 offset0:10 offset1:11
	ds_write_b32 v17, v10 offset:48
	s_waitcnt lgkmcnt(0)
	s_barrier
	s_waitcnt lgkmcnt(0)
	; wave barrier
	s_waitcnt vmcnt(0)
	v_mad_u64_u32 v[12:13], s[14:15], v13, v12, v[8:9]
	v_lshrrev_b32_e32 v21, 6, v12
	v_add_lshl_u32 v19, v18, v21, 2
	v_and_b32_e32 v18, v23, v11
	v_lshlrev_b32_e32 v11, 24, v2
	v_not_b32_e32 v2, v11
	v_cmp_gt_i64_e64 s[12:13], 0, v[10:11]
	v_ashrrev_i32_e32 v2, 31, v2
	v_and_b32_e32 v12, v22, v24
	v_xor_b32_e32 v11, s13, v2
	v_xor_b32_e32 v2, s12, v2
	v_and_b32_e32 v13, v12, v11
	v_and_b32_e32 v12, v18, v2
	v_mbcnt_lo_u32_b32 v2, v12, 0
	v_mbcnt_hi_u32_b32 v18, v13, v2
	v_cmp_eq_u32_e64 s[12:13], 0, v18
	v_cmp_ne_u64_e64 s[14:15], 0, v[12:13]
	s_and_b64 s[14:15], s[14:15], s[12:13]
	s_and_saveexec_b64 s[12:13], s[14:15]
	s_cbranch_execz .LBB132_15
; %bb.14:
	v_bcnt_u32_b32 v2, v12, 0
	v_bcnt_u32_b32 v2, v13, v2
	ds_write_b32 v19, v2 offset:32
.LBB132_15:
	s_or_b64 exec, exec, s[12:13]
	v_cmp_gt_i32_e64 s[12:13], 0, v3
	v_cndmask_b32_e64 v2, v20, 0, s[12:13]
	v_xor_b32_e32 v12, v2, v3
	v_cmp_ne_u32_e64 s[12:13], s16, v12
	v_cndmask_b32_e64 v2, v20, v12, s[12:13]
	v_lshrrev_b32_e32 v2, s48, v2
	v_and_b32_e32 v2, s33, v2
	v_lshl_add_u32 v3, v2, 3, v2
	v_add_lshl_u32 v20, v3, v21, 2
	v_and_b32_e32 v3, 1, v2
	v_add_co_u32_e64 v11, s[12:13], -1, v3
	v_addc_co_u32_e64 v22, s[12:13], 0, -1, s[12:13]
	v_cmp_ne_u32_e64 s[12:13], 0, v3
	v_xor_b32_e32 v11, s12, v11
	v_xor_b32_e32 v3, s13, v22
	v_and_b32_e32 v22, exec_lo, v11
	v_lshlrev_b32_e32 v11, 30, v2
	v_cmp_gt_i64_e64 s[12:13], 0, v[10:11]
	v_not_b32_e32 v11, v11
	v_ashrrev_i32_e32 v11, 31, v11
	v_xor_b32_e32 v23, s13, v11
	v_xor_b32_e32 v11, s12, v11
	v_and_b32_e32 v22, v22, v11
	v_lshlrev_b32_e32 v11, 29, v2
	v_cmp_gt_i64_e64 s[12:13], 0, v[10:11]
	v_not_b32_e32 v11, v11
	v_and_b32_e32 v3, exec_hi, v3
	v_ashrrev_i32_e32 v11, 31, v11
	v_and_b32_e32 v3, v3, v23
	v_xor_b32_e32 v23, s13, v11
	v_xor_b32_e32 v11, s12, v11
	v_and_b32_e32 v22, v22, v11
	v_lshlrev_b32_e32 v11, 28, v2
	v_cmp_gt_i64_e64 s[12:13], 0, v[10:11]
	v_not_b32_e32 v11, v11
	v_ashrrev_i32_e32 v11, 31, v11
	v_and_b32_e32 v3, v3, v23
	v_xor_b32_e32 v23, s13, v11
	v_xor_b32_e32 v11, s12, v11
	v_and_b32_e32 v22, v22, v11
	v_lshlrev_b32_e32 v11, 27, v2
	v_cmp_gt_i64_e64 s[12:13], 0, v[10:11]
	v_not_b32_e32 v11, v11
	;; [unrolled: 8-line block ×4, first 2 shown]
	v_ashrrev_i32_e32 v11, 31, v11
	v_and_b32_e32 v3, v3, v23
	v_xor_b32_e32 v23, s13, v11
	v_xor_b32_e32 v11, s12, v11
	v_and_b32_e32 v22, v22, v11
	v_lshlrev_b32_e32 v11, 24, v2
	v_not_b32_e32 v2, v11
	v_cmp_gt_i64_e64 s[12:13], 0, v[10:11]
	v_ashrrev_i32_e32 v2, 31, v2
	v_xor_b32_e32 v10, s13, v2
	v_xor_b32_e32 v2, s12, v2
	; wave barrier
	ds_read_b32 v13, v20 offset:32
	v_and_b32_e32 v3, v3, v23
	v_and_b32_e32 v2, v22, v2
	;; [unrolled: 1-line block ×3, first 2 shown]
	v_mbcnt_lo_u32_b32 v10, v2, 0
	v_mbcnt_hi_u32_b32 v22, v3, v10
	v_cmp_eq_u32_e64 s[12:13], 0, v22
	v_cmp_ne_u64_e64 s[14:15], 0, v[2:3]
	s_and_b64 s[14:15], s[14:15], s[12:13]
	; wave barrier
	s_and_saveexec_b64 s[12:13], s[14:15]
	s_cbranch_execz .LBB132_17
; %bb.16:
	v_bcnt_u32_b32 v2, v2, 0
	v_bcnt_u32_b32 v2, v3, v2
	s_waitcnt lgkmcnt(0)
	v_add_u32_e32 v2, v13, v2
	ds_write_b32 v20, v2 offset:32
.LBB132_17:
	s_or_b64 exec, exec, s[12:13]
	v_bfrev_b32_e32 v27, -2
	v_cmp_gt_i32_e64 s[12:13], 0, v4
	v_cndmask_b32_e64 v3, v27, 0, s[12:13]
	v_xor_b32_e32 v23, v3, v4
	v_cmp_ne_u32_e64 s[12:13], s16, v23
	v_cndmask_b32_e64 v3, v27, v23, s[12:13]
	v_lshrrev_b32_e32 v3, s48, v3
	v_and_b32_e32 v4, s33, v3
	v_lshl_add_u32 v3, v4, 3, v4
	v_add_lshl_u32 v25, v3, v21, 2
	v_and_b32_e32 v3, 1, v4
	v_add_co_u32_e64 v10, s[12:13], -1, v3
	v_addc_co_u32_e64 v11, s[12:13], 0, -1, s[12:13]
	v_cmp_ne_u32_e64 s[12:13], 0, v3
	v_xor_b32_e32 v3, s13, v11
	v_mov_b32_e32 v2, 0
	v_and_b32_e32 v11, exec_hi, v3
	v_lshlrev_b32_e32 v3, 30, v4
	v_xor_b32_e32 v10, s12, v10
	v_cmp_gt_i64_e64 s[12:13], 0, v[2:3]
	v_not_b32_e32 v3, v3
	v_ashrrev_i32_e32 v3, 31, v3
	v_and_b32_e32 v10, exec_lo, v10
	v_xor_b32_e32 v26, s13, v3
	v_xor_b32_e32 v3, s12, v3
	v_and_b32_e32 v10, v10, v3
	v_lshlrev_b32_e32 v3, 29, v4
	v_cmp_gt_i64_e64 s[12:13], 0, v[2:3]
	v_not_b32_e32 v3, v3
	v_ashrrev_i32_e32 v3, 31, v3
	v_and_b32_e32 v11, v11, v26
	v_xor_b32_e32 v26, s13, v3
	v_xor_b32_e32 v3, s12, v3
	v_and_b32_e32 v10, v10, v3
	v_lshlrev_b32_e32 v3, 28, v4
	v_cmp_gt_i64_e64 s[12:13], 0, v[2:3]
	v_not_b32_e32 v3, v3
	v_ashrrev_i32_e32 v3, 31, v3
	v_and_b32_e32 v11, v11, v26
	v_xor_b32_e32 v26, s13, v3
	v_xor_b32_e32 v3, s12, v3
	v_and_b32_e32 v10, v10, v3
	v_lshlrev_b32_e32 v3, 27, v4
	v_cmp_gt_i64_e64 s[12:13], 0, v[2:3]
	v_not_b32_e32 v3, v3
	v_ashrrev_i32_e32 v3, 31, v3
	v_and_b32_e32 v11, v11, v26
	v_xor_b32_e32 v26, s13, v3
	v_xor_b32_e32 v3, s12, v3
	v_and_b32_e32 v10, v10, v3
	v_lshlrev_b32_e32 v3, 26, v4
	v_cmp_gt_i64_e64 s[12:13], 0, v[2:3]
	v_not_b32_e32 v3, v3
	v_ashrrev_i32_e32 v3, 31, v3
	v_and_b32_e32 v11, v11, v26
	v_xor_b32_e32 v26, s13, v3
	v_xor_b32_e32 v3, s12, v3
	v_and_b32_e32 v10, v10, v3
	v_lshlrev_b32_e32 v3, 25, v4
	v_cmp_gt_i64_e64 s[12:13], 0, v[2:3]
	v_not_b32_e32 v3, v3
	v_ashrrev_i32_e32 v3, 31, v3
	v_and_b32_e32 v11, v11, v26
	v_xor_b32_e32 v26, s13, v3
	v_xor_b32_e32 v3, s12, v3
	v_and_b32_e32 v10, v10, v3
	v_lshlrev_b32_e32 v3, 24, v4
	v_cmp_gt_i64_e64 s[12:13], 0, v[2:3]
	v_not_b32_e32 v3, v3
	v_ashrrev_i32_e32 v3, 31, v3
	v_xor_b32_e32 v4, s13, v3
	v_xor_b32_e32 v3, s12, v3
	; wave barrier
	ds_read_b32 v24, v25 offset:32
	v_and_b32_e32 v11, v11, v26
	v_and_b32_e32 v10, v10, v3
	v_and_b32_e32 v11, v11, v4
	v_mbcnt_lo_u32_b32 v3, v10, 0
	v_mbcnt_hi_u32_b32 v26, v11, v3
	v_cmp_eq_u32_e64 s[12:13], 0, v26
	v_cmp_ne_u64_e64 s[14:15], 0, v[10:11]
	s_and_b64 s[14:15], s[14:15], s[12:13]
	; wave barrier
	s_and_saveexec_b64 s[12:13], s[14:15]
	s_cbranch_execz .LBB132_19
; %bb.18:
	v_bcnt_u32_b32 v3, v10, 0
	v_bcnt_u32_b32 v3, v11, v3
	s_waitcnt lgkmcnt(0)
	v_add_u32_e32 v3, v24, v3
	ds_write_b32 v25, v3 offset:32
.LBB132_19:
	s_or_b64 exec, exec, s[12:13]
	v_cmp_gt_i32_e64 s[12:13], 0, v5
	v_cndmask_b32_e64 v3, v27, 0, s[12:13]
	v_xor_b32_e32 v10, v3, v5
	v_cmp_ne_u32_e64 s[12:13], s16, v10
	v_cndmask_b32_e64 v3, v27, v10, s[12:13]
	v_lshrrev_b32_e32 v3, s48, v3
	v_and_b32_e32 v4, s33, v3
	v_lshl_add_u32 v3, v4, 3, v4
	v_add_lshl_u32 v27, v3, v21, 2
	v_and_b32_e32 v3, 1, v4
	v_add_co_u32_e64 v5, s[12:13], -1, v3
	v_addc_co_u32_e64 v28, s[12:13], 0, -1, s[12:13]
	v_cmp_ne_u32_e64 s[12:13], 0, v3
	v_xor_b32_e32 v3, s13, v28
	v_and_b32_e32 v28, exec_hi, v3
	v_lshlrev_b32_e32 v3, 30, v4
	v_xor_b32_e32 v5, s12, v5
	v_cmp_gt_i64_e64 s[12:13], 0, v[2:3]
	v_not_b32_e32 v3, v3
	v_ashrrev_i32_e32 v3, 31, v3
	v_and_b32_e32 v5, exec_lo, v5
	v_xor_b32_e32 v29, s13, v3
	v_xor_b32_e32 v3, s12, v3
	v_and_b32_e32 v5, v5, v3
	v_lshlrev_b32_e32 v3, 29, v4
	v_cmp_gt_i64_e64 s[12:13], 0, v[2:3]
	v_not_b32_e32 v3, v3
	v_ashrrev_i32_e32 v3, 31, v3
	v_and_b32_e32 v28, v28, v29
	v_xor_b32_e32 v29, s13, v3
	v_xor_b32_e32 v3, s12, v3
	v_and_b32_e32 v5, v5, v3
	v_lshlrev_b32_e32 v3, 28, v4
	v_cmp_gt_i64_e64 s[12:13], 0, v[2:3]
	v_not_b32_e32 v3, v3
	v_ashrrev_i32_e32 v3, 31, v3
	v_and_b32_e32 v28, v28, v29
	;; [unrolled: 8-line block ×5, first 2 shown]
	v_xor_b32_e32 v29, s13, v3
	v_xor_b32_e32 v3, s12, v3
	v_and_b32_e32 v5, v5, v3
	v_lshlrev_b32_e32 v3, 24, v4
	v_cmp_gt_i64_e64 s[12:13], 0, v[2:3]
	v_not_b32_e32 v2, v3
	v_ashrrev_i32_e32 v2, 31, v2
	v_xor_b32_e32 v3, s13, v2
	v_xor_b32_e32 v2, s12, v2
	; wave barrier
	ds_read_b32 v11, v27 offset:32
	v_and_b32_e32 v28, v28, v29
	v_and_b32_e32 v2, v5, v2
	;; [unrolled: 1-line block ×3, first 2 shown]
	v_mbcnt_lo_u32_b32 v4, v2, 0
	v_mbcnt_hi_u32_b32 v29, v3, v4
	v_cmp_eq_u32_e64 s[12:13], 0, v29
	v_cmp_ne_u64_e64 s[14:15], 0, v[2:3]
	s_and_b64 s[14:15], s[14:15], s[12:13]
	; wave barrier
	s_and_saveexec_b64 s[12:13], s[14:15]
	s_cbranch_execz .LBB132_21
; %bb.20:
	v_bcnt_u32_b32 v2, v2, 0
	v_bcnt_u32_b32 v2, v3, v2
	s_waitcnt lgkmcnt(0)
	v_add_u32_e32 v2, v11, v2
	ds_write_b32 v27, v2 offset:32
.LBB132_21:
	s_or_b64 exec, exec, s[12:13]
	v_bfrev_b32_e32 v32, -2
	v_cmp_gt_i32_e64 s[12:13], 0, v6
	v_cndmask_b32_e64 v3, v32, 0, s[12:13]
	v_xor_b32_e32 v6, v3, v6
	v_cmp_ne_u32_e64 s[12:13], s16, v6
	v_cndmask_b32_e64 v3, v32, v6, s[12:13]
	v_lshrrev_b32_e32 v3, s48, v3
	v_and_b32_e32 v4, s33, v3
	v_lshl_add_u32 v3, v4, 3, v4
	v_add_lshl_u32 v28, v3, v21, 2
	v_and_b32_e32 v3, 1, v4
	v_add_co_u32_e64 v5, s[12:13], -1, v3
	v_addc_co_u32_e64 v31, s[12:13], 0, -1, s[12:13]
	v_cmp_ne_u32_e64 s[12:13], 0, v3
	v_xor_b32_e32 v3, s13, v31
	v_mov_b32_e32 v2, 0
	v_and_b32_e32 v31, exec_hi, v3
	v_lshlrev_b32_e32 v3, 30, v4
	v_xor_b32_e32 v5, s12, v5
	v_cmp_gt_i64_e64 s[12:13], 0, v[2:3]
	v_not_b32_e32 v3, v3
	v_ashrrev_i32_e32 v3, 31, v3
	v_and_b32_e32 v5, exec_lo, v5
	v_xor_b32_e32 v33, s13, v3
	v_xor_b32_e32 v3, s12, v3
	v_and_b32_e32 v5, v5, v3
	v_lshlrev_b32_e32 v3, 29, v4
	v_cmp_gt_i64_e64 s[12:13], 0, v[2:3]
	v_not_b32_e32 v3, v3
	v_ashrrev_i32_e32 v3, 31, v3
	v_and_b32_e32 v31, v31, v33
	v_xor_b32_e32 v33, s13, v3
	v_xor_b32_e32 v3, s12, v3
	v_and_b32_e32 v5, v5, v3
	v_lshlrev_b32_e32 v3, 28, v4
	v_cmp_gt_i64_e64 s[12:13], 0, v[2:3]
	v_not_b32_e32 v3, v3
	v_ashrrev_i32_e32 v3, 31, v3
	v_and_b32_e32 v31, v31, v33
	;; [unrolled: 8-line block ×5, first 2 shown]
	v_xor_b32_e32 v33, s13, v3
	v_xor_b32_e32 v3, s12, v3
	v_and_b32_e32 v31, v31, v33
	v_and_b32_e32 v33, v5, v3
	v_lshlrev_b32_e32 v3, 24, v4
	v_cmp_gt_i64_e64 s[12:13], 0, v[2:3]
	v_not_b32_e32 v3, v3
	v_ashrrev_i32_e32 v3, 31, v3
	v_xor_b32_e32 v4, s13, v3
	v_xor_b32_e32 v3, s12, v3
	; wave barrier
	ds_read_b32 v30, v28 offset:32
	v_and_b32_e32 v5, v31, v4
	v_and_b32_e32 v4, v33, v3
	v_mbcnt_lo_u32_b32 v3, v4, 0
	v_mbcnt_hi_u32_b32 v31, v5, v3
	v_cmp_eq_u32_e64 s[12:13], 0, v31
	v_cmp_ne_u64_e64 s[14:15], 0, v[4:5]
	s_and_b64 s[14:15], s[14:15], s[12:13]
	; wave barrier
	s_and_saveexec_b64 s[12:13], s[14:15]
	s_cbranch_execz .LBB132_23
; %bb.22:
	v_bcnt_u32_b32 v3, v4, 0
	v_bcnt_u32_b32 v3, v5, v3
	s_waitcnt lgkmcnt(0)
	v_add_u32_e32 v3, v30, v3
	ds_write_b32 v28, v3 offset:32
.LBB132_23:
	s_or_b64 exec, exec, s[12:13]
	v_cmp_gt_i32_e64 s[12:13], 0, v7
	v_cndmask_b32_e64 v3, v32, 0, s[12:13]
	v_xor_b32_e32 v7, v3, v7
	v_cmp_ne_u32_e64 s[12:13], s16, v7
	v_cndmask_b32_e64 v3, v32, v7, s[12:13]
	v_lshrrev_b32_e32 v3, s48, v3
	v_and_b32_e32 v4, s33, v3
	v_lshl_add_u32 v3, v4, 3, v4
	v_add_lshl_u32 v34, v3, v21, 2
	v_and_b32_e32 v3, 1, v4
	v_add_co_u32_e64 v5, s[12:13], -1, v3
	v_addc_co_u32_e64 v21, s[12:13], 0, -1, s[12:13]
	v_cmp_ne_u32_e64 s[12:13], 0, v3
	v_xor_b32_e32 v3, s13, v21
	v_and_b32_e32 v21, exec_hi, v3
	v_lshlrev_b32_e32 v3, 30, v4
	v_xor_b32_e32 v5, s12, v5
	v_cmp_gt_i64_e64 s[12:13], 0, v[2:3]
	v_not_b32_e32 v3, v3
	v_ashrrev_i32_e32 v3, 31, v3
	v_and_b32_e32 v5, exec_lo, v5
	v_xor_b32_e32 v35, s13, v3
	v_xor_b32_e32 v3, s12, v3
	v_and_b32_e32 v5, v5, v3
	v_lshlrev_b32_e32 v3, 29, v4
	v_cmp_gt_i64_e64 s[12:13], 0, v[2:3]
	v_not_b32_e32 v3, v3
	v_ashrrev_i32_e32 v3, 31, v3
	v_and_b32_e32 v21, v21, v35
	v_xor_b32_e32 v35, s13, v3
	v_xor_b32_e32 v3, s12, v3
	v_and_b32_e32 v5, v5, v3
	v_lshlrev_b32_e32 v3, 28, v4
	v_cmp_gt_i64_e64 s[12:13], 0, v[2:3]
	v_not_b32_e32 v3, v3
	v_ashrrev_i32_e32 v3, 31, v3
	v_and_b32_e32 v21, v21, v35
	;; [unrolled: 8-line block ×5, first 2 shown]
	v_xor_b32_e32 v35, s13, v3
	v_xor_b32_e32 v3, s12, v3
	v_and_b32_e32 v5, v5, v3
	v_lshlrev_b32_e32 v3, 24, v4
	v_cmp_gt_i64_e64 s[12:13], 0, v[2:3]
	v_not_b32_e32 v2, v3
	v_ashrrev_i32_e32 v2, 31, v2
	v_xor_b32_e32 v3, s13, v2
	v_xor_b32_e32 v2, s12, v2
	; wave barrier
	ds_read_b32 v32, v34 offset:32
	v_and_b32_e32 v21, v21, v35
	v_and_b32_e32 v2, v5, v2
	;; [unrolled: 1-line block ×3, first 2 shown]
	v_mbcnt_lo_u32_b32 v4, v2, 0
	v_mbcnt_hi_u32_b32 v35, v3, v4
	v_cmp_eq_u32_e64 s[12:13], 0, v35
	v_cmp_ne_u64_e64 s[14:15], 0, v[2:3]
	v_add_u32_e32 v33, 32, v17
	s_and_b64 s[14:15], s[14:15], s[12:13]
	; wave barrier
	s_and_saveexec_b64 s[12:13], s[14:15]
	s_cbranch_execz .LBB132_25
; %bb.24:
	v_bcnt_u32_b32 v2, v2, 0
	v_bcnt_u32_b32 v2, v3, v2
	s_waitcnt lgkmcnt(0)
	v_add_u32_e32 v2, v32, v2
	ds_write_b32 v34, v2 offset:32
.LBB132_25:
	s_or_b64 exec, exec, s[12:13]
	; wave barrier
	s_waitcnt lgkmcnt(0)
	s_barrier
	ds_read2_b32 v[4:5], v17 offset0:8 offset1:9
	ds_read2_b32 v[2:3], v33 offset0:2 offset1:3
	ds_read_b32 v21, v33 offset:16
	v_min_u32_e32 v15, 0x1c0, v15
	v_or_b32_e32 v15, 63, v15
	s_waitcnt lgkmcnt(1)
	v_add3_u32 v36, v5, v4, v2
	s_waitcnt lgkmcnt(0)
	v_add3_u32 v21, v36, v3, v21
	v_and_b32_e32 v36, 15, v14
	v_cmp_ne_u32_e64 s[12:13], 0, v36
	v_mov_b32_dpp v37, v21 row_shr:1 row_mask:0xf bank_mask:0xf
	v_cndmask_b32_e64 v37, 0, v37, s[12:13]
	v_add_u32_e32 v21, v37, v21
	v_cmp_lt_u32_e64 s[12:13], 1, v36
	s_nop 0
	v_mov_b32_dpp v37, v21 row_shr:2 row_mask:0xf bank_mask:0xf
	v_cndmask_b32_e64 v37, 0, v37, s[12:13]
	v_add_u32_e32 v21, v21, v37
	v_cmp_lt_u32_e64 s[12:13], 3, v36
	s_nop 0
	;; [unrolled: 5-line block ×3, first 2 shown]
	v_mov_b32_dpp v37, v21 row_shr:8 row_mask:0xf bank_mask:0xf
	v_cndmask_b32_e64 v36, 0, v37, s[12:13]
	v_add_u32_e32 v21, v21, v36
	v_bfe_i32 v37, v14, 4, 1
	v_cmp_lt_u32_e64 s[12:13], 31, v14
	v_mov_b32_dpp v36, v21 row_bcast:15 row_mask:0xf bank_mask:0xf
	v_and_b32_e32 v36, v37, v36
	v_add_u32_e32 v21, v21, v36
	v_lshrrev_b32_e32 v37, 6, v8
	s_nop 0
	v_mov_b32_dpp v36, v21 row_bcast:31 row_mask:0xf bank_mask:0xf
	v_cndmask_b32_e64 v36, 0, v36, s[12:13]
	v_add_u32_e32 v36, v21, v36
	v_cmp_eq_u32_e64 s[12:13], v15, v8
	s_and_saveexec_b64 s[14:15], s[12:13]
	s_cbranch_execz .LBB132_27
; %bb.26:
	v_lshlrev_b32_e32 v15, 2, v37
	ds_write_b32 v15, v36
.LBB132_27:
	s_or_b64 exec, exec, s[14:15]
	v_cmp_gt_u32_e64 s[12:13], 8, v8
	v_lshlrev_b32_e32 v21, 2, v8
	s_waitcnt lgkmcnt(0)
	s_barrier
	s_and_saveexec_b64 s[14:15], s[12:13]
	s_cbranch_execz .LBB132_29
; %bb.28:
	ds_read_b32 v15, v21
	v_and_b32_e32 v38, 7, v14
	v_cmp_ne_u32_e64 s[12:13], 0, v38
	s_waitcnt lgkmcnt(0)
	v_mov_b32_dpp v39, v15 row_shr:1 row_mask:0xf bank_mask:0xf
	v_cndmask_b32_e64 v39, 0, v39, s[12:13]
	v_add_u32_e32 v15, v39, v15
	v_cmp_lt_u32_e64 s[12:13], 1, v38
	s_nop 0
	v_mov_b32_dpp v39, v15 row_shr:2 row_mask:0xf bank_mask:0xf
	v_cndmask_b32_e64 v39, 0, v39, s[12:13]
	v_add_u32_e32 v15, v15, v39
	v_cmp_lt_u32_e64 s[12:13], 3, v38
	s_nop 0
	v_mov_b32_dpp v39, v15 row_shr:4 row_mask:0xf bank_mask:0xf
	v_cndmask_b32_e64 v38, 0, v39, s[12:13]
	v_add_u32_e32 v15, v15, v38
	ds_write_b32 v21, v15
.LBB132_29:
	s_or_b64 exec, exec, s[14:15]
	v_cmp_lt_u32_e64 s[12:13], 63, v8
	v_mov_b32_e32 v15, 0
	s_waitcnt lgkmcnt(0)
	s_barrier
	s_and_saveexec_b64 s[14:15], s[12:13]
	s_cbranch_execz .LBB132_31
; %bb.30:
	v_lshl_add_u32 v15, v37, 2, -4
	ds_read_b32 v15, v15
.LBB132_31:
	s_or_b64 exec, exec, s[14:15]
	v_add_u32_e32 v37, -1, v14
	v_and_b32_e32 v38, 64, v14
	v_cmp_lt_i32_e64 s[12:13], v37, v38
	v_cndmask_b32_e64 v37, v37, v14, s[12:13]
	s_waitcnt lgkmcnt(0)
	v_add_u32_e32 v36, v15, v36
	v_lshlrev_b32_e32 v37, 2, v37
	ds_bpermute_b32 v36, v37, v36
	v_cmp_eq_u32_e64 s[12:13], 0, v14
	s_waitcnt lgkmcnt(0)
	v_cndmask_b32_e64 v15, v36, v15, s[12:13]
	v_cmp_ne_u32_e64 s[12:13], 0, v8
	v_cndmask_b32_e64 v15, 0, v15, s[12:13]
	v_add_u32_e32 v4, v15, v4
	v_add_u32_e32 v5, v4, v5
	;; [unrolled: 1-line block ×4, first 2 shown]
	ds_write2_b32 v17, v15, v4 offset0:8 offset1:9
	ds_write2_b32 v33, v5, v2 offset0:2 offset1:3
	ds_write_b32 v33, v3 offset:16
	s_waitcnt lgkmcnt(0)
	s_barrier
	ds_read_b32 v4, v19 offset:32
	ds_read_b32 v5, v20 offset:32
	;; [unrolled: 1-line block ×6, first 2 shown]
	s_movk_i32 s12, 0x100
	v_cmp_gt_u32_e64 s[12:13], s12, v8
	v_pk_mov_b32 v[2:3], 0, 0
                                        ; implicit-def: $vgpr20
	s_and_saveexec_b64 s[16:17], s[12:13]
	s_cbranch_execz .LBB132_35
; %bb.32:
	v_mul_u32_u24_e32 v2, 9, v8
	v_lshlrev_b32_e32 v20, 2, v2
	ds_read_b32 v2, v20 offset:32
	s_movk_i32 s14, 0xff
	v_cmp_ne_u32_e64 s[14:15], s14, v8
	v_mov_b32_e32 v3, 0xc00
	s_and_saveexec_b64 s[18:19], s[14:15]
	s_cbranch_execz .LBB132_34
; %bb.33:
	ds_read_b32 v3, v20 offset:68
.LBB132_34:
	s_or_b64 exec, exec, s[18:19]
	s_waitcnt lgkmcnt(0)
	v_sub_u32_e32 v20, v3, v2
	v_mov_b32_e32 v3, 0
.LBB132_35:
	s_or_b64 exec, exec, s[16:17]
	s_waitcnt lgkmcnt(5)
	v_add_u32_e32 v28, v4, v18
	s_waitcnt lgkmcnt(4)
	v_add3_u32 v27, v22, v13, v5
	v_lshlrev_b32_e32 v4, 2, v28
	s_waitcnt lgkmcnt(3)
	v_add3_u32 v26, v26, v24, v15
	s_waitcnt lgkmcnt(0)
	s_barrier
	ds_write_b32 v4, v16 offset:2048
	v_lshlrev_b32_e32 v4, 2, v27
	v_add3_u32 v25, v29, v11, v17
	ds_write_b32 v4, v12 offset:2048
	v_lshlrev_b32_e32 v4, 2, v26
	v_add3_u32 v24, v31, v30, v19
	;; [unrolled: 3-line block ×3, first 2 shown]
	ds_write_b32 v4, v10 offset:2048
	v_lshlrev_b32_e32 v4, 2, v24
	ds_write_b32 v4, v6 offset:2048
	v_lshlrev_b32_e32 v4, 2, v22
	ds_write_b32 v4, v7 offset:2048
	s_waitcnt lgkmcnt(0)
	s_barrier
	s_and_saveexec_b64 s[16:17], s[12:13]
	s_cbranch_execz .LBB132_45
; %bb.36:
	v_lshl_or_b32 v4, s6, 8, v8
	v_mov_b32_e32 v5, 0
	v_lshlrev_b64 v[6:7], 2, v[4:5]
	v_mov_b32_e32 v12, s35
	v_add_co_u32_e64 v6, s[14:15], s34, v6
	v_addc_co_u32_e64 v7, s[14:15], v12, v7, s[14:15]
	v_or_b32_e32 v4, 2.0, v20
	s_mov_b64 s[18:19], 0
	s_brev_b32 s24, 1
	s_mov_b32 s25, s6
	v_mov_b32_e32 v13, 0
	global_store_dword v[6:7], v4, off
                                        ; implicit-def: $sgpr14_sgpr15
	s_branch .LBB132_38
.LBB132_37:                             ;   in Loop: Header=BB132_38 Depth=1
	s_or_b64 exec, exec, s[20:21]
	v_and_b32_e32 v10, 0x3fffffff, v15
	v_add_u32_e32 v13, v10, v13
	v_cmp_eq_u32_e64 s[14:15], s24, v4
	s_and_b64 s[20:21], exec, s[14:15]
	s_or_b64 s[18:19], s[20:21], s[18:19]
	s_andn2_b64 exec, exec, s[18:19]
	s_cbranch_execz .LBB132_44
.LBB132_38:                             ; =>This Loop Header: Depth=1
                                        ;     Child Loop BB132_41 Depth 2
	s_or_b64 s[14:15], s[14:15], exec
	s_cmp_eq_u32 s25, 0
	s_cbranch_scc1 .LBB132_43
; %bb.39:                               ;   in Loop: Header=BB132_38 Depth=1
	s_add_i32 s25, s25, -1
	v_lshl_or_b32 v4, s25, 8, v8
	v_lshlrev_b64 v[10:11], 2, v[4:5]
	v_add_co_u32_e64 v10, s[14:15], s34, v10
	v_addc_co_u32_e64 v11, s[14:15], v12, v11, s[14:15]
	global_load_dword v15, v[10:11], off glc
	s_waitcnt vmcnt(0)
	v_and_b32_e32 v4, -2.0, v15
	v_cmp_eq_u32_e64 s[14:15], 0, v4
	s_and_saveexec_b64 s[20:21], s[14:15]
	s_cbranch_execz .LBB132_37
; %bb.40:                               ;   in Loop: Header=BB132_38 Depth=1
	s_mov_b64 s[22:23], 0
.LBB132_41:                             ;   Parent Loop BB132_38 Depth=1
                                        ; =>  This Inner Loop Header: Depth=2
	global_load_dword v15, v[10:11], off glc
	s_waitcnt vmcnt(0)
	v_and_b32_e32 v4, -2.0, v15
	v_cmp_ne_u32_e64 s[14:15], 0, v4
	s_or_b64 s[22:23], s[14:15], s[22:23]
	s_andn2_b64 exec, exec, s[22:23]
	s_cbranch_execnz .LBB132_41
; %bb.42:                               ;   in Loop: Header=BB132_38 Depth=1
	s_or_b64 exec, exec, s[22:23]
	s_branch .LBB132_37
.LBB132_43:                             ;   in Loop: Header=BB132_38 Depth=1
                                        ; implicit-def: $sgpr25
	s_and_b64 s[20:21], exec, s[14:15]
	s_or_b64 s[18:19], s[20:21], s[18:19]
	s_andn2_b64 exec, exec, s[18:19]
	s_cbranch_execnz .LBB132_38
.LBB132_44:
	s_or_b64 exec, exec, s[18:19]
	v_add_u32_e32 v4, v13, v20
	v_or_b32_e32 v4, 0x80000000, v4
	global_store_dword v[6:7], v4, off
	v_lshlrev_b32_e32 v6, 3, v8
	global_load_dwordx2 v[4:5], v6, s[44:45]
	v_sub_co_u32_e64 v7, s[14:15], v13, v2
	v_subb_co_u32_e64 v10, s[14:15], 0, v3, s[14:15]
	s_waitcnt vmcnt(0)
	v_add_co_u32_e64 v4, s[14:15], v7, v4
	v_addc_co_u32_e64 v5, s[14:15], v10, v5, s[14:15]
	ds_write_b64 v6, v[4:5]
.LBB132_45:
	s_or_b64 exec, exec, s[16:17]
	v_cmp_gt_u32_e64 s[14:15], s50, v8
	s_waitcnt lgkmcnt(0)
	s_barrier
	s_and_saveexec_b64 s[18:19], s[14:15]
	s_cbranch_execz .LBB132_47
; %bb.46:
	ds_read_b32 v6, v21 offset:2048
	s_brev_b32 s16, 1
	v_bfrev_b32_e32 v7, -2
	v_mov_b32_e32 v10, s39
	s_waitcnt lgkmcnt(0)
	v_cmp_ne_u32_e64 s[16:17], s16, v6
	v_cndmask_b32_e64 v4, v7, v6, s[16:17]
	v_lshrrev_b32_e32 v4, s48, v4
	v_and_b32_e32 v4, s33, v4
	v_lshlrev_b32_e32 v4, 3, v4
	ds_read_b64 v[4:5], v4
	v_cmp_gt_i32_e64 s[16:17], 0, v6
	v_cndmask_b32_e64 v7, v7, 0, s[16:17]
	v_xor_b32_e32 v6, v7, v6
	s_waitcnt lgkmcnt(0)
	v_lshlrev_b64 v[4:5], 2, v[4:5]
	v_add_co_u32_e64 v4, s[16:17], s38, v4
	v_addc_co_u32_e64 v5, s[16:17], v10, v5, s[16:17]
	v_add_co_u32_e64 v4, s[16:17], v4, v21
	v_addc_co_u32_e64 v5, s[16:17], 0, v5, s[16:17]
	global_store_dword v[4:5], v6, off
.LBB132_47:
	s_or_b64 exec, exec, s[18:19]
	v_add_u32_e32 v23, 0x200, v8
	v_cmp_gt_u32_e64 s[16:17], s50, v23
	s_and_saveexec_b64 s[20:21], s[16:17]
	s_cbranch_execz .LBB132_49
; %bb.48:
	ds_read_b32 v6, v21 offset:4096
	s_brev_b32 s18, 1
	v_bfrev_b32_e32 v7, -2
	v_mov_b32_e32 v10, s39
	s_waitcnt lgkmcnt(0)
	v_cmp_ne_u32_e64 s[18:19], s18, v6
	v_cndmask_b32_e64 v4, v7, v6, s[18:19]
	v_lshrrev_b32_e32 v4, s48, v4
	v_and_b32_e32 v4, s33, v4
	v_lshlrev_b32_e32 v4, 3, v4
	ds_read_b64 v[4:5], v4
	v_cmp_gt_i32_e64 s[18:19], 0, v6
	v_cndmask_b32_e64 v7, v7, 0, s[18:19]
	v_xor_b32_e32 v6, v7, v6
	s_waitcnt lgkmcnt(0)
	v_lshlrev_b64 v[4:5], 2, v[4:5]
	v_add_co_u32_e64 v4, s[18:19], s38, v4
	v_addc_co_u32_e64 v5, s[18:19], v10, v5, s[18:19]
	v_add_co_u32_e64 v4, s[18:19], v4, v21
	v_addc_co_u32_e64 v5, s[18:19], 0, v5, s[18:19]
	global_store_dword v[4:5], v6, off offset:2048
.LBB132_49:
	s_or_b64 exec, exec, s[20:21]
	v_or_b32_e32 v29, 0x400, v8
	v_cmp_gt_u32_e64 s[18:19], s50, v29
	s_and_saveexec_b64 s[22:23], s[18:19]
	s_cbranch_execz .LBB132_51
; %bb.50:
	ds_read_b32 v6, v21 offset:6144
	s_brev_b32 s20, 1
	v_bfrev_b32_e32 v7, -2
	v_mov_b32_e32 v10, s39
	s_waitcnt lgkmcnt(0)
	v_cmp_ne_u32_e64 s[20:21], s20, v6
	v_cndmask_b32_e64 v4, v7, v6, s[20:21]
	v_lshrrev_b32_e32 v4, s48, v4
	v_and_b32_e32 v4, s33, v4
	v_lshlrev_b32_e32 v4, 3, v4
	ds_read_b64 v[4:5], v4
	v_cmp_gt_i32_e64 s[20:21], 0, v6
	v_cndmask_b32_e64 v7, v7, 0, s[20:21]
	v_xor_b32_e32 v6, v7, v6
	v_lshlrev_b32_e32 v7, 2, v29
	s_waitcnt lgkmcnt(0)
	v_lshlrev_b64 v[4:5], 2, v[4:5]
	v_add_co_u32_e64 v4, s[20:21], s38, v4
	v_addc_co_u32_e64 v5, s[20:21], v10, v5, s[20:21]
	v_add_co_u32_e64 v4, s[20:21], v4, v7
	v_addc_co_u32_e64 v5, s[20:21], 0, v5, s[20:21]
	global_store_dword v[4:5], v6, off
.LBB132_51:
	s_or_b64 exec, exec, s[22:23]
	v_add_u32_e32 v30, 0x600, v8
	v_cmp_gt_u32_e64 s[20:21], s50, v30
	s_and_saveexec_b64 s[24:25], s[20:21]
	s_cbranch_execz .LBB132_53
; %bb.52:
	ds_read_b32 v6, v21 offset:8192
	s_brev_b32 s22, 1
	v_bfrev_b32_e32 v7, -2
	v_mov_b32_e32 v10, s39
	s_waitcnt lgkmcnt(0)
	v_cmp_ne_u32_e64 s[22:23], s22, v6
	v_cndmask_b32_e64 v4, v7, v6, s[22:23]
	v_lshrrev_b32_e32 v4, s48, v4
	v_and_b32_e32 v4, s33, v4
	v_lshlrev_b32_e32 v4, 3, v4
	ds_read_b64 v[4:5], v4
	v_cmp_gt_i32_e64 s[22:23], 0, v6
	v_cndmask_b32_e64 v7, v7, 0, s[22:23]
	v_xor_b32_e32 v6, v7, v6
	v_lshlrev_b32_e32 v7, 2, v30
	s_waitcnt lgkmcnt(0)
	v_lshlrev_b64 v[4:5], 2, v[4:5]
	v_add_co_u32_e64 v4, s[22:23], s38, v4
	v_addc_co_u32_e64 v5, s[22:23], v10, v5, s[22:23]
	v_add_co_u32_e64 v4, s[22:23], v4, v7
	v_addc_co_u32_e64 v5, s[22:23], 0, v5, s[22:23]
	global_store_dword v[4:5], v6, off
.LBB132_53:
	s_or_b64 exec, exec, s[24:25]
	v_or_b32_e32 v31, 0x800, v8
	v_cmp_gt_u32_e64 s[22:23], s50, v31
	s_and_saveexec_b64 s[28:29], s[22:23]
	s_cbranch_execz .LBB132_55
; %bb.54:
	ds_read_b32 v6, v21 offset:10240
	s_brev_b32 s24, 1
	v_bfrev_b32_e32 v7, -2
	v_mov_b32_e32 v10, s39
	s_waitcnt lgkmcnt(0)
	v_cmp_ne_u32_e64 s[24:25], s24, v6
	v_cndmask_b32_e64 v4, v7, v6, s[24:25]
	v_lshrrev_b32_e32 v4, s48, v4
	v_and_b32_e32 v4, s33, v4
	v_lshlrev_b32_e32 v4, 3, v4
	ds_read_b64 v[4:5], v4
	v_cmp_gt_i32_e64 s[24:25], 0, v6
	v_cndmask_b32_e64 v7, v7, 0, s[24:25]
	v_xor_b32_e32 v6, v7, v6
	v_lshlrev_b32_e32 v7, 2, v31
	s_waitcnt lgkmcnt(0)
	v_lshlrev_b64 v[4:5], 2, v[4:5]
	v_add_co_u32_e64 v4, s[24:25], s38, v4
	v_addc_co_u32_e64 v5, s[24:25], v10, v5, s[24:25]
	v_add_co_u32_e64 v4, s[24:25], v4, v7
	v_addc_co_u32_e64 v5, s[24:25], 0, v5, s[24:25]
	global_store_dword v[4:5], v6, off
.LBB132_55:
	s_or_b64 exec, exec, s[28:29]
	v_add_u32_e32 v32, 0xa00, v8
	v_cmp_gt_u32_e64 s[24:25], s50, v32
	s_and_saveexec_b64 s[50:51], s[24:25]
	s_cbranch_execz .LBB132_57
; %bb.56:
	ds_read_b32 v6, v21 offset:12288
	s_brev_b32 s28, 1
	v_bfrev_b32_e32 v7, -2
	v_mov_b32_e32 v10, s39
	s_waitcnt lgkmcnt(0)
	v_cmp_ne_u32_e64 s[28:29], s28, v6
	v_cndmask_b32_e64 v4, v7, v6, s[28:29]
	v_lshrrev_b32_e32 v4, s48, v4
	v_and_b32_e32 v4, s33, v4
	v_lshlrev_b32_e32 v4, 3, v4
	ds_read_b64 v[4:5], v4
	v_cmp_gt_i32_e64 s[28:29], 0, v6
	v_cndmask_b32_e64 v7, v7, 0, s[28:29]
	v_xor_b32_e32 v6, v7, v6
	v_lshlrev_b32_e32 v7, 2, v32
	s_waitcnt lgkmcnt(0)
	v_lshlrev_b64 v[4:5], 2, v[4:5]
	v_add_co_u32_e64 v4, s[28:29], s38, v4
	v_addc_co_u32_e64 v5, s[28:29], v10, v5, s[28:29]
	v_add_co_u32_e64 v4, s[28:29], v4, v7
	v_addc_co_u32_e64 v5, s[28:29], 0, v5, s[28:29]
	global_store_dword v[4:5], v6, off
.LBB132_57:
	s_or_b64 exec, exec, s[50:51]
	s_lshl_b64 s[28:29], s[30:31], 3
	s_add_u32 s28, s40, s28
	s_addc_u32 s29, s41, s29
	v_lshlrev_b32_e32 v4, 3, v14
	v_mov_b32_e32 v5, s29
	v_add_co_u32_e64 v4, s[28:29], s28, v4
	v_addc_co_u32_e64 v5, s[28:29], 0, v5, s[28:29]
	v_lshlrev_b32_e32 v6, 3, v9
	v_add_co_u32_e64 v18, s[28:29], v4, v6
	v_addc_co_u32_e64 v19, s[28:29], 0, v5, s[28:29]
                                        ; implicit-def: $vgpr4_vgpr5
	s_and_saveexec_b64 s[28:29], vcc
	s_xor_b64 s[28:29], exec, s[28:29]
	s_cbranch_execnz .LBB132_127
; %bb.58:
	s_or_b64 exec, exec, s[28:29]
                                        ; implicit-def: $vgpr6_vgpr7
	s_and_saveexec_b64 s[28:29], s[0:1]
	s_cbranch_execnz .LBB132_128
.LBB132_59:
	s_or_b64 exec, exec, s[28:29]
                                        ; implicit-def: $vgpr10_vgpr11
	s_and_saveexec_b64 s[0:1], s[2:3]
	s_cbranch_execnz .LBB132_129
.LBB132_60:
	s_or_b64 exec, exec, s[0:1]
                                        ; implicit-def: $vgpr12_vgpr13
	s_and_saveexec_b64 s[0:1], s[26:27]
	s_cbranch_execnz .LBB132_130
.LBB132_61:
	s_or_b64 exec, exec, s[0:1]
                                        ; implicit-def: $vgpr14_vgpr15
	s_and_saveexec_b64 s[0:1], s[8:9]
	s_cbranch_execnz .LBB132_131
.LBB132_62:
	s_or_b64 exec, exec, s[0:1]
                                        ; implicit-def: $vgpr16_vgpr17
	s_and_saveexec_b64 s[0:1], s[10:11]
	s_cbranch_execz .LBB132_64
.LBB132_63:
	global_load_dwordx2 v[16:17], v[18:19], off offset:2560
.LBB132_64:
	s_or_b64 exec, exec, s[0:1]
	v_mov_b32_e32 v19, 0
	v_mov_b32_e32 v35, 0
	s_and_saveexec_b64 s[0:1], s[14:15]
	s_cbranch_execz .LBB132_66
; %bb.65:
	ds_read_b32 v9, v21 offset:2048
	s_brev_b32 s2, 1
	v_bfrev_b32_e32 v18, -2
	s_waitcnt lgkmcnt(0)
	v_cmp_ne_u32_e32 vcc, s2, v9
	v_cndmask_b32_e32 v9, v18, v9, vcc
	v_lshrrev_b32_e32 v9, s48, v9
	v_and_b32_e32 v35, s33, v9
.LBB132_66:
	s_or_b64 exec, exec, s[0:1]
	s_and_saveexec_b64 s[0:1], s[16:17]
	s_cbranch_execz .LBB132_68
; %bb.67:
	ds_read_b32 v9, v21 offset:4096
	s_brev_b32 s2, 1
	v_bfrev_b32_e32 v18, -2
	s_waitcnt lgkmcnt(0)
	v_cmp_ne_u32_e32 vcc, s2, v9
	v_cndmask_b32_e32 v9, v18, v9, vcc
	v_lshrrev_b32_e32 v9, s48, v9
	v_and_b32_e32 v19, s33, v9
.LBB132_68:
	s_or_b64 exec, exec, s[0:1]
	v_mov_b32_e32 v18, 0
	v_mov_b32_e32 v34, 0
	s_and_saveexec_b64 s[0:1], s[18:19]
	s_cbranch_execz .LBB132_70
; %bb.69:
	ds_read_b32 v9, v21 offset:6144
	s_brev_b32 s2, 1
	v_bfrev_b32_e32 v33, -2
	s_waitcnt lgkmcnt(0)
	v_cmp_ne_u32_e32 vcc, s2, v9
	v_cndmask_b32_e32 v9, v33, v9, vcc
	v_lshrrev_b32_e32 v9, s48, v9
	v_and_b32_e32 v34, s33, v9
.LBB132_70:
	s_or_b64 exec, exec, s[0:1]
	s_and_saveexec_b64 s[0:1], s[20:21]
	s_cbranch_execz .LBB132_72
; %bb.71:
	ds_read_b32 v9, v21 offset:8192
	s_brev_b32 s2, 1
	v_bfrev_b32_e32 v18, -2
	s_waitcnt lgkmcnt(0)
	v_cmp_ne_u32_e32 vcc, s2, v9
	v_cndmask_b32_e32 v9, v18, v9, vcc
	v_lshrrev_b32_e32 v9, s48, v9
	v_and_b32_e32 v18, s33, v9
.LBB132_72:
	;; [unrolled: 28-line block ×3, first 2 shown]
	s_or_b64 exec, exec, s[0:1]
	v_lshlrev_b32_e32 v21, 3, v28
	s_barrier
	s_waitcnt vmcnt(0)
	ds_write_b64 v21, v[4:5] offset:2048
	v_lshlrev_b32_e32 v4, 3, v27
	ds_write_b64 v4, v[6:7] offset:2048
	v_lshlrev_b32_e32 v4, 3, v26
	ds_write_b64 v4, v[10:11] offset:2048
	v_lshlrev_b32_e32 v4, 3, v25
	ds_write_b64 v4, v[12:13] offset:2048
	v_lshlrev_b32_e32 v4, 3, v24
	ds_write_b64 v4, v[14:15] offset:2048
	v_lshlrev_b32_e32 v4, 3, v22
	ds_write_b64 v4, v[16:17] offset:2048
	v_lshlrev_b32_e32 v4, 3, v8
	s_waitcnt lgkmcnt(0)
	s_barrier
	s_and_saveexec_b64 s[0:1], s[14:15]
	s_cbranch_execnz .LBB132_132
; %bb.77:
	s_or_b64 exec, exec, s[0:1]
	s_and_saveexec_b64 s[0:1], s[16:17]
	s_cbranch_execnz .LBB132_133
.LBB132_78:
	s_or_b64 exec, exec, s[0:1]
	s_and_saveexec_b64 s[0:1], s[18:19]
	s_cbranch_execnz .LBB132_134
.LBB132_79:
	s_or_b64 exec, exec, s[0:1]
	s_and_saveexec_b64 s[0:1], s[20:21]
	s_cbranch_execnz .LBB132_135
.LBB132_80:
	s_or_b64 exec, exec, s[0:1]
	s_and_saveexec_b64 s[0:1], s[22:23]
	s_cbranch_execnz .LBB132_136
.LBB132_81:
	s_or_b64 exec, exec, s[0:1]
	s_and_saveexec_b64 s[0:1], s[24:25]
	s_cbranch_execz .LBB132_83
.LBB132_82:
	v_lshlrev_b32_e32 v5, 3, v9
	ds_read_b64 v[6:7], v5
	ds_read_b64 v[4:5], v4 offset:22528
	v_mov_b32_e32 v9, s43
	s_waitcnt lgkmcnt(1)
	v_lshlrev_b64 v[6:7], 3, v[6:7]
	v_add_co_u32_e32 v6, vcc, s42, v6
	v_addc_co_u32_e32 v7, vcc, v9, v7, vcc
	v_lshlrev_b32_e32 v9, 3, v32
	v_add_co_u32_e32 v6, vcc, v6, v9
	v_addc_co_u32_e32 v7, vcc, 0, v7, vcc
	s_waitcnt lgkmcnt(0)
	global_store_dwordx2 v[6:7], v[4:5], off
.LBB132_83:
	s_or_b64 exec, exec, s[0:1]
	s_add_i32 s7, s7, -1
	s_cmp_eq_u32 s6, s7
	s_cselect_b64 s[0:1], -1, 0
	s_and_b64 s[2:3], s[12:13], s[0:1]
	s_mov_b64 s[0:1], 0
	s_mov_b64 s[8:9], 0
                                        ; implicit-def: $vgpr4_vgpr5
	s_and_saveexec_b64 s[10:11], s[2:3]
	s_xor_b64 s[2:3], exec, s[10:11]
; %bb.84:
	v_add_co_u32_e32 v4, vcc, v2, v20
	s_mov_b64 s[8:9], exec
	v_mov_b32_e32 v9, 0
	v_addc_co_u32_e32 v5, vcc, 0, v3, vcc
; %bb.85:
	s_or_b64 exec, exec, s[2:3]
	s_and_b64 vcc, exec, s[0:1]
	s_cbranch_vccnz .LBB132_87
	s_branch .LBB132_124
.LBB132_86:
	s_mov_b64 s[8:9], 0
                                        ; implicit-def: $vgpr4_vgpr5
                                        ; implicit-def: $vgpr8_vgpr9
	s_cbranch_execz .LBB132_124
.LBB132_87:
	s_mov_b32 s31, 0
	s_lshl_b64 s[0:1], s[30:31], 2
	v_mbcnt_hi_u32_b32 v11, -1, v1
	s_add_u32 s0, s36, s0
	v_lshlrev_b32_e32 v1, 2, v11
	v_and_b32_e32 v8, 0x3ff, v0
	v_add_co_u32_e32 v1, vcc, s0, v1
	s_load_dword s7, s[4:5], 0x50
	s_load_dword s0, s[4:5], 0x5c
	s_addc_u32 s1, s37, s1
	v_and_b32_e32 v6, 0x1c0, v8
	v_mul_u32_u24_e32 v10, 6, v6
	v_mov_b32_e32 v3, s1
	v_addc_co_u32_e32 v3, vcc, 0, v3, vcc
	v_lshlrev_b32_e32 v4, 2, v10
	v_add_co_u32_e32 v14, vcc, v1, v4
	s_add_u32 s1, s4, 0x50
	v_addc_co_u32_e32 v15, vcc, 0, v3, vcc
	s_addc_u32 s2, s5, 0
	s_waitcnt lgkmcnt(0)
	s_lshr_b32 s3, s0, 16
	global_load_dword v1, v[14:15], off
	s_cmp_lt_u32 s6, s7
	s_cselect_b32 s0, 12, 18
	s_add_u32 s0, s1, s0
	v_mov_b32_e32 v2, 0
	s_addc_u32 s1, s2, 0
	global_load_ushort v3, v2, s[0:1]
	v_mul_u32_u24_e32 v5, 5, v8
	v_lshlrev_b32_e32 v5, 2, v5
	ds_write2_b32 v5, v2, v2 offset0:8 offset1:9
	ds_write2_b32 v5, v2, v2 offset0:10 offset1:11
	ds_write_b32 v5, v2 offset:48
	global_load_dword v12, v[14:15], off offset:256
	global_load_dword v16, v[14:15], off offset:512
	;; [unrolled: 1-line block ×5, first 2 shown]
	v_bfrev_b32_e32 v13, -2
	v_bfe_u32 v4, v0, 10, 10
	v_bfe_u32 v0, v0, 20, 10
	v_mad_u32_u24 v0, v0, s3, v4
	s_brev_b32 s2, 1
	s_lshl_b32 s0, -1, s49
	s_not_b32 s14, s0
	s_waitcnt lgkmcnt(0)
	s_barrier
	s_waitcnt lgkmcnt(0)
	; wave barrier
	s_waitcnt vmcnt(6)
	v_cmp_gt_i32_e32 vcc, 0, v1
	v_cndmask_b32_e64 v4, v13, 0, vcc
	v_xor_b32_e32 v4, v4, v1
	v_cmp_ne_u32_e32 vcc, s2, v4
	v_cndmask_b32_e32 v7, v13, v4, vcc
	s_waitcnt vmcnt(5)
	v_mad_u64_u32 v[0:1], s[0:1], v0, v3, v[8:9]
	v_lshrrev_b32_e32 v1, s48, v7
	v_lshrrev_b32_e32 v19, 6, v0
	v_and_b32_e32 v0, s14, v1
	v_lshl_add_u32 v1, v0, 3, v0
	v_and_b32_e32 v9, 1, v0
	v_add_lshl_u32 v7, v19, v1, 2
	v_add_co_u32_e32 v1, vcc, -1, v9
	v_lshlrev_b32_e32 v3, 30, v0
	v_addc_co_u32_e64 v14, s[0:1], 0, -1, vcc
	v_cmp_ne_u32_e32 vcc, 0, v9
	v_cmp_gt_i64_e64 s[0:1], 0, v[2:3]
	v_not_b32_e32 v9, v3
	v_lshlrev_b32_e32 v3, 29, v0
	v_xor_b32_e32 v14, vcc_hi, v14
	v_xor_b32_e32 v1, vcc_lo, v1
	v_ashrrev_i32_e32 v9, 31, v9
	v_cmp_gt_i64_e32 vcc, 0, v[2:3]
	v_not_b32_e32 v15, v3
	v_lshlrev_b32_e32 v3, 28, v0
	v_and_b32_e32 v14, exec_hi, v14
	v_and_b32_e32 v1, exec_lo, v1
	v_xor_b32_e32 v17, s1, v9
	v_xor_b32_e32 v9, s0, v9
	v_ashrrev_i32_e32 v15, 31, v15
	v_cmp_gt_i64_e64 s[0:1], 0, v[2:3]
	v_not_b32_e32 v20, v3
	v_lshlrev_b32_e32 v3, 27, v0
	v_and_b32_e32 v14, v14, v17
	v_and_b32_e32 v1, v1, v9
	v_xor_b32_e32 v9, vcc_hi, v15
	v_xor_b32_e32 v15, vcc_lo, v15
	v_ashrrev_i32_e32 v17, 31, v20
	v_cmp_gt_i64_e32 vcc, 0, v[2:3]
	v_not_b32_e32 v3, v3
	v_and_b32_e32 v9, v14, v9
	v_and_b32_e32 v1, v1, v15
	v_xor_b32_e32 v14, s1, v17
	v_xor_b32_e32 v15, s0, v17
	v_ashrrev_i32_e32 v3, 31, v3
	v_and_b32_e32 v9, v9, v14
	v_and_b32_e32 v1, v1, v15
	v_xor_b32_e32 v14, vcc_hi, v3
	v_xor_b32_e32 v3, vcc_lo, v3
	v_and_b32_e32 v1, v1, v3
	v_lshlrev_b32_e32 v3, 26, v0
	v_cmp_gt_i64_e32 vcc, 0, v[2:3]
	v_not_b32_e32 v3, v3
	v_ashrrev_i32_e32 v3, 31, v3
	v_and_b32_e32 v9, v9, v14
	v_xor_b32_e32 v14, vcc_hi, v3
	v_xor_b32_e32 v3, vcc_lo, v3
	v_and_b32_e32 v1, v1, v3
	v_lshlrev_b32_e32 v3, 25, v0
	v_cmp_gt_i64_e32 vcc, 0, v[2:3]
	v_not_b32_e32 v3, v3
	v_ashrrev_i32_e32 v3, 31, v3
	v_and_b32_e32 v9, v9, v14
	v_xor_b32_e32 v14, vcc_hi, v3
	v_xor_b32_e32 v3, vcc_lo, v3
	v_and_b32_e32 v9, v9, v14
	v_and_b32_e32 v14, v1, v3
	v_lshlrev_b32_e32 v3, 24, v0
	v_not_b32_e32 v0, v3
	v_cmp_gt_i64_e32 vcc, 0, v[2:3]
	v_ashrrev_i32_e32 v0, 31, v0
	v_xor_b32_e32 v1, vcc_hi, v0
	v_xor_b32_e32 v0, vcc_lo, v0
	v_and_b32_e32 v0, v14, v0
	v_and_b32_e32 v1, v9, v1
	v_mbcnt_lo_u32_b32 v3, v0, 0
	v_mbcnt_hi_u32_b32 v9, v1, v3
	v_cmp_eq_u32_e32 vcc, 0, v9
	v_cmp_ne_u64_e64 s[0:1], 0, v[0:1]
	s_and_b64 s[4:5], s[0:1], vcc
	s_and_saveexec_b64 s[0:1], s[4:5]
	s_cbranch_execz .LBB132_89
; %bb.88:
	v_bcnt_u32_b32 v0, v0, 0
	v_bcnt_u32_b32 v0, v1, v0
	ds_write_b32 v7, v0 offset:32
.LBB132_89:
	s_or_b64 exec, exec, s[0:1]
	s_waitcnt vmcnt(4)
	v_cmp_gt_i32_e32 vcc, 0, v12
	v_cndmask_b32_e64 v0, v13, 0, vcc
	v_xor_b32_e32 v12, v0, v12
	v_cmp_ne_u32_e32 vcc, s2, v12
	v_cndmask_b32_e32 v0, v13, v12, vcc
	v_lshrrev_b32_e32 v0, s48, v0
	v_and_b32_e32 v0, s14, v0
	v_lshl_add_u32 v1, v0, 3, v0
	v_add_lshl_u32 v14, v19, v1, 2
	v_and_b32_e32 v1, 1, v0
	v_add_co_u32_e32 v3, vcc, -1, v1
	v_addc_co_u32_e64 v15, s[0:1], 0, -1, vcc
	v_cmp_ne_u32_e32 vcc, 0, v1
	v_xor_b32_e32 v3, vcc_lo, v3
	v_xor_b32_e32 v1, vcc_hi, v15
	v_and_b32_e32 v15, exec_lo, v3
	v_lshlrev_b32_e32 v3, 30, v0
	v_cmp_gt_i64_e32 vcc, 0, v[2:3]
	v_not_b32_e32 v3, v3
	v_ashrrev_i32_e32 v3, 31, v3
	v_xor_b32_e32 v17, vcc_hi, v3
	v_xor_b32_e32 v3, vcc_lo, v3
	v_and_b32_e32 v15, v15, v3
	v_lshlrev_b32_e32 v3, 29, v0
	v_cmp_gt_i64_e32 vcc, 0, v[2:3]
	v_not_b32_e32 v3, v3
	v_and_b32_e32 v1, exec_hi, v1
	v_ashrrev_i32_e32 v3, 31, v3
	v_and_b32_e32 v1, v1, v17
	v_xor_b32_e32 v17, vcc_hi, v3
	v_xor_b32_e32 v3, vcc_lo, v3
	v_and_b32_e32 v15, v15, v3
	v_lshlrev_b32_e32 v3, 28, v0
	v_cmp_gt_i64_e32 vcc, 0, v[2:3]
	v_not_b32_e32 v3, v3
	v_ashrrev_i32_e32 v3, 31, v3
	v_and_b32_e32 v1, v1, v17
	v_xor_b32_e32 v17, vcc_hi, v3
	v_xor_b32_e32 v3, vcc_lo, v3
	v_and_b32_e32 v15, v15, v3
	v_lshlrev_b32_e32 v3, 27, v0
	v_cmp_gt_i64_e32 vcc, 0, v[2:3]
	v_not_b32_e32 v3, v3
	;; [unrolled: 8-line block ×4, first 2 shown]
	v_ashrrev_i32_e32 v3, 31, v3
	v_and_b32_e32 v1, v1, v17
	v_xor_b32_e32 v17, vcc_hi, v3
	v_xor_b32_e32 v3, vcc_lo, v3
	v_and_b32_e32 v15, v15, v3
	v_lshlrev_b32_e32 v3, 24, v0
	v_not_b32_e32 v0, v3
	v_cmp_gt_i64_e32 vcc, 0, v[2:3]
	v_ashrrev_i32_e32 v0, 31, v0
	v_xor_b32_e32 v2, vcc_hi, v0
	v_xor_b32_e32 v0, vcc_lo, v0
	; wave barrier
	ds_read_b32 v13, v14 offset:32
	v_and_b32_e32 v1, v1, v17
	v_and_b32_e32 v0, v15, v0
	;; [unrolled: 1-line block ×3, first 2 shown]
	v_mbcnt_lo_u32_b32 v2, v0, 0
	v_mbcnt_hi_u32_b32 v15, v1, v2
	v_cmp_eq_u32_e32 vcc, 0, v15
	v_cmp_ne_u64_e64 s[0:1], 0, v[0:1]
	s_and_b64 s[2:3], s[0:1], vcc
	; wave barrier
	s_and_saveexec_b64 s[0:1], s[2:3]
	s_cbranch_execz .LBB132_91
; %bb.90:
	v_bcnt_u32_b32 v0, v0, 0
	v_bcnt_u32_b32 v0, v1, v0
	s_waitcnt lgkmcnt(0)
	v_add_u32_e32 v0, v13, v0
	ds_write_b32 v14, v0 offset:32
.LBB132_91:
	s_or_b64 exec, exec, s[0:1]
	v_bfrev_b32_e32 v23, -2
	s_waitcnt vmcnt(3)
	v_cmp_gt_i32_e32 vcc, 0, v16
	v_cndmask_b32_e64 v1, v23, 0, vcc
	v_xor_b32_e32 v16, v1, v16
	s_brev_b32 s2, 1
	v_cmp_ne_u32_e32 vcc, s2, v16
	v_cndmask_b32_e32 v1, v23, v16, vcc
	v_lshrrev_b32_e32 v1, s48, v1
	v_and_b32_e32 v2, s14, v1
	v_lshl_add_u32 v1, v2, 3, v2
	v_add_lshl_u32 v20, v19, v1, 2
	v_and_b32_e32 v1, 1, v2
	v_add_co_u32_e32 v3, vcc, -1, v1
	v_addc_co_u32_e64 v21, s[0:1], 0, -1, vcc
	v_cmp_ne_u32_e32 vcc, 0, v1
	v_xor_b32_e32 v1, vcc_hi, v21
	v_mov_b32_e32 v0, 0
	v_and_b32_e32 v21, exec_hi, v1
	v_lshlrev_b32_e32 v1, 30, v2
	v_xor_b32_e32 v3, vcc_lo, v3
	v_cmp_gt_i64_e32 vcc, 0, v[0:1]
	v_not_b32_e32 v1, v1
	v_ashrrev_i32_e32 v1, 31, v1
	v_and_b32_e32 v3, exec_lo, v3
	v_xor_b32_e32 v25, vcc_hi, v1
	v_xor_b32_e32 v1, vcc_lo, v1
	v_and_b32_e32 v3, v3, v1
	v_lshlrev_b32_e32 v1, 29, v2
	v_cmp_gt_i64_e32 vcc, 0, v[0:1]
	v_not_b32_e32 v1, v1
	v_ashrrev_i32_e32 v1, 31, v1
	v_and_b32_e32 v21, v21, v25
	v_xor_b32_e32 v25, vcc_hi, v1
	v_xor_b32_e32 v1, vcc_lo, v1
	v_and_b32_e32 v3, v3, v1
	v_lshlrev_b32_e32 v1, 28, v2
	v_cmp_gt_i64_e32 vcc, 0, v[0:1]
	v_not_b32_e32 v1, v1
	v_ashrrev_i32_e32 v1, 31, v1
	v_and_b32_e32 v21, v21, v25
	;; [unrolled: 8-line block ×5, first 2 shown]
	v_xor_b32_e32 v25, vcc_hi, v1
	v_xor_b32_e32 v1, vcc_lo, v1
	v_and_b32_e32 v21, v21, v25
	v_and_b32_e32 v25, v3, v1
	v_lshlrev_b32_e32 v1, 24, v2
	v_cmp_gt_i64_e32 vcc, 0, v[0:1]
	v_not_b32_e32 v1, v1
	v_ashrrev_i32_e32 v1, 31, v1
	v_xor_b32_e32 v2, vcc_hi, v1
	v_xor_b32_e32 v1, vcc_lo, v1
	; wave barrier
	ds_read_b32 v17, v20 offset:32
	v_and_b32_e32 v3, v21, v2
	v_and_b32_e32 v2, v25, v1
	v_mbcnt_lo_u32_b32 v1, v2, 0
	v_mbcnt_hi_u32_b32 v21, v3, v1
	v_cmp_eq_u32_e32 vcc, 0, v21
	v_cmp_ne_u64_e64 s[0:1], 0, v[2:3]
	s_and_b64 s[4:5], s[0:1], vcc
	; wave barrier
	s_and_saveexec_b64 s[0:1], s[4:5]
	s_cbranch_execz .LBB132_93
; %bb.92:
	v_bcnt_u32_b32 v1, v2, 0
	v_bcnt_u32_b32 v1, v3, v1
	s_waitcnt lgkmcnt(0)
	v_add_u32_e32 v1, v17, v1
	ds_write_b32 v20, v1 offset:32
.LBB132_93:
	s_or_b64 exec, exec, s[0:1]
	s_waitcnt vmcnt(2)
	v_cmp_gt_i32_e32 vcc, 0, v22
	v_cndmask_b32_e64 v1, v23, 0, vcc
	v_xor_b32_e32 v22, v1, v22
	v_cmp_ne_u32_e32 vcc, s2, v22
	v_cndmask_b32_e32 v1, v23, v22, vcc
	v_lshrrev_b32_e32 v1, s48, v1
	v_and_b32_e32 v2, s14, v1
	v_lshl_add_u32 v1, v2, 3, v2
	v_add_lshl_u32 v25, v19, v1, 2
	v_and_b32_e32 v1, 1, v2
	v_add_co_u32_e32 v3, vcc, -1, v1
	v_addc_co_u32_e64 v26, s[0:1], 0, -1, vcc
	v_cmp_ne_u32_e32 vcc, 0, v1
	v_xor_b32_e32 v1, vcc_hi, v26
	v_and_b32_e32 v26, exec_hi, v1
	v_lshlrev_b32_e32 v1, 30, v2
	v_xor_b32_e32 v3, vcc_lo, v3
	v_cmp_gt_i64_e32 vcc, 0, v[0:1]
	v_not_b32_e32 v1, v1
	v_ashrrev_i32_e32 v1, 31, v1
	v_and_b32_e32 v3, exec_lo, v3
	v_xor_b32_e32 v27, vcc_hi, v1
	v_xor_b32_e32 v1, vcc_lo, v1
	v_and_b32_e32 v3, v3, v1
	v_lshlrev_b32_e32 v1, 29, v2
	v_cmp_gt_i64_e32 vcc, 0, v[0:1]
	v_not_b32_e32 v1, v1
	v_ashrrev_i32_e32 v1, 31, v1
	v_and_b32_e32 v26, v26, v27
	v_xor_b32_e32 v27, vcc_hi, v1
	v_xor_b32_e32 v1, vcc_lo, v1
	v_and_b32_e32 v3, v3, v1
	v_lshlrev_b32_e32 v1, 28, v2
	v_cmp_gt_i64_e32 vcc, 0, v[0:1]
	v_not_b32_e32 v1, v1
	v_ashrrev_i32_e32 v1, 31, v1
	v_and_b32_e32 v26, v26, v27
	;; [unrolled: 8-line block ×5, first 2 shown]
	v_xor_b32_e32 v27, vcc_hi, v1
	v_xor_b32_e32 v1, vcc_lo, v1
	v_and_b32_e32 v3, v3, v1
	v_lshlrev_b32_e32 v1, 24, v2
	v_cmp_gt_i64_e32 vcc, 0, v[0:1]
	v_not_b32_e32 v0, v1
	v_ashrrev_i32_e32 v0, 31, v0
	v_xor_b32_e32 v1, vcc_hi, v0
	v_xor_b32_e32 v0, vcc_lo, v0
	; wave barrier
	ds_read_b32 v23, v25 offset:32
	v_and_b32_e32 v26, v26, v27
	v_and_b32_e32 v0, v3, v0
	;; [unrolled: 1-line block ×3, first 2 shown]
	v_mbcnt_lo_u32_b32 v2, v0, 0
	v_mbcnt_hi_u32_b32 v26, v1, v2
	v_cmp_eq_u32_e32 vcc, 0, v26
	v_cmp_ne_u64_e64 s[0:1], 0, v[0:1]
	s_and_b64 s[2:3], s[0:1], vcc
	; wave barrier
	s_and_saveexec_b64 s[0:1], s[2:3]
	s_cbranch_execz .LBB132_95
; %bb.94:
	v_bcnt_u32_b32 v0, v0, 0
	v_bcnt_u32_b32 v0, v1, v0
	s_waitcnt lgkmcnt(0)
	v_add_u32_e32 v0, v23, v0
	ds_write_b32 v25, v0 offset:32
.LBB132_95:
	s_or_b64 exec, exec, s[0:1]
	v_bfrev_b32_e32 v31, -2
	s_waitcnt vmcnt(1)
	v_cmp_gt_i32_e32 vcc, 0, v24
	v_cndmask_b32_e64 v1, v31, 0, vcc
	v_xor_b32_e32 v27, v1, v24
	s_brev_b32 s2, 1
	v_cmp_ne_u32_e32 vcc, s2, v27
	v_cndmask_b32_e32 v1, v31, v27, vcc
	v_lshrrev_b32_e32 v1, s48, v1
	v_and_b32_e32 v2, s14, v1
	v_lshl_add_u32 v1, v2, 3, v2
	v_add_lshl_u32 v24, v19, v1, 2
	v_and_b32_e32 v1, 1, v2
	v_add_co_u32_e32 v3, vcc, -1, v1
	v_addc_co_u32_e64 v29, s[0:1], 0, -1, vcc
	v_cmp_ne_u32_e32 vcc, 0, v1
	v_xor_b32_e32 v1, vcc_hi, v29
	v_mov_b32_e32 v0, 0
	v_and_b32_e32 v29, exec_hi, v1
	v_lshlrev_b32_e32 v1, 30, v2
	v_xor_b32_e32 v3, vcc_lo, v3
	v_cmp_gt_i64_e32 vcc, 0, v[0:1]
	v_not_b32_e32 v1, v1
	v_ashrrev_i32_e32 v1, 31, v1
	v_and_b32_e32 v3, exec_lo, v3
	v_xor_b32_e32 v30, vcc_hi, v1
	v_xor_b32_e32 v1, vcc_lo, v1
	v_and_b32_e32 v3, v3, v1
	v_lshlrev_b32_e32 v1, 29, v2
	v_cmp_gt_i64_e32 vcc, 0, v[0:1]
	v_not_b32_e32 v1, v1
	v_ashrrev_i32_e32 v1, 31, v1
	v_and_b32_e32 v29, v29, v30
	v_xor_b32_e32 v30, vcc_hi, v1
	v_xor_b32_e32 v1, vcc_lo, v1
	v_and_b32_e32 v3, v3, v1
	v_lshlrev_b32_e32 v1, 28, v2
	v_cmp_gt_i64_e32 vcc, 0, v[0:1]
	v_not_b32_e32 v1, v1
	v_ashrrev_i32_e32 v1, 31, v1
	v_and_b32_e32 v29, v29, v30
	v_xor_b32_e32 v30, vcc_hi, v1
	v_xor_b32_e32 v1, vcc_lo, v1
	v_and_b32_e32 v3, v3, v1
	v_lshlrev_b32_e32 v1, 27, v2
	v_cmp_gt_i64_e32 vcc, 0, v[0:1]
	v_not_b32_e32 v1, v1
	v_ashrrev_i32_e32 v1, 31, v1
	v_and_b32_e32 v29, v29, v30
	v_xor_b32_e32 v30, vcc_hi, v1
	v_xor_b32_e32 v1, vcc_lo, v1
	v_and_b32_e32 v3, v3, v1
	v_lshlrev_b32_e32 v1, 26, v2
	v_cmp_gt_i64_e32 vcc, 0, v[0:1]
	v_not_b32_e32 v1, v1
	v_ashrrev_i32_e32 v1, 31, v1
	v_and_b32_e32 v29, v29, v30
	v_xor_b32_e32 v30, vcc_hi, v1
	v_xor_b32_e32 v1, vcc_lo, v1
	v_and_b32_e32 v3, v3, v1
	v_lshlrev_b32_e32 v1, 25, v2
	v_cmp_gt_i64_e32 vcc, 0, v[0:1]
	v_not_b32_e32 v1, v1
	v_ashrrev_i32_e32 v1, 31, v1
	v_and_b32_e32 v29, v29, v30
	v_xor_b32_e32 v30, vcc_hi, v1
	v_xor_b32_e32 v1, vcc_lo, v1
	v_and_b32_e32 v29, v29, v30
	v_and_b32_e32 v30, v3, v1
	v_lshlrev_b32_e32 v1, 24, v2
	v_cmp_gt_i64_e32 vcc, 0, v[0:1]
	v_not_b32_e32 v1, v1
	v_ashrrev_i32_e32 v1, 31, v1
	v_xor_b32_e32 v2, vcc_hi, v1
	v_xor_b32_e32 v1, vcc_lo, v1
	; wave barrier
	ds_read_b32 v28, v24 offset:32
	v_and_b32_e32 v3, v29, v2
	v_and_b32_e32 v2, v30, v1
	v_mbcnt_lo_u32_b32 v1, v2, 0
	v_mbcnt_hi_u32_b32 v29, v3, v1
	v_cmp_eq_u32_e32 vcc, 0, v29
	v_cmp_ne_u64_e64 s[0:1], 0, v[2:3]
	s_and_b64 s[4:5], s[0:1], vcc
	; wave barrier
	s_and_saveexec_b64 s[0:1], s[4:5]
	s_cbranch_execz .LBB132_97
; %bb.96:
	v_bcnt_u32_b32 v1, v2, 0
	v_bcnt_u32_b32 v1, v3, v1
	s_waitcnt lgkmcnt(0)
	v_add_u32_e32 v1, v28, v1
	ds_write_b32 v24, v1 offset:32
.LBB132_97:
	s_or_b64 exec, exec, s[0:1]
	s_waitcnt vmcnt(0)
	v_cmp_gt_i32_e32 vcc, 0, v18
	v_cndmask_b32_e64 v1, v31, 0, vcc
	v_xor_b32_e32 v30, v1, v18
	v_cmp_ne_u32_e32 vcc, s2, v30
	v_cndmask_b32_e32 v1, v31, v30, vcc
	v_lshrrev_b32_e32 v1, s48, v1
	v_and_b32_e32 v2, s14, v1
	v_lshl_add_u32 v1, v2, 3, v2
	v_add_lshl_u32 v19, v1, v19, 2
	v_and_b32_e32 v1, 1, v2
	v_add_co_u32_e32 v3, vcc, -1, v1
	v_addc_co_u32_e64 v18, s[0:1], 0, -1, vcc
	v_cmp_ne_u32_e32 vcc, 0, v1
	v_xor_b32_e32 v1, vcc_hi, v18
	v_and_b32_e32 v18, exec_hi, v1
	v_lshlrev_b32_e32 v1, 30, v2
	v_xor_b32_e32 v3, vcc_lo, v3
	v_cmp_gt_i64_e32 vcc, 0, v[0:1]
	v_not_b32_e32 v1, v1
	v_ashrrev_i32_e32 v1, 31, v1
	v_and_b32_e32 v3, exec_lo, v3
	v_xor_b32_e32 v33, vcc_hi, v1
	v_xor_b32_e32 v1, vcc_lo, v1
	v_and_b32_e32 v3, v3, v1
	v_lshlrev_b32_e32 v1, 29, v2
	v_cmp_gt_i64_e32 vcc, 0, v[0:1]
	v_not_b32_e32 v1, v1
	v_ashrrev_i32_e32 v1, 31, v1
	v_and_b32_e32 v18, v18, v33
	v_xor_b32_e32 v33, vcc_hi, v1
	v_xor_b32_e32 v1, vcc_lo, v1
	v_and_b32_e32 v3, v3, v1
	v_lshlrev_b32_e32 v1, 28, v2
	v_cmp_gt_i64_e32 vcc, 0, v[0:1]
	v_not_b32_e32 v1, v1
	v_ashrrev_i32_e32 v1, 31, v1
	v_and_b32_e32 v18, v18, v33
	;; [unrolled: 8-line block ×5, first 2 shown]
	v_xor_b32_e32 v33, vcc_hi, v1
	v_xor_b32_e32 v1, vcc_lo, v1
	v_and_b32_e32 v3, v3, v1
	v_lshlrev_b32_e32 v1, 24, v2
	v_cmp_gt_i64_e32 vcc, 0, v[0:1]
	v_not_b32_e32 v0, v1
	v_ashrrev_i32_e32 v0, 31, v0
	v_xor_b32_e32 v1, vcc_hi, v0
	v_xor_b32_e32 v0, vcc_lo, v0
	; wave barrier
	ds_read_b32 v31, v19 offset:32
	v_and_b32_e32 v18, v18, v33
	v_and_b32_e32 v0, v3, v0
	;; [unrolled: 1-line block ×3, first 2 shown]
	v_mbcnt_lo_u32_b32 v2, v0, 0
	v_mbcnt_hi_u32_b32 v33, v1, v2
	v_cmp_eq_u32_e32 vcc, 0, v33
	v_cmp_ne_u64_e64 s[0:1], 0, v[0:1]
	v_add_u32_e32 v32, 32, v5
	s_and_b64 s[2:3], s[0:1], vcc
	; wave barrier
	s_and_saveexec_b64 s[0:1], s[2:3]
	s_cbranch_execz .LBB132_99
; %bb.98:
	v_bcnt_u32_b32 v0, v0, 0
	v_bcnt_u32_b32 v0, v1, v0
	s_waitcnt lgkmcnt(0)
	v_add_u32_e32 v0, v31, v0
	ds_write_b32 v19, v0 offset:32
.LBB132_99:
	s_or_b64 exec, exec, s[0:1]
	; wave barrier
	s_waitcnt lgkmcnt(0)
	s_barrier
	ds_read2_b32 v[2:3], v5 offset0:8 offset1:9
	ds_read2_b32 v[0:1], v32 offset0:2 offset1:3
	ds_read_b32 v18, v32 offset:16
	v_min_u32_e32 v6, 0x1c0, v6
	v_or_b32_e32 v6, 63, v6
	s_waitcnt lgkmcnt(1)
	v_add3_u32 v34, v3, v2, v0
	s_waitcnt lgkmcnt(0)
	v_add3_u32 v18, v34, v1, v18
	v_and_b32_e32 v34, 15, v11
	v_cmp_ne_u32_e32 vcc, 0, v34
	v_mov_b32_dpp v35, v18 row_shr:1 row_mask:0xf bank_mask:0xf
	v_cndmask_b32_e32 v35, 0, v35, vcc
	v_add_u32_e32 v18, v35, v18
	v_cmp_lt_u32_e32 vcc, 1, v34
	s_nop 0
	v_mov_b32_dpp v35, v18 row_shr:2 row_mask:0xf bank_mask:0xf
	v_cndmask_b32_e32 v35, 0, v35, vcc
	v_add_u32_e32 v18, v18, v35
	v_cmp_lt_u32_e32 vcc, 3, v34
	s_nop 0
	;; [unrolled: 5-line block ×3, first 2 shown]
	v_mov_b32_dpp v35, v18 row_shr:8 row_mask:0xf bank_mask:0xf
	v_cndmask_b32_e32 v34, 0, v35, vcc
	v_add_u32_e32 v18, v18, v34
	v_bfe_i32 v35, v11, 4, 1
	v_cmp_lt_u32_e32 vcc, 31, v11
	v_mov_b32_dpp v34, v18 row_bcast:15 row_mask:0xf bank_mask:0xf
	v_and_b32_e32 v34, v35, v34
	v_add_u32_e32 v18, v18, v34
	v_lshrrev_b32_e32 v35, 6, v8
	s_nop 0
	v_mov_b32_dpp v34, v18 row_bcast:31 row_mask:0xf bank_mask:0xf
	v_cndmask_b32_e32 v34, 0, v34, vcc
	v_add_u32_e32 v34, v18, v34
	v_cmp_eq_u32_e32 vcc, v6, v8
	s_and_saveexec_b64 s[0:1], vcc
	s_cbranch_execz .LBB132_101
; %bb.100:
	v_lshlrev_b32_e32 v6, 2, v35
	ds_write_b32 v6, v34
.LBB132_101:
	s_or_b64 exec, exec, s[0:1]
	v_cmp_gt_u32_e32 vcc, 8, v8
	v_lshlrev_b32_e32 v18, 2, v8
	s_waitcnt lgkmcnt(0)
	s_barrier
	s_and_saveexec_b64 s[0:1], vcc
	s_cbranch_execz .LBB132_103
; %bb.102:
	ds_read_b32 v6, v18
	v_and_b32_e32 v36, 7, v11
	v_cmp_ne_u32_e32 vcc, 0, v36
	s_waitcnt lgkmcnt(0)
	v_mov_b32_dpp v37, v6 row_shr:1 row_mask:0xf bank_mask:0xf
	v_cndmask_b32_e32 v37, 0, v37, vcc
	v_add_u32_e32 v6, v37, v6
	v_cmp_lt_u32_e32 vcc, 1, v36
	s_nop 0
	v_mov_b32_dpp v37, v6 row_shr:2 row_mask:0xf bank_mask:0xf
	v_cndmask_b32_e32 v37, 0, v37, vcc
	v_add_u32_e32 v6, v6, v37
	v_cmp_lt_u32_e32 vcc, 3, v36
	s_nop 0
	v_mov_b32_dpp v37, v6 row_shr:4 row_mask:0xf bank_mask:0xf
	v_cndmask_b32_e32 v36, 0, v37, vcc
	v_add_u32_e32 v6, v6, v36
	ds_write_b32 v18, v6
.LBB132_103:
	s_or_b64 exec, exec, s[0:1]
	v_cmp_lt_u32_e32 vcc, 63, v8
	v_mov_b32_e32 v6, 0
	s_waitcnt lgkmcnt(0)
	s_barrier
	s_and_saveexec_b64 s[0:1], vcc
	s_cbranch_execz .LBB132_105
; %bb.104:
	v_lshl_add_u32 v6, v35, 2, -4
	ds_read_b32 v6, v6
.LBB132_105:
	s_or_b64 exec, exec, s[0:1]
	v_add_u32_e32 v35, -1, v11
	v_and_b32_e32 v36, 64, v11
	v_cmp_lt_i32_e32 vcc, v35, v36
	v_cndmask_b32_e32 v35, v35, v11, vcc
	s_waitcnt lgkmcnt(0)
	v_add_u32_e32 v34, v6, v34
	v_lshlrev_b32_e32 v35, 2, v35
	ds_bpermute_b32 v34, v35, v34
	v_cmp_eq_u32_e32 vcc, 0, v11
	s_movk_i32 s2, 0xff
	s_movk_i32 s3, 0x100
	v_cmp_lt_u32_e64 s[0:1], s2, v8
	s_waitcnt lgkmcnt(0)
	v_cndmask_b32_e32 v6, v34, v6, vcc
	v_cmp_ne_u32_e32 vcc, 0, v8
	v_cndmask_b32_e32 v6, 0, v6, vcc
	v_add_u32_e32 v2, v6, v2
	v_add_u32_e32 v3, v2, v3
	;; [unrolled: 1-line block ×4, first 2 shown]
	ds_write2_b32 v5, v6, v2 offset0:8 offset1:9
	ds_write2_b32 v32, v3, v0 offset0:2 offset1:3
	ds_write_b32 v32, v1 offset:16
	s_waitcnt lgkmcnt(0)
	s_barrier
	ds_read_b32 v2, v7 offset:32
	ds_read_b32 v3, v14 offset:32
	;; [unrolled: 1-line block ×6, first 2 shown]
	v_cmp_gt_u32_e32 vcc, s3, v8
	v_pk_mov_b32 v[0:1], 0, 0
                                        ; implicit-def: $vgpr14
	s_and_saveexec_b64 s[4:5], vcc
	s_cbranch_execz .LBB132_109
; %bb.106:
	v_mul_u32_u24_e32 v0, 9, v8
	v_lshlrev_b32_e32 v14, 2, v0
	ds_read_b32 v0, v14 offset:32
	v_cmp_ne_u32_e64 s[2:3], s2, v8
	v_mov_b32_e32 v1, 0xc00
	s_and_saveexec_b64 s[10:11], s[2:3]
	s_cbranch_execz .LBB132_108
; %bb.107:
	ds_read_b32 v1, v14 offset:68
.LBB132_108:
	s_or_b64 exec, exec, s[10:11]
	s_waitcnt lgkmcnt(0)
	v_sub_u32_e32 v14, v1, v0
	v_mov_b32_e32 v1, 0
.LBB132_109:
	s_or_b64 exec, exec, s[4:5]
	s_waitcnt lgkmcnt(5)
	v_add_u32_e32 v24, v2, v9
	s_waitcnt lgkmcnt(4)
	v_add3_u32 v20, v15, v13, v3
	v_lshlrev_b32_e32 v2, 2, v24
	s_waitcnt lgkmcnt(3)
	v_add3_u32 v19, v21, v17, v5
	s_waitcnt lgkmcnt(0)
	s_barrier
	ds_write_b32 v2, v4 offset:2048
	v_lshlrev_b32_e32 v2, 2, v20
	v_add3_u32 v17, v26, v23, v6
	ds_write_b32 v2, v12 offset:2048
	v_lshlrev_b32_e32 v2, 2, v19
	v_add3_u32 v15, v29, v28, v7
	ds_write_b32 v2, v16 offset:2048
	v_lshlrev_b32_e32 v2, 2, v17
	v_add3_u32 v13, v33, v31, v25
	ds_write_b32 v2, v22 offset:2048
	v_lshlrev_b32_e32 v2, 2, v15
	ds_write_b32 v2, v27 offset:2048
	v_lshlrev_b32_e32 v2, 2, v13
	ds_write_b32 v2, v30 offset:2048
	s_waitcnt lgkmcnt(0)
	s_barrier
	s_and_saveexec_b64 s[2:3], s[0:1]
	s_xor_b64 s[0:1], exec, s[2:3]
; %bb.110:
	v_mov_b32_e32 v9, 0
; %bb.111:
	s_andn2_saveexec_b64 s[2:3], s[0:1]
	s_cbranch_execz .LBB132_121
; %bb.112:
	v_lshl_or_b32 v2, s6, 8, v8
	v_mov_b32_e32 v3, 0
	v_lshlrev_b64 v[4:5], 2, v[2:3]
	v_mov_b32_e32 v9, s35
	v_add_co_u32_e64 v4, s[0:1], s34, v4
	v_addc_co_u32_e64 v5, s[0:1], v9, v5, s[0:1]
	v_or_b32_e32 v2, 2.0, v14
	s_mov_b64 s[4:5], 0
	s_brev_b32 s15, 1
	s_mov_b32 s16, s6
	v_mov_b32_e32 v12, 0
	global_store_dword v[4:5], v2, off
                                        ; implicit-def: $sgpr0_sgpr1
	s_branch .LBB132_115
.LBB132_113:                            ;   in Loop: Header=BB132_115 Depth=1
	s_or_b64 exec, exec, s[12:13]
.LBB132_114:                            ;   in Loop: Header=BB132_115 Depth=1
	s_or_b64 exec, exec, s[10:11]
	v_and_b32_e32 v6, 0x3fffffff, v16
	v_add_u32_e32 v12, v6, v12
	v_cmp_eq_u32_e64 s[0:1], s15, v2
	s_and_b64 s[10:11], exec, s[0:1]
	s_or_b64 s[4:5], s[10:11], s[4:5]
	s_andn2_b64 exec, exec, s[4:5]
	s_cbranch_execz .LBB132_120
.LBB132_115:                            ; =>This Loop Header: Depth=1
                                        ;     Child Loop BB132_118 Depth 2
	s_or_b64 s[0:1], s[0:1], exec
	s_cmp_eq_u32 s16, 0
	s_cbranch_scc1 .LBB132_119
; %bb.116:                              ;   in Loop: Header=BB132_115 Depth=1
	s_add_i32 s16, s16, -1
	v_lshl_or_b32 v2, s16, 8, v8
	v_lshlrev_b64 v[6:7], 2, v[2:3]
	v_add_co_u32_e64 v6, s[0:1], s34, v6
	v_addc_co_u32_e64 v7, s[0:1], v9, v7, s[0:1]
	global_load_dword v16, v[6:7], off glc
	s_waitcnt vmcnt(0)
	v_and_b32_e32 v2, -2.0, v16
	v_cmp_eq_u32_e64 s[0:1], 0, v2
	s_and_saveexec_b64 s[10:11], s[0:1]
	s_cbranch_execz .LBB132_114
; %bb.117:                              ;   in Loop: Header=BB132_115 Depth=1
	s_mov_b64 s[12:13], 0
.LBB132_118:                            ;   Parent Loop BB132_115 Depth=1
                                        ; =>  This Inner Loop Header: Depth=2
	global_load_dword v16, v[6:7], off glc
	s_waitcnt vmcnt(0)
	v_and_b32_e32 v2, -2.0, v16
	v_cmp_ne_u32_e64 s[0:1], 0, v2
	s_or_b64 s[12:13], s[0:1], s[12:13]
	s_andn2_b64 exec, exec, s[12:13]
	s_cbranch_execnz .LBB132_118
	s_branch .LBB132_113
.LBB132_119:                            ;   in Loop: Header=BB132_115 Depth=1
                                        ; implicit-def: $sgpr16
	s_and_b64 s[10:11], exec, s[0:1]
	s_or_b64 s[4:5], s[10:11], s[4:5]
	s_andn2_b64 exec, exec, s[4:5]
	s_cbranch_execnz .LBB132_115
.LBB132_120:
	s_or_b64 exec, exec, s[4:5]
	v_add_u32_e32 v2, v12, v14
	v_or_b32_e32 v2, 0x80000000, v2
	global_store_dword v[4:5], v2, off
	v_lshlrev_b32_e32 v4, 3, v8
	global_load_dwordx2 v[2:3], v4, s[44:45]
	v_sub_co_u32_e64 v5, s[0:1], v12, v0
	v_subb_co_u32_e64 v6, s[0:1], 0, v1, s[0:1]
	v_mov_b32_e32 v9, 0
	s_waitcnt vmcnt(0)
	v_add_co_u32_e64 v2, s[0:1], v5, v2
	v_addc_co_u32_e64 v3, s[0:1], v6, v3, s[0:1]
	ds_write_b64 v4, v[2:3]
.LBB132_121:
	s_or_b64 exec, exec, s[2:3]
	s_waitcnt lgkmcnt(0)
	s_barrier
	ds_read2st64_b32 v[2:3], v18 offset0:16 offset1:24
	ds_read2st64_b32 v[4:5], v18 offset0:32 offset1:40
	s_brev_b32 s2, 1
	v_bfrev_b32_e32 v12, -2
	v_lshlrev_b32_e32 v6, 2, v8
	s_waitcnt lgkmcnt(1)
	v_cmp_ne_u32_e64 s[0:1], s2, v2
	v_cndmask_b32_e64 v7, v12, v2, s[0:1]
	ds_read_b32 v21, v18 offset:12288
	ds_read_b32 v28, v6 offset:2048
	v_lshrrev_b32_e32 v7, s48, v7
	v_and_b32_e32 v7, s14, v7
	s_waitcnt lgkmcnt(2)
	v_cmp_ne_u32_e64 s[0:1], s2, v4
	v_lshlrev_b32_e32 v16, 3, v7
	v_cndmask_b32_e64 v7, v12, v4, s[0:1]
	v_lshrrev_b32_e32 v7, s48, v7
	v_and_b32_e32 v7, s14, v7
	s_waitcnt lgkmcnt(1)
	v_cmp_ne_u32_e64 s[0:1], s2, v21
	v_lshlrev_b32_e32 v25, 3, v7
	v_cndmask_b32_e64 v7, v12, v21, s[0:1]
	s_waitcnt lgkmcnt(0)
	v_cmp_ne_u32_e64 s[0:1], s2, v28
	v_cndmask_b32_e64 v29, v12, v28, s[0:1]
	v_cmp_gt_i32_e64 s[0:1], 0, v28
	v_cndmask_b32_e64 v30, v12, 0, s[0:1]
	v_cmp_ne_u32_e64 s[0:1], s2, v3
	v_xor_b32_e32 v36, v30, v28
	v_cndmask_b32_e64 v28, v12, v3, s[0:1]
	v_lshrrev_b32_e32 v29, s48, v29
	v_lshrrev_b32_e32 v28, s48, v28
	;; [unrolled: 1-line block ×3, first 2 shown]
	v_and_b32_e32 v29, s14, v29
	v_and_b32_e32 v28, s14, v28
	v_cmp_ne_u32_e64 s[0:1], s2, v5
	v_and_b32_e32 v7, s14, v7
	v_lshlrev_b32_e32 v43, 3, v29
	v_lshlrev_b32_e32 v44, 3, v28
	v_cndmask_b32_e64 v28, v12, v5, s[0:1]
	v_lshlrev_b32_e32 v42, 3, v7
	ds_read_b64 v[6:7], v16
	ds_read_b64 v[22:23], v25
	;; [unrolled: 1-line block ×3, first 2 shown]
	v_lshrrev_b32_e32 v30, s48, v28
	ds_read_b64 v[28:29], v43
	v_mov_b32_e32 v34, s39
	v_and_b32_e32 v30, s14, v30
	v_lshlrev_b32_e32 v45, 3, v30
	ds_read_b64 v[30:31], v44
	ds_read_b64 v[32:33], v45
	s_waitcnt lgkmcnt(2)
	v_lshlrev_b64 v[28:29], 2, v[28:29]
	v_add_co_u32_e64 v35, s[0:1], s38, v28
	v_addc_co_u32_e64 v37, s[0:1], v34, v29, s[0:1]
	v_lshlrev_b64 v[28:29], 2, v[8:9]
	v_add_co_u32_e64 v34, s[0:1], v35, v28
	v_addc_co_u32_e64 v35, s[0:1], v37, v29, s[0:1]
	v_cmp_gt_i32_e64 s[0:1], 0, v2
	global_store_dword v[34:35], v36, off
	v_cndmask_b32_e64 v34, v12, 0, s[0:1]
	v_lshlrev_b64 v[6:7], 2, v[6:7]
	v_xor_b32_e32 v2, v34, v2
	v_mov_b32_e32 v34, s39
	v_add_co_u32_e64 v40, s[0:1], s38, v6
	v_addc_co_u32_e64 v41, s[0:1], v34, v7, s[0:1]
	s_lshl_b64 s[0:1], s[30:31], 3
	s_add_u32 s0, s40, s0
	s_addc_u32 s1, s41, s1
	v_lshlrev_b32_e32 v6, 3, v11
	v_mov_b32_e32 v7, s1
	v_add_co_u32_e64 v6, s[0:1], s0, v6
	v_addc_co_u32_e64 v7, s[0:1], 0, v7, s[0:1]
	v_lshlrev_b32_e32 v10, 3, v10
	v_add_co_u32_e64 v6, s[0:1], v6, v10
	v_addc_co_u32_e64 v7, s[0:1], 0, v7, s[0:1]
	global_load_dwordx2 v[10:11], v[6:7], off
	global_load_dwordx2 v[34:35], v[6:7], off offset:512
	global_load_dwordx2 v[36:37], v[6:7], off offset:1024
	;; [unrolled: 1-line block ×3, first 2 shown]
	v_add_co_u32_e64 v28, s[0:1], v40, v28
	v_addc_co_u32_e64 v29, s[0:1], v41, v29, s[0:1]
	global_load_dwordx2 v[40:41], v[6:7], off offset:2048
	v_cmp_gt_i32_e64 s[0:1], 0, v3
	global_load_dwordx2 v[6:7], v[6:7], off offset:2560
	s_movk_i32 s2, 0x800
	global_store_dword v[28:29], v2, off offset:2048
	v_cndmask_b32_e64 v2, v12, 0, s[0:1]
	v_xor_b32_e32 v29, v2, v3
	s_waitcnt lgkmcnt(1)
	v_lshlrev_b64 v[2:3], 2, v[30:31]
	v_or_b32_e32 v28, 0x400, v8
	v_mov_b32_e32 v30, s39
	v_add_co_u32_e64 v2, s[0:1], s38, v2
	v_addc_co_u32_e64 v3, s[0:1], v30, v3, s[0:1]
	v_lshlrev_b32_e32 v30, 2, v28
	v_add_co_u32_e64 v2, s[0:1], v2, v30
	v_addc_co_u32_e64 v3, s[0:1], 0, v3, s[0:1]
	v_cmp_gt_i32_e64 s[0:1], 0, v4
	global_store_dword v[2:3], v29, off
	v_cndmask_b32_e64 v2, v12, 0, s[0:1]
	v_xor_b32_e32 v4, v2, v4
	v_lshlrev_b64 v[2:3], 2, v[22:23]
	v_add_u32_e32 v29, 0x600, v8
	v_mov_b32_e32 v22, s39
	v_add_co_u32_e64 v2, s[0:1], s38, v2
	v_addc_co_u32_e64 v3, s[0:1], v22, v3, s[0:1]
	v_lshlrev_b32_e32 v22, 2, v29
	v_add_co_u32_e64 v2, s[0:1], v2, v22
	v_addc_co_u32_e64 v3, s[0:1], 0, v3, s[0:1]
	v_cmp_gt_i32_e64 s[0:1], 0, v5
	global_store_dword v[2:3], v4, off
	v_cndmask_b32_e64 v2, v12, 0, s[0:1]
	v_xor_b32_e32 v4, v2, v5
	s_waitcnt lgkmcnt(0)
	v_lshlrev_b64 v[2:3], 2, v[32:33]
	v_or_b32_e32 v22, 0x800, v8
	v_mov_b32_e32 v5, s39
	v_add_co_u32_e64 v2, s[0:1], s38, v2
	v_addc_co_u32_e64 v3, s[0:1], v5, v3, s[0:1]
	v_lshlrev_b32_e32 v5, 2, v22
	v_add_co_u32_e64 v2, s[0:1], v2, v5
	v_addc_co_u32_e64 v3, s[0:1], 0, v3, s[0:1]
	v_cmp_gt_i32_e64 s[0:1], 0, v21
	global_store_dword v[2:3], v4, off
	v_cndmask_b32_e64 v2, v12, 0, s[0:1]
	v_xor_b32_e32 v4, v2, v21
	v_lshlrev_b64 v[2:3], 2, v[26:27]
	v_add_u32_e32 v23, 0xa00, v8
	v_mov_b32_e32 v5, s39
	v_add_co_u32_e64 v2, s[0:1], s38, v2
	v_addc_co_u32_e64 v3, s[0:1], v5, v3, s[0:1]
	v_lshlrev_b32_e32 v5, 2, v23
	v_add_co_u32_e64 v2, s[0:1], v2, v5
	v_addc_co_u32_e64 v3, s[0:1], 0, v3, s[0:1]
	global_store_dword v[2:3], v4, off
	v_lshlrev_b32_e32 v2, 3, v24
	s_barrier
	s_waitcnt vmcnt(10)
	ds_write_b64 v2, v[10:11] offset:2048
	v_lshlrev_b32_e32 v2, 3, v20
	s_waitcnt vmcnt(9)
	ds_write_b64 v2, v[34:35] offset:2048
	v_lshlrev_b32_e32 v2, 3, v19
	;; [unrolled: 3-line block ×5, first 2 shown]
	s_waitcnt vmcnt(5)
	ds_write_b64 v2, v[6:7] offset:2048
	s_waitcnt lgkmcnt(0)
	s_barrier
	ds_read_b64 v[2:3], v43
	v_mov_b32_e32 v5, s43
	v_lshlrev_b32_e32 v4, 3, v8
	ds_read_b64 v[6:7], v16
	ds_read_b64 v[10:11], v44
	;; [unrolled: 1-line block ×3, first 2 shown]
	v_mov_b32_e32 v24, s43
	s_waitcnt lgkmcnt(3)
	v_lshlrev_b64 v[2:3], 3, v[2:3]
	v_add_co_u32_e64 v15, s[0:1], s42, v2
	v_addc_co_u32_e64 v5, s[0:1], v5, v3, s[0:1]
	v_lshlrev_b64 v[2:3], 3, v[8:9]
	v_add_co_u32_e64 v2, s[0:1], v15, v2
	v_addc_co_u32_e64 v3, s[0:1], v5, v3, s[0:1]
	ds_read_b64 v[4:5], v4 offset:2048
	v_add3_u32 v15, v18, s2, v18
	s_waitcnt lgkmcnt(3)
	v_lshlrev_b64 v[6:7], 3, v[6:7]
	ds_read_b64 v[16:17], v45
	ds_read_b64 v[18:19], v15 offset:20480
	ds_read_b64 v[20:21], v42
	v_add_co_u32_e64 v6, s[0:1], s42, v6
	s_waitcnt lgkmcnt(3)
	global_store_dwordx2 v[2:3], v[4:5], off
	ds_read2st64_b64 v[2:5], v15 offset0:8 offset1:16
	v_addc_co_u32_e64 v7, s[0:1], v24, v7, s[0:1]
	v_mov_b32_e32 v24, 0x1000
	v_lshl_add_u32 v24, v8, 3, v24
	v_add_co_u32_e64 v6, s[0:1], v6, v24
	v_addc_co_u32_e64 v7, s[0:1], 0, v7, s[0:1]
	s_waitcnt lgkmcnt(0)
	global_store_dwordx2 v[6:7], v[2:3], off
	v_lshlrev_b64 v[2:3], 3, v[10:11]
	v_mov_b32_e32 v6, s43
	v_add_co_u32_e64 v2, s[0:1], s42, v2
	v_addc_co_u32_e64 v3, s[0:1], v6, v3, s[0:1]
	v_lshlrev_b32_e32 v6, 3, v28
	v_add_co_u32_e64 v2, s[0:1], v2, v6
	v_addc_co_u32_e64 v3, s[0:1], 0, v3, s[0:1]
	global_store_dwordx2 v[2:3], v[4:5], off
	ds_read2st64_b64 v[2:5], v15 offset0:24 offset1:32
	v_lshlrev_b64 v[6:7], 3, v[12:13]
	v_mov_b32_e32 v10, s43
	v_add_co_u32_e64 v6, s[0:1], s42, v6
	v_addc_co_u32_e64 v7, s[0:1], v10, v7, s[0:1]
	v_lshlrev_b32_e32 v10, 3, v29
	v_add_co_u32_e64 v6, s[0:1], v6, v10
	v_addc_co_u32_e64 v7, s[0:1], 0, v7, s[0:1]
	s_waitcnt lgkmcnt(0)
	global_store_dwordx2 v[6:7], v[2:3], off
	v_lshlrev_b64 v[2:3], 3, v[16:17]
	v_mov_b32_e32 v6, s43
	v_add_co_u32_e64 v2, s[0:1], s42, v2
	v_addc_co_u32_e64 v3, s[0:1], v6, v3, s[0:1]
	v_lshlrev_b32_e32 v6, 3, v22
	v_add_co_u32_e64 v2, s[0:1], v2, v6
	v_addc_co_u32_e64 v3, s[0:1], 0, v3, s[0:1]
	global_store_dwordx2 v[2:3], v[4:5], off
	v_lshlrev_b64 v[2:3], 3, v[20:21]
	v_mov_b32_e32 v4, s43
	v_add_co_u32_e64 v2, s[0:1], s42, v2
	v_addc_co_u32_e64 v3, s[0:1], v4, v3, s[0:1]
	v_lshlrev_b32_e32 v4, 3, v23
	v_add_co_u32_e64 v2, s[0:1], v2, v4
	s_add_i32 s7, s7, -1
	v_addc_co_u32_e64 v3, s[0:1], 0, v3, s[0:1]
	s_cmp_eq_u32 s6, s7
	s_cselect_b64 s[0:1], -1, 0
	s_and_b64 s[2:3], vcc, s[0:1]
	global_store_dwordx2 v[2:3], v[18:19], off
                                        ; implicit-def: $vgpr4_vgpr5
	s_and_saveexec_b64 s[0:1], s[2:3]
; %bb.122:
	v_add_co_u32_e32 v4, vcc, v0, v14
	v_addc_co_u32_e32 v5, vcc, 0, v1, vcc
	s_or_b64 s[8:9], s[8:9], exec
; %bb.123:
	s_or_b64 exec, exec, s[0:1]
.LBB132_124:
	s_and_saveexec_b64 s[0:1], s[8:9]
	s_cbranch_execnz .LBB132_126
; %bb.125:
	s_endpgm
.LBB132_126:
	v_lshlrev_b32_e32 v2, 3, v8
	ds_read_b64 v[2:3], v2
	v_lshlrev_b64 v[0:1], 3, v[8:9]
	v_mov_b32_e32 v6, s47
	v_add_co_u32_e32 v0, vcc, s46, v0
	v_addc_co_u32_e32 v1, vcc, v6, v1, vcc
	s_waitcnt lgkmcnt(0)
	v_add_co_u32_e32 v2, vcc, v2, v4
	v_addc_co_u32_e32 v3, vcc, v3, v5, vcc
	global_store_dwordx2 v[0:1], v[2:3], off
	s_endpgm
.LBB132_127:
	global_load_dwordx2 v[4:5], v[18:19], off
	s_or_b64 exec, exec, s[28:29]
                                        ; implicit-def: $vgpr6_vgpr7
	s_and_saveexec_b64 s[28:29], s[0:1]
	s_cbranch_execz .LBB132_59
.LBB132_128:
	global_load_dwordx2 v[6:7], v[18:19], off offset:512
	s_or_b64 exec, exec, s[28:29]
                                        ; implicit-def: $vgpr10_vgpr11
	s_and_saveexec_b64 s[0:1], s[2:3]
	s_cbranch_execz .LBB132_60
.LBB132_129:
	global_load_dwordx2 v[10:11], v[18:19], off offset:1024
	s_or_b64 exec, exec, s[0:1]
                                        ; implicit-def: $vgpr12_vgpr13
	s_and_saveexec_b64 s[0:1], s[26:27]
	s_cbranch_execz .LBB132_61
.LBB132_130:
	global_load_dwordx2 v[12:13], v[18:19], off offset:1536
	s_or_b64 exec, exec, s[0:1]
                                        ; implicit-def: $vgpr14_vgpr15
	s_and_saveexec_b64 s[0:1], s[8:9]
	s_cbranch_execz .LBB132_62
.LBB132_131:
	global_load_dwordx2 v[14:15], v[18:19], off offset:2048
	s_or_b64 exec, exec, s[0:1]
                                        ; implicit-def: $vgpr16_vgpr17
	s_and_saveexec_b64 s[0:1], s[10:11]
	s_cbranch_execnz .LBB132_63
	s_branch .LBB132_64
.LBB132_132:
	v_lshlrev_b32_e32 v5, 3, v35
	ds_read_b64 v[6:7], v5
	ds_read_b64 v[10:11], v4 offset:2048
	v_mov_b32_e32 v5, s43
	s_waitcnt lgkmcnt(1)
	v_lshlrev_b64 v[6:7], 3, v[6:7]
	v_add_co_u32_e32 v6, vcc, s42, v6
	v_addc_co_u32_e32 v5, vcc, v5, v7, vcc
	v_add_co_u32_e32 v6, vcc, v6, v4
	v_addc_co_u32_e32 v7, vcc, 0, v5, vcc
	s_waitcnt lgkmcnt(0)
	global_store_dwordx2 v[6:7], v[10:11], off
	s_or_b64 exec, exec, s[0:1]
	s_and_saveexec_b64 s[0:1], s[16:17]
	s_cbranch_execz .LBB132_78
.LBB132_133:
	v_lshlrev_b32_e32 v5, 3, v19
	ds_read_b64 v[6:7], v5
	ds_read_b64 v[10:11], v4 offset:6144
	v_mov_b32_e32 v5, s43
	s_waitcnt lgkmcnt(1)
	v_lshlrev_b64 v[6:7], 3, v[6:7]
	v_add_co_u32_e32 v6, vcc, s42, v6
	v_addc_co_u32_e32 v5, vcc, v5, v7, vcc
	v_lshlrev_b32_e32 v7, 3, v23
	v_add_co_u32_e32 v6, vcc, v6, v7
	v_addc_co_u32_e32 v7, vcc, 0, v5, vcc
	s_waitcnt lgkmcnt(0)
	global_store_dwordx2 v[6:7], v[10:11], off
	s_or_b64 exec, exec, s[0:1]
	s_and_saveexec_b64 s[0:1], s[18:19]
	s_cbranch_execz .LBB132_79
.LBB132_134:
	v_lshlrev_b32_e32 v5, 3, v34
	ds_read_b64 v[6:7], v5
	ds_read_b64 v[10:11], v4 offset:10240
	v_mov_b32_e32 v5, s43
	s_waitcnt lgkmcnt(1)
	v_lshlrev_b64 v[6:7], 3, v[6:7]
	v_add_co_u32_e32 v6, vcc, s42, v6
	v_addc_co_u32_e32 v5, vcc, v5, v7, vcc
	v_lshlrev_b32_e32 v7, 3, v29
	v_add_co_u32_e32 v6, vcc, v6, v7
	v_addc_co_u32_e32 v7, vcc, 0, v5, vcc
	s_waitcnt lgkmcnt(0)
	global_store_dwordx2 v[6:7], v[10:11], off
	s_or_b64 exec, exec, s[0:1]
	s_and_saveexec_b64 s[0:1], s[20:21]
	s_cbranch_execz .LBB132_80
.LBB132_135:
	v_lshlrev_b32_e32 v5, 3, v18
	ds_read_b64 v[6:7], v5
	ds_read_b64 v[10:11], v4 offset:14336
	v_mov_b32_e32 v5, s43
	s_waitcnt lgkmcnt(1)
	v_lshlrev_b64 v[6:7], 3, v[6:7]
	v_add_co_u32_e32 v6, vcc, s42, v6
	v_addc_co_u32_e32 v5, vcc, v5, v7, vcc
	v_lshlrev_b32_e32 v7, 3, v30
	v_add_co_u32_e32 v6, vcc, v6, v7
	v_addc_co_u32_e32 v7, vcc, 0, v5, vcc
	s_waitcnt lgkmcnt(0)
	global_store_dwordx2 v[6:7], v[10:11], off
	s_or_b64 exec, exec, s[0:1]
	s_and_saveexec_b64 s[0:1], s[22:23]
	s_cbranch_execz .LBB132_81
.LBB132_136:
	v_lshlrev_b32_e32 v5, 3, v33
	ds_read_b64 v[6:7], v5
	ds_read_b64 v[10:11], v4 offset:18432
	v_mov_b32_e32 v5, s43
	s_waitcnt lgkmcnt(1)
	v_lshlrev_b64 v[6:7], 3, v[6:7]
	v_add_co_u32_e32 v6, vcc, s42, v6
	v_addc_co_u32_e32 v5, vcc, v5, v7, vcc
	v_lshlrev_b32_e32 v7, 3, v31
	v_add_co_u32_e32 v6, vcc, v6, v7
	v_addc_co_u32_e32 v7, vcc, 0, v5, vcc
	s_waitcnt lgkmcnt(0)
	global_store_dwordx2 v[6:7], v[10:11], off
	s_or_b64 exec, exec, s[0:1]
	s_and_saveexec_b64 s[0:1], s[24:25]
	s_cbranch_execnz .LBB132_82
	s_branch .LBB132_83
	.section	.rodata,"a",@progbits
	.p2align	6, 0x0
	.amdhsa_kernel _ZN7rocprim17ROCPRIM_304000_NS6detail25onesweep_iteration_kernelINS1_34wrapped_radix_sort_onesweep_configINS0_14default_configEfN2at4cuda3cub6detail10OpaqueTypeILi8EEEEELb1EPfSC_PSA_SD_mNS0_19identity_decomposerEEEvT1_T2_T3_T4_jPT5_SK_PNS1_23onesweep_lookback_stateET6_jjj
		.amdhsa_group_segment_fixed_size 26624
		.amdhsa_private_segment_fixed_size 0
		.amdhsa_kernarg_size 336
		.amdhsa_user_sgpr_count 6
		.amdhsa_user_sgpr_private_segment_buffer 1
		.amdhsa_user_sgpr_dispatch_ptr 0
		.amdhsa_user_sgpr_queue_ptr 0
		.amdhsa_user_sgpr_kernarg_segment_ptr 1
		.amdhsa_user_sgpr_dispatch_id 0
		.amdhsa_user_sgpr_flat_scratch_init 0
		.amdhsa_user_sgpr_kernarg_preload_length 0
		.amdhsa_user_sgpr_kernarg_preload_offset 0
		.amdhsa_user_sgpr_private_segment_size 0
		.amdhsa_uses_dynamic_stack 0
		.amdhsa_system_sgpr_private_segment_wavefront_offset 0
		.amdhsa_system_sgpr_workgroup_id_x 1
		.amdhsa_system_sgpr_workgroup_id_y 0
		.amdhsa_system_sgpr_workgroup_id_z 0
		.amdhsa_system_sgpr_workgroup_info 0
		.amdhsa_system_vgpr_workitem_id 2
		.amdhsa_next_free_vgpr 46
		.amdhsa_next_free_sgpr 52
		.amdhsa_accum_offset 48
		.amdhsa_reserve_vcc 1
		.amdhsa_reserve_flat_scratch 0
		.amdhsa_float_round_mode_32 0
		.amdhsa_float_round_mode_16_64 0
		.amdhsa_float_denorm_mode_32 3
		.amdhsa_float_denorm_mode_16_64 3
		.amdhsa_dx10_clamp 1
		.amdhsa_ieee_mode 1
		.amdhsa_fp16_overflow 0
		.amdhsa_tg_split 0
		.amdhsa_exception_fp_ieee_invalid_op 0
		.amdhsa_exception_fp_denorm_src 0
		.amdhsa_exception_fp_ieee_div_zero 0
		.amdhsa_exception_fp_ieee_overflow 0
		.amdhsa_exception_fp_ieee_underflow 0
		.amdhsa_exception_fp_ieee_inexact 0
		.amdhsa_exception_int_div_zero 0
	.end_amdhsa_kernel
	.section	.text._ZN7rocprim17ROCPRIM_304000_NS6detail25onesweep_iteration_kernelINS1_34wrapped_radix_sort_onesweep_configINS0_14default_configEfN2at4cuda3cub6detail10OpaqueTypeILi8EEEEELb1EPfSC_PSA_SD_mNS0_19identity_decomposerEEEvT1_T2_T3_T4_jPT5_SK_PNS1_23onesweep_lookback_stateET6_jjj,"axG",@progbits,_ZN7rocprim17ROCPRIM_304000_NS6detail25onesweep_iteration_kernelINS1_34wrapped_radix_sort_onesweep_configINS0_14default_configEfN2at4cuda3cub6detail10OpaqueTypeILi8EEEEELb1EPfSC_PSA_SD_mNS0_19identity_decomposerEEEvT1_T2_T3_T4_jPT5_SK_PNS1_23onesweep_lookback_stateET6_jjj,comdat
.Lfunc_end132:
	.size	_ZN7rocprim17ROCPRIM_304000_NS6detail25onesweep_iteration_kernelINS1_34wrapped_radix_sort_onesweep_configINS0_14default_configEfN2at4cuda3cub6detail10OpaqueTypeILi8EEEEELb1EPfSC_PSA_SD_mNS0_19identity_decomposerEEEvT1_T2_T3_T4_jPT5_SK_PNS1_23onesweep_lookback_stateET6_jjj, .Lfunc_end132-_ZN7rocprim17ROCPRIM_304000_NS6detail25onesweep_iteration_kernelINS1_34wrapped_radix_sort_onesweep_configINS0_14default_configEfN2at4cuda3cub6detail10OpaqueTypeILi8EEEEELb1EPfSC_PSA_SD_mNS0_19identity_decomposerEEEvT1_T2_T3_T4_jPT5_SK_PNS1_23onesweep_lookback_stateET6_jjj
                                        ; -- End function
	.section	.AMDGPU.csdata,"",@progbits
; Kernel info:
; codeLenInByte = 12168
; NumSgprs: 56
; NumVgprs: 46
; NumAgprs: 0
; TotalNumVgprs: 46
; ScratchSize: 0
; MemoryBound: 0
; FloatMode: 240
; IeeeMode: 1
; LDSByteSize: 26624 bytes/workgroup (compile time only)
; SGPRBlocks: 6
; VGPRBlocks: 5
; NumSGPRsForWavesPerEU: 56
; NumVGPRsForWavesPerEU: 46
; AccumOffset: 48
; Occupancy: 4
; WaveLimiterHint : 1
; COMPUTE_PGM_RSRC2:SCRATCH_EN: 0
; COMPUTE_PGM_RSRC2:USER_SGPR: 6
; COMPUTE_PGM_RSRC2:TRAP_HANDLER: 0
; COMPUTE_PGM_RSRC2:TGID_X_EN: 1
; COMPUTE_PGM_RSRC2:TGID_Y_EN: 0
; COMPUTE_PGM_RSRC2:TGID_Z_EN: 0
; COMPUTE_PGM_RSRC2:TIDIG_COMP_CNT: 2
; COMPUTE_PGM_RSRC3_GFX90A:ACCUM_OFFSET: 11
; COMPUTE_PGM_RSRC3_GFX90A:TG_SPLIT: 0
	.section	.text._ZN7rocprim17ROCPRIM_304000_NS6detail28radix_sort_block_sort_kernelINS1_36wrapped_radix_sort_block_sort_configINS0_13kernel_configILj256ELj4ELj4294967295EEEfN2at4cuda3cub6detail10OpaqueTypeILi8EEEEELb0EPKfPfPKSB_PSB_NS0_19identity_decomposerEEEvT1_T2_T3_T4_jT5_jj,"axG",@progbits,_ZN7rocprim17ROCPRIM_304000_NS6detail28radix_sort_block_sort_kernelINS1_36wrapped_radix_sort_block_sort_configINS0_13kernel_configILj256ELj4ELj4294967295EEEfN2at4cuda3cub6detail10OpaqueTypeILi8EEEEELb0EPKfPfPKSB_PSB_NS0_19identity_decomposerEEEvT1_T2_T3_T4_jT5_jj,comdat
	.protected	_ZN7rocprim17ROCPRIM_304000_NS6detail28radix_sort_block_sort_kernelINS1_36wrapped_radix_sort_block_sort_configINS0_13kernel_configILj256ELj4ELj4294967295EEEfN2at4cuda3cub6detail10OpaqueTypeILi8EEEEELb0EPKfPfPKSB_PSB_NS0_19identity_decomposerEEEvT1_T2_T3_T4_jT5_jj ; -- Begin function _ZN7rocprim17ROCPRIM_304000_NS6detail28radix_sort_block_sort_kernelINS1_36wrapped_radix_sort_block_sort_configINS0_13kernel_configILj256ELj4ELj4294967295EEEfN2at4cuda3cub6detail10OpaqueTypeILi8EEEEELb0EPKfPfPKSB_PSB_NS0_19identity_decomposerEEEvT1_T2_T3_T4_jT5_jj
	.globl	_ZN7rocprim17ROCPRIM_304000_NS6detail28radix_sort_block_sort_kernelINS1_36wrapped_radix_sort_block_sort_configINS0_13kernel_configILj256ELj4ELj4294967295EEEfN2at4cuda3cub6detail10OpaqueTypeILi8EEEEELb0EPKfPfPKSB_PSB_NS0_19identity_decomposerEEEvT1_T2_T3_T4_jT5_jj
	.p2align	8
	.type	_ZN7rocprim17ROCPRIM_304000_NS6detail28radix_sort_block_sort_kernelINS1_36wrapped_radix_sort_block_sort_configINS0_13kernel_configILj256ELj4ELj4294967295EEEfN2at4cuda3cub6detail10OpaqueTypeILi8EEEEELb0EPKfPfPKSB_PSB_NS0_19identity_decomposerEEEvT1_T2_T3_T4_jT5_jj,@function
_ZN7rocprim17ROCPRIM_304000_NS6detail28radix_sort_block_sort_kernelINS1_36wrapped_radix_sort_block_sort_configINS0_13kernel_configILj256ELj4ELj4294967295EEEfN2at4cuda3cub6detail10OpaqueTypeILi8EEEEELb0EPKfPfPKSB_PSB_NS0_19identity_decomposerEEEvT1_T2_T3_T4_jT5_jj: ; @_ZN7rocprim17ROCPRIM_304000_NS6detail28radix_sort_block_sort_kernelINS1_36wrapped_radix_sort_block_sort_configINS0_13kernel_configILj256ELj4ELj4294967295EEEfN2at4cuda3cub6detail10OpaqueTypeILi8EEEEELb0EPKfPfPKSB_PSB_NS0_19identity_decomposerEEEvT1_T2_T3_T4_jT5_jj
; %bb.0:
	s_load_dword s2, s[4:5], 0x20
	s_load_dwordx8 s[36:43], s[4:5], 0x0
	s_lshl_b32 s28, s6, 10
	s_mov_b32 s29, 0
	v_mbcnt_lo_u32_b32 v1, -1, 0
	s_waitcnt lgkmcnt(0)
	s_lshr_b32 s0, s2, 10
	s_cmp_lg_u32 s6, s0
	s_cselect_b64 s[30:31], -1, 0
	s_lshl_b64 s[34:35], s[28:29], 2
	v_and_b32_e32 v8, 0x3ff, v0
	s_add_u32 s1, s36, s34
	v_mbcnt_hi_u32_b32 v1, -1, v1
	s_addc_u32 s3, s37, s35
	v_lshlrev_b32_e32 v9, 2, v8
	v_lshlrev_b32_e32 v2, 2, v1
	v_and_b32_e32 v10, 0x300, v9
	v_mov_b32_e32 v3, s3
	v_add_co_u32_e32 v2, vcc, s1, v2
	v_addc_co_u32_e32 v3, vcc, 0, v3, vcc
	v_lshlrev_b32_e32 v4, 2, v10
	v_add_co_u32_e32 v6, vcc, v2, v4
	s_cmp_eq_u32 s6, s0
	v_addc_co_u32_e32 v7, vcc, 0, v3, vcc
	v_lshlrev_b32_e32 v15, 3, v1
	v_lshlrev_b32_e32 v14, 3, v10
	v_add_u32_e32 v12, v1, v10
	s_cbranch_scc1 .LBB133_2
; %bb.1:
	s_lshl_b64 s[0:1], s[28:29], 3
	s_add_u32 s0, s40, s0
	s_addc_u32 s1, s41, s1
	v_mov_b32_e32 v11, s1
	v_add_co_u32_e32 v13, vcc, s0, v15
	v_addc_co_u32_e32 v11, vcc, 0, v11, vcc
	v_add_co_u32_e32 v16, vcc, v13, v14
	v_addc_co_u32_e32 v17, vcc, 0, v11, vcc
	global_load_dword v2, v[6:7], off
	global_load_dword v3, v[6:7], off offset:256
	global_load_dword v4, v[6:7], off offset:512
	;; [unrolled: 1-line block ×3, first 2 shown]
	global_load_dwordx2 v[20:21], v[16:17], off
	global_load_dwordx2 v[22:23], v[16:17], off offset:512
	global_load_dwordx2 v[24:25], v[16:17], off offset:1024
	;; [unrolled: 1-line block ×3, first 2 shown]
	v_add_u32_e32 v16, v1, v10
	v_add_u32_e32 v10, 64, v16
	;; [unrolled: 1-line block ×4, first 2 shown]
	s_sub_i32 s33, s2, s28
	s_cbranch_execz .LBB133_3
	s_branch .LBB133_17
.LBB133_2:
                                        ; implicit-def: $vgpr2_vgpr3_vgpr4_vgpr5
                                        ; implicit-def: $vgpr20_vgpr21
                                        ; implicit-def: $vgpr22_vgpr23
                                        ; implicit-def: $vgpr24_vgpr25
                                        ; implicit-def: $vgpr26_vgpr27
                                        ; implicit-def: $vgpr16
                                        ; implicit-def: $vgpr10
                                        ; implicit-def: $vgpr11
                                        ; implicit-def: $vgpr13
	s_sub_i32 s33, s2, s28
.LBB133_3:
	s_brev_b32 s0, -2
	s_mov_b32 s2, s0
	s_mov_b32 s3, s0
	;; [unrolled: 1-line block ×3, first 2 shown]
	s_waitcnt vmcnt(4)
	v_pk_mov_b32 v[4:5], s[2:3], s[2:3] op_sel:[0,1]
	v_cmp_gt_u32_e32 vcc, s33, v12
	v_pk_mov_b32 v[2:3], s[0:1], s[0:1] op_sel:[0,1]
	s_and_saveexec_b64 s[0:1], vcc
	s_cbranch_execz .LBB133_5
; %bb.4:
	global_load_dword v2, v[6:7], off
	v_bfrev_b32_e32 v3, -2
	v_mov_b32_e32 v4, v3
	v_mov_b32_e32 v5, v3
.LBB133_5:
	s_or_b64 exec, exec, s[0:1]
	v_add_u32_e32 v10, 64, v12
	v_cmp_gt_u32_e64 s[0:1], s33, v10
	s_and_saveexec_b64 s[2:3], s[0:1]
	s_cbranch_execz .LBB133_7
; %bb.6:
	global_load_dword v3, v[6:7], off offset:256
.LBB133_7:
	s_or_b64 exec, exec, s[2:3]
	v_add_u32_e32 v11, 0x80, v12
	v_cmp_gt_u32_e64 s[2:3], s33, v11
	s_and_saveexec_b64 s[6:7], s[2:3]
	s_cbranch_execz .LBB133_9
; %bb.8:
	global_load_dword v4, v[6:7], off offset:512
.LBB133_9:
	;; [unrolled: 8-line block ×3, first 2 shown]
	s_or_b64 exec, exec, s[8:9]
	s_lshl_b64 s[8:9], s[28:29], 3
	s_add_u32 s8, s40, s8
	s_addc_u32 s9, s41, s9
	v_mov_b32_e32 v6, s9
	v_add_co_u32_e64 v7, s[8:9], s8, v15
	v_addc_co_u32_e64 v15, s[8:9], 0, v6, s[8:9]
	v_add_co_u32_e64 v6, s[8:9], v7, v14
	v_addc_co_u32_e64 v7, s[8:9], 0, v15, s[8:9]
                                        ; implicit-def: $vgpr20_vgpr21
	s_and_saveexec_b64 s[8:9], vcc
	s_cbranch_execnz .LBB133_54
; %bb.12:
	s_or_b64 exec, exec, s[8:9]
                                        ; implicit-def: $vgpr22_vgpr23
	s_and_saveexec_b64 s[8:9], s[0:1]
	s_cbranch_execnz .LBB133_55
.LBB133_13:
	s_or_b64 exec, exec, s[8:9]
                                        ; implicit-def: $vgpr24_vgpr25
	s_and_saveexec_b64 s[0:1], s[2:3]
	s_cbranch_execnz .LBB133_56
.LBB133_14:
	s_or_b64 exec, exec, s[0:1]
                                        ; implicit-def: $vgpr26_vgpr27
	s_and_saveexec_b64 s[0:1], s[6:7]
	s_cbranch_execz .LBB133_16
.LBB133_15:
	global_load_dwordx2 v[26:27], v[6:7], off offset:1536
.LBB133_16:
	s_or_b64 exec, exec, s[0:1]
	v_mov_b32_e32 v16, v12
.LBB133_17:
	s_load_dwordx2 s[36:37], s[4:5], 0x28
	s_load_dword s0, s[4:5], 0x3c
	v_bfrev_b32_e32 v28, 1
	s_waitcnt vmcnt(0)
	v_cmp_lt_i32_e32 vcc, -1, v2
	v_cndmask_b32_e32 v6, -1, v28, vcc
	v_cmp_lt_i32_e32 vcc, -1, v3
	v_xor_b32_e32 v2, v6, v2
	v_cndmask_b32_e32 v6, -1, v28, vcc
	v_cmp_lt_i32_e32 vcc, -1, v4
	v_xor_b32_e32 v3, v6, v3
	v_cndmask_b32_e32 v6, -1, v28, vcc
	v_cmp_lt_i32_e32 vcc, -1, v5
	v_xor_b32_e32 v19, v6, v4
	v_cndmask_b32_e32 v4, -1, v28, vcc
	v_xor_b32_e32 v47, v4, v5
	s_waitcnt lgkmcnt(0)
	s_lshr_b32 s1, s0, 16
	v_bfe_u32 v4, v0, 10, 10
	v_bfe_u32 v0, v0, 20, 10
	s_and_b32 s0, s0, 0xffff
	v_mad_u32_u24 v0, v0, s1, v4
	v_mad_u64_u32 v[4:5], s[0:1], v0, s0, v[8:9]
	v_and_b32_e32 v0, 15, v1
	v_cmp_eq_u32_e64 s[0:1], 0, v0
	v_cmp_lt_u32_e64 s[2:3], 1, v0
	v_cmp_lt_u32_e64 s[4:5], 3, v0
	;; [unrolled: 1-line block ×3, first 2 shown]
	v_and_b32_e32 v0, 16, v1
	v_cmp_eq_u32_e64 s[8:9], 0, v0
	v_and_b32_e32 v0, 0x3c0, v8
	v_min_u32_e32 v0, 0xc0, v0
	v_or_b32_e32 v0, 63, v0
	v_lshrrev_b32_e32 v30, 6, v4
	v_cmp_eq_u32_e64 s[12:13], v0, v8
	v_add_u32_e32 v0, -1, v1
	v_and_b32_e32 v4, 64, v1
	v_cmp_lt_i32_e32 vcc, v0, v4
	v_cndmask_b32_e32 v0, v0, v1, vcc
	s_mov_b32 s26, 0
	v_lshlrev_b32_e32 v32, 2, v0
	v_lshrrev_b32_e32 v0, 4, v8
	v_and_b32_e32 v33, 60, v0
	v_and_b32_e32 v0, 3, v1
	v_lshlrev_b32_e32 v35, 2, v16
	v_lshlrev_b32_e32 v36, 2, v10
	;; [unrolled: 1-line block ×4, first 2 shown]
	s_mov_b32 s27, s26
	s_mov_b32 s44, s26
	;; [unrolled: 1-line block ×3, first 2 shown]
	s_add_i32 s40, s37, s36
	v_lshlrev_b32_e32 v29, 2, v9
	v_cmp_lt_u32_e64 s[10:11], 31, v1
	v_cmp_gt_u32_e64 s[14:15], 4, v8
	v_cmp_lt_u32_e64 s[16:17], 63, v8
	v_cmp_eq_u32_e64 s[18:19], 0, v1
	v_cmp_eq_u32_e64 s[20:21], 0, v8
	v_mul_i32_i24_e32 v31, -12, v8
	v_cmp_eq_u32_e64 s[22:23], 0, v0
	v_cmp_lt_u32_e64 s[24:25], 1, v0
	v_add_u32_e32 v34, -4, v33
	v_pk_mov_b32 v[4:5], s[26:27], s[26:27] op_sel:[0,1]
	v_pk_mov_b32 v[6:7], s[44:45], s[44:45] op_sel:[0,1]
	s_brev_b32 s41, -2
	v_add_u32_e32 v39, v35, v35
	v_add_u32_e32 v40, v36, v36
	;; [unrolled: 1-line block ×4, first 2 shown]
	v_mov_b32_e32 v18, 0
	s_branch .LBB133_19
.LBB133_18:                             ;   in Loop: Header=BB133_19 Depth=1
	v_lshl_add_u32 v20, v49, 2, v53
	s_barrier
	ds_write_b32 v53, v46
	ds_write_b32 v52, v45
	;; [unrolled: 1-line block ×4, first 2 shown]
	s_waitcnt lgkmcnt(0)
	s_barrier
	ds_read_b32 v2, v35
	ds_read_b32 v3, v36
	;; [unrolled: 1-line block ×4, first 2 shown]
	s_waitcnt lgkmcnt(0)
	s_barrier
	ds_write_b64 v20, v[16:17]
	v_lshl_add_u32 v20, v48, 2, v52
	ds_write_b64 v20, v[14:15]
	v_lshl_add_u32 v20, v1, 2, v51
	;; [unrolled: 2-line block ×3, first 2 shown]
	ds_write_b64 v20, v[10:11]
	s_waitcnt lgkmcnt(0)
	s_barrier
	ds_read_b64 v[20:21], v39
	ds_read_b64 v[22:23], v40
	;; [unrolled: 1-line block ×4, first 2 shown]
	s_add_i32 s37, s37, -8
	s_waitcnt lgkmcnt(0)
	s_barrier
	s_cbranch_execz .LBB133_35
.LBB133_19:                             ; =>This Inner Loop Header: Depth=1
	v_mov_b32_e32 v46, v2
	s_min_u32 s26, s37, 8
	v_cmp_ne_u32_e32 vcc, s41, v46
	s_lshl_b32 s26, -1, s26
	v_cndmask_b32_e32 v0, v28, v46, vcc
	s_not_b32 s44, s26
	v_lshrrev_b32_e32 v0, s36, v0
	v_and_b32_e32 v0, s44, v0
	v_lshl_add_u32 v1, v0, 2, v30
	v_pk_mov_b32 v[16:17], v[20:21], v[20:21] op_sel:[0,1]
	v_lshl_add_u32 v20, v1, 2, 16
	v_and_b32_e32 v1, 1, v0
	v_add_co_u32_e32 v2, vcc, -1, v1
	v_mov_b32_e32 v44, v19
	v_mov_b32_e32 v45, v3
	v_addc_co_u32_e64 v3, s[26:27], 0, -1, vcc
	v_cmp_ne_u32_e32 vcc, 0, v1
	v_lshlrev_b32_e32 v19, 30, v0
	v_xor_b32_e32 v1, vcc_hi, v3
	v_not_b32_e32 v3, v19
	v_xor_b32_e32 v2, vcc_lo, v2
	v_cmp_gt_i64_e32 vcc, 0, v[18:19]
	v_ashrrev_i32_e32 v3, 31, v3
	v_and_b32_e32 v1, exec_hi, v1
	v_xor_b32_e32 v19, vcc_hi, v3
	v_and_b32_e32 v2, exec_lo, v2
	v_xor_b32_e32 v3, vcc_lo, v3
	v_and_b32_e32 v1, v1, v19
	v_lshlrev_b32_e32 v19, 29, v0
	v_and_b32_e32 v2, v2, v3
	v_not_b32_e32 v3, v19
	v_cmp_gt_i64_e32 vcc, 0, v[18:19]
	v_ashrrev_i32_e32 v3, 31, v3
	v_xor_b32_e32 v19, vcc_hi, v3
	v_xor_b32_e32 v3, vcc_lo, v3
	v_and_b32_e32 v1, v1, v19
	v_lshlrev_b32_e32 v19, 28, v0
	v_and_b32_e32 v2, v2, v3
	v_not_b32_e32 v3, v19
	v_cmp_gt_i64_e32 vcc, 0, v[18:19]
	v_ashrrev_i32_e32 v3, 31, v3
	v_xor_b32_e32 v19, vcc_hi, v3
	;; [unrolled: 8-line block ×5, first 2 shown]
	v_and_b32_e32 v1, v1, v19
	v_lshlrev_b32_e32 v19, 24, v0
	v_not_b32_e32 v0, v19
	v_xor_b32_e32 v3, vcc_lo, v3
	v_cmp_gt_i64_e32 vcc, 0, v[18:19]
	v_ashrrev_i32_e32 v0, 31, v0
	v_and_b32_e32 v2, v2, v3
	v_xor_b32_e32 v3, vcc_hi, v0
	v_xor_b32_e32 v0, vcc_lo, v0
	v_and_b32_e32 v0, v2, v0
	v_and_b32_e32 v1, v1, v3
	v_mbcnt_lo_u32_b32 v2, v0, 0
	v_mbcnt_hi_u32_b32 v21, v1, v2
	v_cmp_eq_u32_e32 vcc, 0, v21
	v_cmp_ne_u64_e64 s[26:27], 0, v[0:1]
	v_mov_b32_e32 v43, v47
	v_pk_mov_b32 v[14:15], v[22:23], v[22:23] op_sel:[0,1]
	v_pk_mov_b32 v[12:13], v[24:25], v[24:25] op_sel:[0,1]
	;; [unrolled: 1-line block ×3, first 2 shown]
	s_and_b64 s[46:47], s[26:27], vcc
	ds_write2_b64 v29, v[4:5], v[6:7] offset0:2 offset1:3
	s_waitcnt lgkmcnt(0)
	s_barrier
	s_waitcnt lgkmcnt(0)
	; wave barrier
	s_and_saveexec_b64 s[26:27], s[46:47]
	s_cbranch_execz .LBB133_21
; %bb.20:                               ;   in Loop: Header=BB133_19 Depth=1
	v_bcnt_u32_b32 v0, v0, 0
	v_bcnt_u32_b32 v0, v1, v0
	ds_write_b32 v20, v0
.LBB133_21:                             ;   in Loop: Header=BB133_19 Depth=1
	s_or_b64 exec, exec, s[26:27]
	v_cmp_ne_u32_e32 vcc, s41, v45
	v_cndmask_b32_e32 v0, v28, v45, vcc
	v_lshrrev_b32_e32 v0, s36, v0
	v_and_b32_e32 v0, s44, v0
	v_lshlrev_b32_e32 v1, 2, v0
	v_add_lshl_u32 v1, v1, v30, 2
	; wave barrier
	v_add_u32_e32 v23, 16, v1
	ds_read_b32 v22, v1 offset:16
	v_and_b32_e32 v1, 1, v0
	v_add_co_u32_e32 v2, vcc, -1, v1
	v_addc_co_u32_e64 v3, s[26:27], 0, -1, vcc
	v_cmp_ne_u32_e32 vcc, 0, v1
	v_lshlrev_b32_e32 v19, 30, v0
	v_xor_b32_e32 v1, vcc_hi, v3
	v_not_b32_e32 v3, v19
	v_xor_b32_e32 v2, vcc_lo, v2
	v_cmp_gt_i64_e32 vcc, 0, v[18:19]
	v_ashrrev_i32_e32 v3, 31, v3
	v_and_b32_e32 v1, exec_hi, v1
	v_xor_b32_e32 v19, vcc_hi, v3
	v_and_b32_e32 v2, exec_lo, v2
	v_xor_b32_e32 v3, vcc_lo, v3
	v_and_b32_e32 v1, v1, v19
	v_lshlrev_b32_e32 v19, 29, v0
	v_and_b32_e32 v2, v2, v3
	v_not_b32_e32 v3, v19
	v_cmp_gt_i64_e32 vcc, 0, v[18:19]
	v_ashrrev_i32_e32 v3, 31, v3
	v_xor_b32_e32 v19, vcc_hi, v3
	v_xor_b32_e32 v3, vcc_lo, v3
	v_and_b32_e32 v1, v1, v19
	v_lshlrev_b32_e32 v19, 28, v0
	v_and_b32_e32 v2, v2, v3
	v_not_b32_e32 v3, v19
	v_cmp_gt_i64_e32 vcc, 0, v[18:19]
	v_ashrrev_i32_e32 v3, 31, v3
	v_xor_b32_e32 v19, vcc_hi, v3
	;; [unrolled: 8-line block ×5, first 2 shown]
	v_and_b32_e32 v1, v1, v19
	v_lshlrev_b32_e32 v19, 24, v0
	v_not_b32_e32 v0, v19
	v_xor_b32_e32 v3, vcc_lo, v3
	v_cmp_gt_i64_e32 vcc, 0, v[18:19]
	v_ashrrev_i32_e32 v0, 31, v0
	v_and_b32_e32 v2, v2, v3
	v_xor_b32_e32 v3, vcc_hi, v0
	v_xor_b32_e32 v0, vcc_lo, v0
	v_and_b32_e32 v0, v2, v0
	v_and_b32_e32 v1, v1, v3
	v_mbcnt_lo_u32_b32 v2, v0, 0
	v_mbcnt_hi_u32_b32 v24, v1, v2
	v_cmp_eq_u32_e32 vcc, 0, v24
	v_cmp_ne_u64_e64 s[26:27], 0, v[0:1]
	s_and_b64 s[46:47], s[26:27], vcc
	; wave barrier
	s_and_saveexec_b64 s[26:27], s[46:47]
	s_cbranch_execz .LBB133_23
; %bb.22:                               ;   in Loop: Header=BB133_19 Depth=1
	v_bcnt_u32_b32 v0, v0, 0
	v_bcnt_u32_b32 v0, v1, v0
	s_waitcnt lgkmcnt(0)
	v_add_u32_e32 v0, v22, v0
	ds_write_b32 v23, v0
.LBB133_23:                             ;   in Loop: Header=BB133_19 Depth=1
	s_or_b64 exec, exec, s[26:27]
	v_cmp_ne_u32_e32 vcc, s41, v44
	v_cndmask_b32_e32 v0, v28, v44, vcc
	v_lshrrev_b32_e32 v0, s36, v0
	v_and_b32_e32 v0, s44, v0
	v_lshlrev_b32_e32 v1, 2, v0
	v_add_lshl_u32 v1, v1, v30, 2
	; wave barrier
	v_add_u32_e32 v26, 16, v1
	ds_read_b32 v25, v1 offset:16
	v_and_b32_e32 v1, 1, v0
	v_add_co_u32_e32 v2, vcc, -1, v1
	v_addc_co_u32_e64 v3, s[26:27], 0, -1, vcc
	v_cmp_ne_u32_e32 vcc, 0, v1
	v_lshlrev_b32_e32 v19, 30, v0
	v_xor_b32_e32 v1, vcc_hi, v3
	v_not_b32_e32 v3, v19
	v_xor_b32_e32 v2, vcc_lo, v2
	v_cmp_gt_i64_e32 vcc, 0, v[18:19]
	v_ashrrev_i32_e32 v3, 31, v3
	v_and_b32_e32 v1, exec_hi, v1
	v_xor_b32_e32 v19, vcc_hi, v3
	v_and_b32_e32 v2, exec_lo, v2
	v_xor_b32_e32 v3, vcc_lo, v3
	v_and_b32_e32 v1, v1, v19
	v_lshlrev_b32_e32 v19, 29, v0
	v_and_b32_e32 v2, v2, v3
	v_not_b32_e32 v3, v19
	v_cmp_gt_i64_e32 vcc, 0, v[18:19]
	v_ashrrev_i32_e32 v3, 31, v3
	v_xor_b32_e32 v19, vcc_hi, v3
	v_xor_b32_e32 v3, vcc_lo, v3
	v_and_b32_e32 v1, v1, v19
	v_lshlrev_b32_e32 v19, 28, v0
	v_and_b32_e32 v2, v2, v3
	v_not_b32_e32 v3, v19
	v_cmp_gt_i64_e32 vcc, 0, v[18:19]
	v_ashrrev_i32_e32 v3, 31, v3
	v_xor_b32_e32 v19, vcc_hi, v3
	;; [unrolled: 8-line block ×5, first 2 shown]
	v_and_b32_e32 v1, v1, v19
	v_lshlrev_b32_e32 v19, 24, v0
	v_not_b32_e32 v0, v19
	v_xor_b32_e32 v3, vcc_lo, v3
	v_cmp_gt_i64_e32 vcc, 0, v[18:19]
	v_ashrrev_i32_e32 v0, 31, v0
	v_and_b32_e32 v2, v2, v3
	v_xor_b32_e32 v3, vcc_hi, v0
	v_xor_b32_e32 v0, vcc_lo, v0
	v_and_b32_e32 v0, v2, v0
	v_and_b32_e32 v1, v1, v3
	v_mbcnt_lo_u32_b32 v2, v0, 0
	v_mbcnt_hi_u32_b32 v27, v1, v2
	v_cmp_eq_u32_e32 vcc, 0, v27
	v_cmp_ne_u64_e64 s[26:27], 0, v[0:1]
	s_and_b64 s[46:47], s[26:27], vcc
	; wave barrier
	s_and_saveexec_b64 s[26:27], s[46:47]
	s_cbranch_execz .LBB133_25
; %bb.24:                               ;   in Loop: Header=BB133_19 Depth=1
	v_bcnt_u32_b32 v0, v0, 0
	v_bcnt_u32_b32 v0, v1, v0
	s_waitcnt lgkmcnt(0)
	v_add_u32_e32 v0, v25, v0
	ds_write_b32 v26, v0
.LBB133_25:                             ;   in Loop: Header=BB133_19 Depth=1
	s_or_b64 exec, exec, s[26:27]
	v_cmp_ne_u32_e32 vcc, s41, v43
	v_cndmask_b32_e32 v0, v28, v43, vcc
	v_lshrrev_b32_e32 v0, s36, v0
	v_and_b32_e32 v0, s44, v0
	v_lshlrev_b32_e32 v1, 2, v0
	v_add_lshl_u32 v1, v1, v30, 2
	; wave barrier
	v_add_u32_e32 v48, 16, v1
	ds_read_b32 v47, v1 offset:16
	v_and_b32_e32 v1, 1, v0
	v_add_co_u32_e32 v2, vcc, -1, v1
	v_addc_co_u32_e64 v3, s[26:27], 0, -1, vcc
	v_cmp_ne_u32_e32 vcc, 0, v1
	v_lshlrev_b32_e32 v19, 30, v0
	v_xor_b32_e32 v1, vcc_hi, v3
	v_not_b32_e32 v3, v19
	v_xor_b32_e32 v2, vcc_lo, v2
	v_cmp_gt_i64_e32 vcc, 0, v[18:19]
	v_ashrrev_i32_e32 v3, 31, v3
	v_and_b32_e32 v1, exec_hi, v1
	v_xor_b32_e32 v19, vcc_hi, v3
	v_and_b32_e32 v2, exec_lo, v2
	v_xor_b32_e32 v3, vcc_lo, v3
	v_and_b32_e32 v1, v1, v19
	v_lshlrev_b32_e32 v19, 29, v0
	v_and_b32_e32 v2, v2, v3
	v_not_b32_e32 v3, v19
	v_cmp_gt_i64_e32 vcc, 0, v[18:19]
	v_ashrrev_i32_e32 v3, 31, v3
	v_xor_b32_e32 v19, vcc_hi, v3
	v_xor_b32_e32 v3, vcc_lo, v3
	v_and_b32_e32 v1, v1, v19
	v_lshlrev_b32_e32 v19, 28, v0
	v_and_b32_e32 v2, v2, v3
	v_not_b32_e32 v3, v19
	v_cmp_gt_i64_e32 vcc, 0, v[18:19]
	v_ashrrev_i32_e32 v3, 31, v3
	v_xor_b32_e32 v19, vcc_hi, v3
	;; [unrolled: 8-line block ×5, first 2 shown]
	v_and_b32_e32 v1, v1, v19
	v_lshlrev_b32_e32 v19, 24, v0
	v_not_b32_e32 v0, v19
	v_xor_b32_e32 v3, vcc_lo, v3
	v_cmp_gt_i64_e32 vcc, 0, v[18:19]
	v_ashrrev_i32_e32 v0, 31, v0
	v_and_b32_e32 v2, v2, v3
	v_xor_b32_e32 v3, vcc_hi, v0
	v_xor_b32_e32 v0, vcc_lo, v0
	v_and_b32_e32 v0, v2, v0
	v_and_b32_e32 v1, v1, v3
	v_mbcnt_lo_u32_b32 v2, v0, 0
	v_mbcnt_hi_u32_b32 v19, v1, v2
	v_cmp_eq_u32_e32 vcc, 0, v19
	v_cmp_ne_u64_e64 s[26:27], 0, v[0:1]
	s_and_b64 s[44:45], s[26:27], vcc
	; wave barrier
	s_and_saveexec_b64 s[26:27], s[44:45]
	s_cbranch_execz .LBB133_27
; %bb.26:                               ;   in Loop: Header=BB133_19 Depth=1
	v_bcnt_u32_b32 v0, v0, 0
	v_bcnt_u32_b32 v0, v1, v0
	s_waitcnt lgkmcnt(0)
	v_add_u32_e32 v0, v47, v0
	ds_write_b32 v48, v0
.LBB133_27:                             ;   in Loop: Header=BB133_19 Depth=1
	s_or_b64 exec, exec, s[26:27]
	; wave barrier
	s_waitcnt lgkmcnt(0)
	s_barrier
	ds_read2_b64 v[0:3], v29 offset0:2 offset1:3
	s_waitcnt lgkmcnt(0)
	v_add_u32_e32 v49, v1, v0
	v_add3_u32 v3, v49, v2, v3
	s_nop 1
	v_mov_b32_dpp v49, v3 row_shr:1 row_mask:0xf bank_mask:0xf
	v_cndmask_b32_e64 v49, v49, 0, s[0:1]
	v_add_u32_e32 v3, v49, v3
	s_nop 1
	v_mov_b32_dpp v49, v3 row_shr:2 row_mask:0xf bank_mask:0xf
	v_cndmask_b32_e64 v49, 0, v49, s[2:3]
	v_add_u32_e32 v3, v3, v49
	;; [unrolled: 4-line block ×4, first 2 shown]
	s_nop 1
	v_mov_b32_dpp v49, v3 row_bcast:15 row_mask:0xf bank_mask:0xf
	v_cndmask_b32_e64 v49, v49, 0, s[8:9]
	v_add_u32_e32 v3, v3, v49
	s_nop 1
	v_mov_b32_dpp v49, v3 row_bcast:31 row_mask:0xf bank_mask:0xf
	v_cndmask_b32_e64 v49, 0, v49, s[10:11]
	v_add_u32_e32 v3, v3, v49
	s_and_saveexec_b64 s[26:27], s[12:13]
	s_cbranch_execz .LBB133_29
; %bb.28:                               ;   in Loop: Header=BB133_19 Depth=1
	ds_write_b32 v33, v3
.LBB133_29:                             ;   in Loop: Header=BB133_19 Depth=1
	s_or_b64 exec, exec, s[26:27]
	s_waitcnt lgkmcnt(0)
	s_barrier
	s_and_saveexec_b64 s[26:27], s[14:15]
	s_cbranch_execz .LBB133_31
; %bb.30:                               ;   in Loop: Header=BB133_19 Depth=1
	v_add_u32_e32 v49, v29, v31
	ds_read_b32 v50, v49
	s_waitcnt lgkmcnt(0)
	s_nop 0
	v_mov_b32_dpp v51, v50 row_shr:1 row_mask:0xf bank_mask:0xf
	v_cndmask_b32_e64 v51, v51, 0, s[22:23]
	v_add_u32_e32 v50, v51, v50
	s_nop 1
	v_mov_b32_dpp v51, v50 row_shr:2 row_mask:0xf bank_mask:0xf
	v_cndmask_b32_e64 v51, 0, v51, s[24:25]
	v_add_u32_e32 v50, v50, v51
	ds_write_b32 v49, v50
.LBB133_31:                             ;   in Loop: Header=BB133_19 Depth=1
	s_or_b64 exec, exec, s[26:27]
	v_mov_b32_e32 v49, 0
	s_waitcnt lgkmcnt(0)
	s_barrier
	s_and_saveexec_b64 s[26:27], s[16:17]
	s_cbranch_execz .LBB133_33
; %bb.32:                               ;   in Loop: Header=BB133_19 Depth=1
	ds_read_b32 v49, v34
.LBB133_33:                             ;   in Loop: Header=BB133_19 Depth=1
	s_or_b64 exec, exec, s[26:27]
	s_waitcnt lgkmcnt(0)
	v_add_u32_e32 v3, v49, v3
	ds_bpermute_b32 v3, v32, v3
	s_add_i32 s36, s36, 8
	s_cmp_ge_u32 s36, s40
	s_waitcnt lgkmcnt(0)
	v_cndmask_b32_e64 v3, v3, v49, s[18:19]
	v_cndmask_b32_e64 v50, v3, 0, s[20:21]
	v_add_u32_e32 v51, v50, v0
	v_add_u32_e32 v0, v51, v1
	;; [unrolled: 1-line block ×3, first 2 shown]
	ds_write2_b64 v29, v[50:51], v[0:1] offset0:2 offset1:3
	s_waitcnt lgkmcnt(0)
	s_barrier
	ds_read_b32 v0, v20
	ds_read_b32 v1, v23
	;; [unrolled: 1-line block ×4, first 2 shown]
	s_waitcnt lgkmcnt(0)
	v_add_u32_e32 v49, v0, v21
	v_add3_u32 v48, v24, v22, v1
	v_add3_u32 v1, v27, v25, v2
	;; [unrolled: 1-line block ×3, first 2 shown]
	v_lshlrev_b32_e32 v53, 2, v49
	v_lshlrev_b32_e32 v52, 2, v48
	;; [unrolled: 1-line block ×4, first 2 shown]
	s_cbranch_scc0 .LBB133_18
; %bb.34:
                                        ; implicit-def: $vgpr47
                                        ; implicit-def: $vgpr19
                                        ; implicit-def: $vgpr3
                                        ; implicit-def: $vgpr2
                                        ; implicit-def: $sgpr36
                                        ; implicit-def: $vgpr20_vgpr21
                                        ; implicit-def: $vgpr22_vgpr23
                                        ; implicit-def: $vgpr24_vgpr25
                                        ; implicit-def: $vgpr26_vgpr27
.LBB133_35:
	s_barrier
	ds_write_b32 v53, v46
	ds_write_b32 v52, v45
	;; [unrolled: 1-line block ×4, first 2 shown]
	s_waitcnt lgkmcnt(0)
	s_barrier
	v_add_u32_e32 v2, v29, v31
	ds_read2st64_b32 v[18:19], v9 offset0:4 offset1:8
	ds_read_b32 v20, v2
	ds_read_b32 v21, v9 offset:3072
	v_lshl_add_u32 v2, v49, 2, v53
	s_waitcnt lgkmcnt(0)
	s_barrier
	ds_write_b64 v2, v[16:17]
	v_lshl_add_u32 v2, v48, 2, v52
	v_lshl_add_u32 v1, v1, 2, v51
	v_lshl_add_u32 v0, v0, 2, v50
	ds_write_b64 v2, v[14:15]
	ds_write_b64 v1, v[12:13]
	;; [unrolled: 1-line block ×3, first 2 shown]
	v_bfrev_b32_e32 v10, 1
	v_cmp_lt_i32_e32 vcc, -1, v20
	v_cndmask_b32_e64 v11, v10, -1, vcc
	v_cmp_lt_i32_e32 vcc, -1, v18
	v_add_u32_e32 v0, v9, v9
	v_xor_b32_e32 v16, v11, v20
	v_cndmask_b32_e64 v11, v10, -1, vcc
	v_cmp_lt_i32_e32 vcc, -1, v19
	s_waitcnt lgkmcnt(0)
	s_barrier
	ds_read2st64_b64 v[4:7], v0 offset1:4
	ds_read2st64_b64 v[0:3], v0 offset0:8 offset1:12
	v_xor_b32_e32 v15, v11, v18
	v_cndmask_b32_e64 v11, v10, -1, vcc
	v_cmp_lt_i32_e32 vcc, -1, v21
	s_add_u32 s0, s38, s34
	v_cndmask_b32_e64 v10, v10, -1, vcc
	s_addc_u32 s1, s39, s35
	v_xor_b32_e32 v14, v11, v19
	v_xor_b32_e32 v13, v10, v21
	v_mov_b32_e32 v11, s1
	v_add_co_u32_e32 v10, vcc, s0, v9
	v_addc_co_u32_e32 v11, vcc, 0, v11, vcc
	s_andn2_b64 vcc, exec, s[30:31]
	v_lshlrev_b32_e32 v12, 3, v8
	s_cbranch_vccnz .LBB133_37
; %bb.36:
	s_lshl_b64 s[0:1], s[28:29], 3
	s_add_u32 s0, s42, s0
	s_addc_u32 s1, s43, s1
	v_mov_b32_e32 v9, s1
	v_add_co_u32_e32 v17, vcc, s0, v12
	v_addc_co_u32_e32 v9, vcc, 0, v9, vcc
	v_add_co_u32_e32 v18, vcc, 0x1000, v17
	global_store_dword v[10:11], v16, off
	global_store_dword v[10:11], v15, off offset:1024
	global_store_dword v[10:11], v14, off offset:2048
	;; [unrolled: 1-line block ×3, first 2 shown]
	s_waitcnt lgkmcnt(1)
	global_store_dwordx2 v12, v[4:5], s[0:1]
	global_store_dwordx2 v12, v[6:7], s[0:1] offset:2048
	v_addc_co_u32_e32 v19, vcc, 0, v9, vcc
	s_mov_b64 s[6:7], -1
	s_waitcnt lgkmcnt(0)
	global_store_dwordx2 v[18:19], v[0:1], off
	s_cbranch_execz .LBB133_38
	s_branch .LBB133_51
.LBB133_37:
	s_mov_b64 s[6:7], 0
.LBB133_38:
	v_cmp_gt_u32_e32 vcc, s33, v8
	s_and_saveexec_b64 s[0:1], vcc
	s_cbranch_execz .LBB133_40
; %bb.39:
	global_store_dword v[10:11], v16, off
.LBB133_40:
	s_or_b64 exec, exec, s[0:1]
	v_add_u32_e32 v9, 0x100, v8
	v_cmp_gt_u32_e64 s[0:1], s33, v9
	s_and_saveexec_b64 s[2:3], s[0:1]
	s_cbranch_execz .LBB133_42
; %bb.41:
	global_store_dword v[10:11], v15, off offset:1024
.LBB133_42:
	s_or_b64 exec, exec, s[2:3]
	v_add_u32_e32 v9, 0x200, v8
	v_cmp_gt_u32_e64 s[2:3], s33, v9
	s_and_saveexec_b64 s[4:5], s[2:3]
	s_cbranch_execz .LBB133_44
; %bb.43:
	global_store_dword v[10:11], v14, off offset:2048
.LBB133_44:
	;; [unrolled: 8-line block ×3, first 2 shown]
	s_or_b64 exec, exec, s[4:5]
	s_lshl_b64 s[4:5], s[28:29], 3
	s_add_u32 s4, s42, s4
	s_addc_u32 s5, s43, s5
	v_mov_b32_e32 v9, s5
	v_add_co_u32_e64 v8, s[4:5], s4, v12
	v_addc_co_u32_e64 v9, s[4:5], 0, v9, s[4:5]
	s_and_saveexec_b64 s[4:5], vcc
	s_cbranch_execnz .LBB133_57
; %bb.47:
	s_or_b64 exec, exec, s[4:5]
	s_and_saveexec_b64 s[4:5], s[0:1]
	s_cbranch_execnz .LBB133_58
.LBB133_48:
	s_or_b64 exec, exec, s[4:5]
	s_and_saveexec_b64 s[0:1], s[2:3]
	s_cbranch_execz .LBB133_50
.LBB133_49:
	s_waitcnt lgkmcnt(1)
	v_add_co_u32_e32 v4, vcc, 0x1000, v8
	v_addc_co_u32_e32 v5, vcc, 0, v9, vcc
	s_waitcnt lgkmcnt(0)
	global_store_dwordx2 v[4:5], v[0:1], off
.LBB133_50:
	s_or_b64 exec, exec, s[0:1]
.LBB133_51:
	s_and_saveexec_b64 s[0:1], s[6:7]
	s_cbranch_execnz .LBB133_53
; %bb.52:
	s_endpgm
.LBB133_53:
	s_lshl_b64 s[0:1], s[28:29], 3
	s_add_u32 s0, s42, s0
	s_addc_u32 s1, s43, s1
	s_waitcnt lgkmcnt(0)
	v_mov_b32_e32 v0, s1
	v_add_co_u32_e32 v1, vcc, s0, v12
	v_addc_co_u32_e32 v4, vcc, 0, v0, vcc
	v_add_co_u32_e32 v0, vcc, 0x1000, v1
	v_addc_co_u32_e32 v1, vcc, 0, v4, vcc
	global_store_dwordx2 v[0:1], v[2:3], off offset:2048
	s_endpgm
.LBB133_54:
	global_load_dwordx2 v[20:21], v[6:7], off
	s_or_b64 exec, exec, s[8:9]
                                        ; implicit-def: $vgpr22_vgpr23
	s_and_saveexec_b64 s[8:9], s[0:1]
	s_cbranch_execz .LBB133_13
.LBB133_55:
	global_load_dwordx2 v[22:23], v[6:7], off offset:512
	s_or_b64 exec, exec, s[8:9]
                                        ; implicit-def: $vgpr24_vgpr25
	s_and_saveexec_b64 s[0:1], s[2:3]
	s_cbranch_execz .LBB133_14
.LBB133_56:
	global_load_dwordx2 v[24:25], v[6:7], off offset:1024
	s_or_b64 exec, exec, s[0:1]
                                        ; implicit-def: $vgpr26_vgpr27
	s_and_saveexec_b64 s[0:1], s[6:7]
	s_cbranch_execnz .LBB133_15
	s_branch .LBB133_16
.LBB133_57:
	s_waitcnt lgkmcnt(1)
	global_store_dwordx2 v[8:9], v[4:5], off
	s_or_b64 exec, exec, s[4:5]
	s_and_saveexec_b64 s[4:5], s[0:1]
	s_cbranch_execz .LBB133_48
.LBB133_58:
	s_waitcnt lgkmcnt(1)
	global_store_dwordx2 v[8:9], v[6:7], off offset:2048
	s_or_b64 exec, exec, s[4:5]
	s_and_saveexec_b64 s[0:1], s[2:3]
	s_cbranch_execnz .LBB133_49
	s_branch .LBB133_50
	.section	.rodata,"a",@progbits
	.p2align	6, 0x0
	.amdhsa_kernel _ZN7rocprim17ROCPRIM_304000_NS6detail28radix_sort_block_sort_kernelINS1_36wrapped_radix_sort_block_sort_configINS0_13kernel_configILj256ELj4ELj4294967295EEEfN2at4cuda3cub6detail10OpaqueTypeILi8EEEEELb0EPKfPfPKSB_PSB_NS0_19identity_decomposerEEEvT1_T2_T3_T4_jT5_jj
		.amdhsa_group_segment_fixed_size 8192
		.amdhsa_private_segment_fixed_size 0
		.amdhsa_kernarg_size 304
		.amdhsa_user_sgpr_count 6
		.amdhsa_user_sgpr_private_segment_buffer 1
		.amdhsa_user_sgpr_dispatch_ptr 0
		.amdhsa_user_sgpr_queue_ptr 0
		.amdhsa_user_sgpr_kernarg_segment_ptr 1
		.amdhsa_user_sgpr_dispatch_id 0
		.amdhsa_user_sgpr_flat_scratch_init 0
		.amdhsa_user_sgpr_kernarg_preload_length 0
		.amdhsa_user_sgpr_kernarg_preload_offset 0
		.amdhsa_user_sgpr_private_segment_size 0
		.amdhsa_uses_dynamic_stack 0
		.amdhsa_system_sgpr_private_segment_wavefront_offset 0
		.amdhsa_system_sgpr_workgroup_id_x 1
		.amdhsa_system_sgpr_workgroup_id_y 0
		.amdhsa_system_sgpr_workgroup_id_z 0
		.amdhsa_system_sgpr_workgroup_info 0
		.amdhsa_system_vgpr_workitem_id 2
		.amdhsa_next_free_vgpr 54
		.amdhsa_next_free_sgpr 48
		.amdhsa_accum_offset 56
		.amdhsa_reserve_vcc 1
		.amdhsa_reserve_flat_scratch 0
		.amdhsa_float_round_mode_32 0
		.amdhsa_float_round_mode_16_64 0
		.amdhsa_float_denorm_mode_32 3
		.amdhsa_float_denorm_mode_16_64 3
		.amdhsa_dx10_clamp 1
		.amdhsa_ieee_mode 1
		.amdhsa_fp16_overflow 0
		.amdhsa_tg_split 0
		.amdhsa_exception_fp_ieee_invalid_op 0
		.amdhsa_exception_fp_denorm_src 0
		.amdhsa_exception_fp_ieee_div_zero 0
		.amdhsa_exception_fp_ieee_overflow 0
		.amdhsa_exception_fp_ieee_underflow 0
		.amdhsa_exception_fp_ieee_inexact 0
		.amdhsa_exception_int_div_zero 0
	.end_amdhsa_kernel
	.section	.text._ZN7rocprim17ROCPRIM_304000_NS6detail28radix_sort_block_sort_kernelINS1_36wrapped_radix_sort_block_sort_configINS0_13kernel_configILj256ELj4ELj4294967295EEEfN2at4cuda3cub6detail10OpaqueTypeILi8EEEEELb0EPKfPfPKSB_PSB_NS0_19identity_decomposerEEEvT1_T2_T3_T4_jT5_jj,"axG",@progbits,_ZN7rocprim17ROCPRIM_304000_NS6detail28radix_sort_block_sort_kernelINS1_36wrapped_radix_sort_block_sort_configINS0_13kernel_configILj256ELj4ELj4294967295EEEfN2at4cuda3cub6detail10OpaqueTypeILi8EEEEELb0EPKfPfPKSB_PSB_NS0_19identity_decomposerEEEvT1_T2_T3_T4_jT5_jj,comdat
.Lfunc_end133:
	.size	_ZN7rocprim17ROCPRIM_304000_NS6detail28radix_sort_block_sort_kernelINS1_36wrapped_radix_sort_block_sort_configINS0_13kernel_configILj256ELj4ELj4294967295EEEfN2at4cuda3cub6detail10OpaqueTypeILi8EEEEELb0EPKfPfPKSB_PSB_NS0_19identity_decomposerEEEvT1_T2_T3_T4_jT5_jj, .Lfunc_end133-_ZN7rocprim17ROCPRIM_304000_NS6detail28radix_sort_block_sort_kernelINS1_36wrapped_radix_sort_block_sort_configINS0_13kernel_configILj256ELj4ELj4294967295EEEfN2at4cuda3cub6detail10OpaqueTypeILi8EEEEELb0EPKfPfPKSB_PSB_NS0_19identity_decomposerEEEvT1_T2_T3_T4_jT5_jj
                                        ; -- End function
	.section	.AMDGPU.csdata,"",@progbits
; Kernel info:
; codeLenInByte = 3980
; NumSgprs: 52
; NumVgprs: 54
; NumAgprs: 0
; TotalNumVgprs: 54
; ScratchSize: 0
; MemoryBound: 0
; FloatMode: 240
; IeeeMode: 1
; LDSByteSize: 8192 bytes/workgroup (compile time only)
; SGPRBlocks: 6
; VGPRBlocks: 6
; NumSGPRsForWavesPerEU: 52
; NumVGPRsForWavesPerEU: 54
; AccumOffset: 56
; Occupancy: 8
; WaveLimiterHint : 1
; COMPUTE_PGM_RSRC2:SCRATCH_EN: 0
; COMPUTE_PGM_RSRC2:USER_SGPR: 6
; COMPUTE_PGM_RSRC2:TRAP_HANDLER: 0
; COMPUTE_PGM_RSRC2:TGID_X_EN: 1
; COMPUTE_PGM_RSRC2:TGID_Y_EN: 0
; COMPUTE_PGM_RSRC2:TGID_Z_EN: 0
; COMPUTE_PGM_RSRC2:TIDIG_COMP_CNT: 2
; COMPUTE_PGM_RSRC3_GFX90A:ACCUM_OFFSET: 13
; COMPUTE_PGM_RSRC3_GFX90A:TG_SPLIT: 0
	.section	.text._ZN7rocprim17ROCPRIM_304000_NS6detail45device_block_merge_mergepath_partition_kernelINS1_37wrapped_merge_sort_block_merge_configINS0_14default_configEfN2at4cuda3cub6detail10OpaqueTypeILi8EEEEEPfjNS1_19radix_merge_compareILb0ELb0EfNS0_19identity_decomposerEEEEEvT0_T1_jPSH_T2_SH_,"axG",@progbits,_ZN7rocprim17ROCPRIM_304000_NS6detail45device_block_merge_mergepath_partition_kernelINS1_37wrapped_merge_sort_block_merge_configINS0_14default_configEfN2at4cuda3cub6detail10OpaqueTypeILi8EEEEEPfjNS1_19radix_merge_compareILb0ELb0EfNS0_19identity_decomposerEEEEEvT0_T1_jPSH_T2_SH_,comdat
	.protected	_ZN7rocprim17ROCPRIM_304000_NS6detail45device_block_merge_mergepath_partition_kernelINS1_37wrapped_merge_sort_block_merge_configINS0_14default_configEfN2at4cuda3cub6detail10OpaqueTypeILi8EEEEEPfjNS1_19radix_merge_compareILb0ELb0EfNS0_19identity_decomposerEEEEEvT0_T1_jPSH_T2_SH_ ; -- Begin function _ZN7rocprim17ROCPRIM_304000_NS6detail45device_block_merge_mergepath_partition_kernelINS1_37wrapped_merge_sort_block_merge_configINS0_14default_configEfN2at4cuda3cub6detail10OpaqueTypeILi8EEEEEPfjNS1_19radix_merge_compareILb0ELb0EfNS0_19identity_decomposerEEEEEvT0_T1_jPSH_T2_SH_
	.globl	_ZN7rocprim17ROCPRIM_304000_NS6detail45device_block_merge_mergepath_partition_kernelINS1_37wrapped_merge_sort_block_merge_configINS0_14default_configEfN2at4cuda3cub6detail10OpaqueTypeILi8EEEEEPfjNS1_19radix_merge_compareILb0ELb0EfNS0_19identity_decomposerEEEEEvT0_T1_jPSH_T2_SH_
	.p2align	8
	.type	_ZN7rocprim17ROCPRIM_304000_NS6detail45device_block_merge_mergepath_partition_kernelINS1_37wrapped_merge_sort_block_merge_configINS0_14default_configEfN2at4cuda3cub6detail10OpaqueTypeILi8EEEEEPfjNS1_19radix_merge_compareILb0ELb0EfNS0_19identity_decomposerEEEEEvT0_T1_jPSH_T2_SH_,@function
_ZN7rocprim17ROCPRIM_304000_NS6detail45device_block_merge_mergepath_partition_kernelINS1_37wrapped_merge_sort_block_merge_configINS0_14default_configEfN2at4cuda3cub6detail10OpaqueTypeILi8EEEEEPfjNS1_19radix_merge_compareILb0ELb0EfNS0_19identity_decomposerEEEEEvT0_T1_jPSH_T2_SH_: ; @_ZN7rocprim17ROCPRIM_304000_NS6detail45device_block_merge_mergepath_partition_kernelINS1_37wrapped_merge_sort_block_merge_configINS0_14default_configEfN2at4cuda3cub6detail10OpaqueTypeILi8EEEEEPfjNS1_19radix_merge_compareILb0ELb0EfNS0_19identity_decomposerEEEEEvT0_T1_jPSH_T2_SH_
; %bb.0:
	s_load_dwordx2 s[0:1], s[4:5], 0x8
	v_lshl_or_b32 v0, s6, 7, v0
	s_waitcnt lgkmcnt(0)
	v_cmp_gt_u32_e32 vcc, s1, v0
	s_and_saveexec_b64 s[2:3], vcc
	s_cbranch_execz .LBB134_6
; %bb.1:
	s_load_dword s1, s[4:5], 0x1c
	s_waitcnt lgkmcnt(0)
	s_lshr_b32 s2, s1, 9
	s_and_b32 s2, s2, 0x7ffffe
	s_add_i32 s3, s2, -1
	s_sub_i32 s2, 0, s2
	v_and_b32_e32 v1, s2, v0
	v_and_b32_e32 v2, s3, v0
	v_lshlrev_b32_e32 v1, 10, v1
	v_lshlrev_b32_e32 v3, 10, v2
	v_min_u32_e32 v2, s0, v1
	v_add_u32_e32 v1, s1, v1
	v_min_u32_e32 v4, s0, v1
	v_add_u32_e32 v1, s1, v4
	v_min_u32_e32 v1, s0, v1
	v_sub_u32_e32 v5, v1, v2
	v_min_u32_e32 v6, v5, v3
	v_sub_u32_e32 v3, v4, v2
	v_sub_u32_e32 v1, v1, v4
	v_sub_u32_e64 v1, v6, v1 clamp
	v_min_u32_e32 v7, v6, v3
	v_cmp_lt_u32_e32 vcc, v1, v7
	s_and_saveexec_b64 s[0:1], vcc
	s_cbranch_execz .LBB134_5
; %bb.2:
	s_load_dwordx2 s[2:3], s[4:5], 0x0
	v_mov_b32_e32 v5, 0
	v_mov_b32_e32 v3, v5
	v_lshlrev_b64 v[8:9], 2, v[2:3]
	v_lshlrev_b64 v[10:11], 2, v[4:5]
	s_waitcnt lgkmcnt(0)
	v_mov_b32_e32 v12, s3
	v_add_co_u32_e32 v3, vcc, s2, v8
	v_addc_co_u32_e32 v8, vcc, v12, v9, vcc
	v_add_co_u32_e32 v9, vcc, s2, v10
	v_addc_co_u32_e32 v10, vcc, v12, v11, vcc
	s_mov_b64 s[2:3], 0
	s_brev_b32 s6, 1
	v_bfrev_b32_e32 v11, 1
.LBB134_3:                              ; =>This Inner Loop Header: Depth=1
	v_add_u32_e32 v4, v7, v1
	v_lshrrev_b32_e32 v4, 1, v4
	v_lshlrev_b64 v[14:15], 2, v[4:5]
	v_mov_b32_e32 v13, v5
	v_xad_u32 v12, v4, -1, v6
	v_add_co_u32_e32 v14, vcc, v3, v14
	v_addc_co_u32_e32 v15, vcc, v8, v15, vcc
	v_lshlrev_b64 v[12:13], 2, v[12:13]
	v_add_co_u32_e32 v12, vcc, v9, v12
	global_load_dword v14, v[14:15], off
	v_addc_co_u32_e32 v13, vcc, v10, v13, vcc
	global_load_dword v12, v[12:13], off
	v_add_u32_e32 v13, 1, v4
	s_waitcnt vmcnt(1)
	v_cmp_ne_u32_e32 vcc, s6, v14
	v_cndmask_b32_e32 v14, 0, v14, vcc
	s_waitcnt vmcnt(0)
	v_cmp_ne_u32_e32 vcc, s6, v12
	v_cndmask_b32_e32 v12, 0, v12, vcc
	v_cmp_lt_i32_e32 vcc, -1, v14
	v_cndmask_b32_e32 v15, -1, v11, vcc
	v_cmp_lt_i32_e32 vcc, -1, v12
	v_xor_b32_e32 v14, v15, v14
	v_cndmask_b32_e32 v15, -1, v11, vcc
	v_xor_b32_e32 v12, v15, v12
	v_cmp_gt_u32_e32 vcc, v14, v12
	v_cndmask_b32_e32 v7, v7, v4, vcc
	v_cndmask_b32_e32 v1, v13, v1, vcc
	v_cmp_ge_u32_e32 vcc, v1, v7
	s_or_b64 s[2:3], vcc, s[2:3]
	s_andn2_b64 exec, exec, s[2:3]
	s_cbranch_execnz .LBB134_3
; %bb.4:
	s_or_b64 exec, exec, s[2:3]
.LBB134_5:
	s_or_b64 exec, exec, s[0:1]
	s_load_dwordx2 s[0:1], s[4:5], 0x10
	v_add_u32_e32 v2, v1, v2
	v_mov_b32_e32 v1, 0
	v_lshlrev_b64 v[0:1], 2, v[0:1]
	s_waitcnt lgkmcnt(0)
	v_mov_b32_e32 v3, s1
	v_add_co_u32_e32 v0, vcc, s0, v0
	v_addc_co_u32_e32 v1, vcc, v3, v1, vcc
	global_store_dword v[0:1], v2, off
.LBB134_6:
	s_endpgm
	.section	.rodata,"a",@progbits
	.p2align	6, 0x0
	.amdhsa_kernel _ZN7rocprim17ROCPRIM_304000_NS6detail45device_block_merge_mergepath_partition_kernelINS1_37wrapped_merge_sort_block_merge_configINS0_14default_configEfN2at4cuda3cub6detail10OpaqueTypeILi8EEEEEPfjNS1_19radix_merge_compareILb0ELb0EfNS0_19identity_decomposerEEEEEvT0_T1_jPSH_T2_SH_
		.amdhsa_group_segment_fixed_size 0
		.amdhsa_private_segment_fixed_size 0
		.amdhsa_kernarg_size 32
		.amdhsa_user_sgpr_count 6
		.amdhsa_user_sgpr_private_segment_buffer 1
		.amdhsa_user_sgpr_dispatch_ptr 0
		.amdhsa_user_sgpr_queue_ptr 0
		.amdhsa_user_sgpr_kernarg_segment_ptr 1
		.amdhsa_user_sgpr_dispatch_id 0
		.amdhsa_user_sgpr_flat_scratch_init 0
		.amdhsa_user_sgpr_kernarg_preload_length 0
		.amdhsa_user_sgpr_kernarg_preload_offset 0
		.amdhsa_user_sgpr_private_segment_size 0
		.amdhsa_uses_dynamic_stack 0
		.amdhsa_system_sgpr_private_segment_wavefront_offset 0
		.amdhsa_system_sgpr_workgroup_id_x 1
		.amdhsa_system_sgpr_workgroup_id_y 0
		.amdhsa_system_sgpr_workgroup_id_z 0
		.amdhsa_system_sgpr_workgroup_info 0
		.amdhsa_system_vgpr_workitem_id 0
		.amdhsa_next_free_vgpr 16
		.amdhsa_next_free_sgpr 7
		.amdhsa_accum_offset 16
		.amdhsa_reserve_vcc 1
		.amdhsa_reserve_flat_scratch 0
		.amdhsa_float_round_mode_32 0
		.amdhsa_float_round_mode_16_64 0
		.amdhsa_float_denorm_mode_32 3
		.amdhsa_float_denorm_mode_16_64 3
		.amdhsa_dx10_clamp 1
		.amdhsa_ieee_mode 1
		.amdhsa_fp16_overflow 0
		.amdhsa_tg_split 0
		.amdhsa_exception_fp_ieee_invalid_op 0
		.amdhsa_exception_fp_denorm_src 0
		.amdhsa_exception_fp_ieee_div_zero 0
		.amdhsa_exception_fp_ieee_overflow 0
		.amdhsa_exception_fp_ieee_underflow 0
		.amdhsa_exception_fp_ieee_inexact 0
		.amdhsa_exception_int_div_zero 0
	.end_amdhsa_kernel
	.section	.text._ZN7rocprim17ROCPRIM_304000_NS6detail45device_block_merge_mergepath_partition_kernelINS1_37wrapped_merge_sort_block_merge_configINS0_14default_configEfN2at4cuda3cub6detail10OpaqueTypeILi8EEEEEPfjNS1_19radix_merge_compareILb0ELb0EfNS0_19identity_decomposerEEEEEvT0_T1_jPSH_T2_SH_,"axG",@progbits,_ZN7rocprim17ROCPRIM_304000_NS6detail45device_block_merge_mergepath_partition_kernelINS1_37wrapped_merge_sort_block_merge_configINS0_14default_configEfN2at4cuda3cub6detail10OpaqueTypeILi8EEEEEPfjNS1_19radix_merge_compareILb0ELb0EfNS0_19identity_decomposerEEEEEvT0_T1_jPSH_T2_SH_,comdat
.Lfunc_end134:
	.size	_ZN7rocprim17ROCPRIM_304000_NS6detail45device_block_merge_mergepath_partition_kernelINS1_37wrapped_merge_sort_block_merge_configINS0_14default_configEfN2at4cuda3cub6detail10OpaqueTypeILi8EEEEEPfjNS1_19radix_merge_compareILb0ELb0EfNS0_19identity_decomposerEEEEEvT0_T1_jPSH_T2_SH_, .Lfunc_end134-_ZN7rocprim17ROCPRIM_304000_NS6detail45device_block_merge_mergepath_partition_kernelINS1_37wrapped_merge_sort_block_merge_configINS0_14default_configEfN2at4cuda3cub6detail10OpaqueTypeILi8EEEEEPfjNS1_19radix_merge_compareILb0ELb0EfNS0_19identity_decomposerEEEEEvT0_T1_jPSH_T2_SH_
                                        ; -- End function
	.section	.AMDGPU.csdata,"",@progbits
; Kernel info:
; codeLenInByte = 416
; NumSgprs: 11
; NumVgprs: 16
; NumAgprs: 0
; TotalNumVgprs: 16
; ScratchSize: 0
; MemoryBound: 0
; FloatMode: 240
; IeeeMode: 1
; LDSByteSize: 0 bytes/workgroup (compile time only)
; SGPRBlocks: 1
; VGPRBlocks: 1
; NumSGPRsForWavesPerEU: 11
; NumVGPRsForWavesPerEU: 16
; AccumOffset: 16
; Occupancy: 8
; WaveLimiterHint : 0
; COMPUTE_PGM_RSRC2:SCRATCH_EN: 0
; COMPUTE_PGM_RSRC2:USER_SGPR: 6
; COMPUTE_PGM_RSRC2:TRAP_HANDLER: 0
; COMPUTE_PGM_RSRC2:TGID_X_EN: 1
; COMPUTE_PGM_RSRC2:TGID_Y_EN: 0
; COMPUTE_PGM_RSRC2:TGID_Z_EN: 0
; COMPUTE_PGM_RSRC2:TIDIG_COMP_CNT: 0
; COMPUTE_PGM_RSRC3_GFX90A:ACCUM_OFFSET: 3
; COMPUTE_PGM_RSRC3_GFX90A:TG_SPLIT: 0
	.section	.text._ZN7rocprim17ROCPRIM_304000_NS6detail35device_block_merge_mergepath_kernelINS1_37wrapped_merge_sort_block_merge_configINS0_14default_configEfN2at4cuda3cub6detail10OpaqueTypeILi8EEEEEPfSC_PSA_SD_jNS1_19radix_merge_compareILb0ELb0EfNS0_19identity_decomposerEEEEEvT0_T1_T2_T3_T4_SL_jT5_PKSL_NS1_7vsmem_tE,"axG",@progbits,_ZN7rocprim17ROCPRIM_304000_NS6detail35device_block_merge_mergepath_kernelINS1_37wrapped_merge_sort_block_merge_configINS0_14default_configEfN2at4cuda3cub6detail10OpaqueTypeILi8EEEEEPfSC_PSA_SD_jNS1_19radix_merge_compareILb0ELb0EfNS0_19identity_decomposerEEEEEvT0_T1_T2_T3_T4_SL_jT5_PKSL_NS1_7vsmem_tE,comdat
	.protected	_ZN7rocprim17ROCPRIM_304000_NS6detail35device_block_merge_mergepath_kernelINS1_37wrapped_merge_sort_block_merge_configINS0_14default_configEfN2at4cuda3cub6detail10OpaqueTypeILi8EEEEEPfSC_PSA_SD_jNS1_19radix_merge_compareILb0ELb0EfNS0_19identity_decomposerEEEEEvT0_T1_T2_T3_T4_SL_jT5_PKSL_NS1_7vsmem_tE ; -- Begin function _ZN7rocprim17ROCPRIM_304000_NS6detail35device_block_merge_mergepath_kernelINS1_37wrapped_merge_sort_block_merge_configINS0_14default_configEfN2at4cuda3cub6detail10OpaqueTypeILi8EEEEEPfSC_PSA_SD_jNS1_19radix_merge_compareILb0ELb0EfNS0_19identity_decomposerEEEEEvT0_T1_T2_T3_T4_SL_jT5_PKSL_NS1_7vsmem_tE
	.globl	_ZN7rocprim17ROCPRIM_304000_NS6detail35device_block_merge_mergepath_kernelINS1_37wrapped_merge_sort_block_merge_configINS0_14default_configEfN2at4cuda3cub6detail10OpaqueTypeILi8EEEEEPfSC_PSA_SD_jNS1_19radix_merge_compareILb0ELb0EfNS0_19identity_decomposerEEEEEvT0_T1_T2_T3_T4_SL_jT5_PKSL_NS1_7vsmem_tE
	.p2align	8
	.type	_ZN7rocprim17ROCPRIM_304000_NS6detail35device_block_merge_mergepath_kernelINS1_37wrapped_merge_sort_block_merge_configINS0_14default_configEfN2at4cuda3cub6detail10OpaqueTypeILi8EEEEEPfSC_PSA_SD_jNS1_19radix_merge_compareILb0ELb0EfNS0_19identity_decomposerEEEEEvT0_T1_T2_T3_T4_SL_jT5_PKSL_NS1_7vsmem_tE,@function
_ZN7rocprim17ROCPRIM_304000_NS6detail35device_block_merge_mergepath_kernelINS1_37wrapped_merge_sort_block_merge_configINS0_14default_configEfN2at4cuda3cub6detail10OpaqueTypeILi8EEEEEPfSC_PSA_SD_jNS1_19radix_merge_compareILb0ELb0EfNS0_19identity_decomposerEEEEEvT0_T1_T2_T3_T4_SL_jT5_PKSL_NS1_7vsmem_tE: ; @_ZN7rocprim17ROCPRIM_304000_NS6detail35device_block_merge_mergepath_kernelINS1_37wrapped_merge_sort_block_merge_configINS0_14default_configEfN2at4cuda3cub6detail10OpaqueTypeILi8EEEEEPfSC_PSA_SD_jNS1_19radix_merge_compareILb0ELb0EfNS0_19identity_decomposerEEEEEvT0_T1_T2_T3_T4_SL_jT5_PKSL_NS1_7vsmem_tE
; %bb.0:
	s_load_dwordx2 s[26:27], s[4:5], 0x40
	s_load_dwordx4 s[16:19], s[4:5], 0x20
	s_add_u32 s2, s4, 64
	s_addc_u32 s3, s5, 0
	s_waitcnt lgkmcnt(0)
	s_mul_i32 s0, s27, s8
	s_add_i32 s0, s0, s7
	s_mul_i32 s0, s0, s26
	s_add_i32 s0, s0, s6
	s_cmp_ge_u32 s0, s18
	s_cbranch_scc1 .LBB135_83
; %bb.1:
	s_load_dwordx8 s[8:15], s[4:5], 0x0
	s_load_dwordx2 s[18:19], s[4:5], 0x30
	s_lshr_b32 s28, s16, 10
	s_cmp_lg_u32 s0, s28
	s_mov_b32 s1, 0
	s_cselect_b64 s[20:21], -1, 0
	s_lshl_b64 s[4:5], s[0:1], 2
	s_waitcnt lgkmcnt(0)
	s_add_u32 s4, s18, s4
	s_addc_u32 s5, s19, s5
	s_load_dwordx2 s[22:23], s[4:5], 0x0
	s_lshr_b32 s4, s17, 9
	s_and_b32 s4, s4, 0x7ffffe
	s_sub_i32 s4, 0, s4
	s_and_b32 s5, s0, s4
	s_lshl_b32 s7, s5, 10
	s_lshl_b32 s18, s0, 10
	;; [unrolled: 1-line block ×3, first 2 shown]
	s_sub_i32 s19, s18, s7
	s_add_i32 s5, s5, s17
	s_add_i32 s19, s5, s19
	s_waitcnt lgkmcnt(0)
	s_sub_i32 s24, s19, s22
	s_sub_i32 s19, s19, s23
	;; [unrolled: 1-line block ×3, first 2 shown]
	s_min_u32 s24, s16, s24
	s_addk_i32 s19, 0x400
	s_or_b32 s4, s0, s4
	s_min_u32 s7, s16, s5
	s_add_i32 s5, s5, s17
	s_cmp_eq_u32 s4, -1
	s_cselect_b32 s4, s5, s19
	s_cselect_b32 s5, s7, s23
	s_min_u32 s4, s4, s16
	s_mov_b32 s23, s1
	s_sub_i32 s19, s5, s22
	s_sub_i32 s30, s4, s24
	s_lshl_b64 s[4:5], s[22:23], 2
	s_add_u32 s7, s8, s4
	s_mov_b32 s25, s1
	s_addc_u32 s27, s9, s5
	s_lshl_b64 s[4:5], s[24:25], 2
	s_add_u32 s4, s8, s4
	s_addc_u32 s5, s9, s5
	s_cmp_lt_u32 s6, s26
	v_mov_b32_e32 v11, 0
	s_cselect_b32 s1, 12, 18
	global_load_dword v1, v11, s[2:3] offset:14
	s_add_u32 s2, s2, s1
	s_addc_u32 s3, s3, 0
	global_load_ushort v2, v11, s[2:3]
	v_cmp_gt_u32_e32 vcc, s19, v0
	s_cmp_eq_u32 s0, s28
	s_waitcnt vmcnt(1)
	v_lshrrev_b32_e32 v3, 16, v1
	v_and_b32_e32 v1, 0xffff, v1
	v_mul_lo_u32 v1, v1, v3
	s_waitcnt vmcnt(0)
	v_mul_lo_u32 v12, v1, v2
	v_add_u32_e32 v8, v12, v0
	v_lshlrev_b32_e32 v1, 2, v0
	v_add_u32_e32 v6, v8, v12
	s_cbranch_scc1 .LBB135_3
; %bb.2:
	v_mov_b32_e32 v2, s27
	v_add_co_u32_e64 v4, s[0:1], s7, v1
	v_subrev_u32_e32 v10, s19, v0
	v_addc_co_u32_e64 v5, s[0:1], 0, v2, s[0:1]
	v_lshlrev_b64 v[2:3], 2, v[10:11]
	v_mov_b32_e32 v7, s5
	v_add_co_u32_e64 v2, s[0:1], s4, v2
	v_addc_co_u32_e64 v3, s[0:1], v7, v3, s[0:1]
	v_mov_b32_e32 v9, v11
	v_cndmask_b32_e32 v3, v3, v5, vcc
	v_cndmask_b32_e32 v2, v2, v4, vcc
	v_lshlrev_b64 v[4:5], 2, v[8:9]
	global_load_dword v2, v[2:3], off
	v_mov_b32_e32 v3, s27
	v_add_co_u32_e32 v7, vcc, s7, v4
	v_subrev_u32_e32 v10, s19, v8
	v_addc_co_u32_e32 v3, vcc, v3, v5, vcc
	v_lshlrev_b64 v[4:5], 2, v[10:11]
	v_mov_b32_e32 v9, s5
	v_add_co_u32_e32 v4, vcc, s4, v4
	v_addc_co_u32_e32 v5, vcc, v9, v5, vcc
	v_cmp_gt_u32_e32 vcc, s19, v8
	v_cndmask_b32_e32 v5, v5, v3, vcc
	v_cndmask_b32_e32 v4, v4, v7, vcc
	v_mov_b32_e32 v7, v11
	global_load_dword v3, v[4:5], off
	v_lshlrev_b64 v[4:5], 2, v[6:7]
	v_mov_b32_e32 v7, s27
	v_add_co_u32_e32 v9, vcc, s7, v4
	v_subrev_u32_e32 v10, s19, v6
	v_addc_co_u32_e32 v7, vcc, v7, v5, vcc
	v_lshlrev_b64 v[4:5], 2, v[10:11]
	v_mov_b32_e32 v10, s5
	v_add_co_u32_e32 v4, vcc, s4, v4
	v_addc_co_u32_e32 v5, vcc, v10, v5, vcc
	v_cmp_gt_u32_e32 vcc, s19, v6
	v_add_u32_e32 v10, v6, v12
	v_cndmask_b32_e32 v5, v5, v7, vcc
	v_cndmask_b32_e32 v4, v4, v9, vcc
	v_lshlrev_b64 v[14:15], 2, v[10:11]
	global_load_dword v4, v[4:5], off
	v_mov_b32_e32 v5, s27
	v_add_co_u32_e32 v7, vcc, s7, v14
	v_addc_co_u32_e32 v5, vcc, v5, v15, vcc
	v_cmp_gt_u32_e32 vcc, s19, v10
	v_subrev_u32_e32 v10, s19, v10
	v_lshlrev_b64 v[10:11], 2, v[10:11]
	v_mov_b32_e32 v9, s5
	v_add_co_u32_e64 v10, s[0:1], s4, v10
	v_addc_co_u32_e64 v9, s[0:1], v9, v11, s[0:1]
	v_cndmask_b32_e32 v11, v9, v5, vcc
	v_cndmask_b32_e32 v10, v10, v7, vcc
	global_load_dword v5, v[10:11], off
	s_add_i32 s17, s30, s19
	s_cbranch_execz .LBB135_4
	s_branch .LBB135_11
.LBB135_3:
                                        ; implicit-def: $vgpr2_vgpr3_vgpr4_vgpr5
                                        ; implicit-def: $sgpr17
.LBB135_4:
	s_add_i32 s17, s30, s19
	v_cmp_gt_u32_e32 vcc, s17, v0
                                        ; implicit-def: $vgpr2_vgpr3_vgpr4_vgpr5
	s_and_saveexec_b64 s[0:1], vcc
	s_cbranch_execnz .LBB135_84
; %bb.5:
	s_or_b64 exec, exec, s[0:1]
	v_cmp_gt_u32_e32 vcc, s17, v8
	s_and_saveexec_b64 s[2:3], vcc
	s_cbranch_execnz .LBB135_85
.LBB135_6:
	s_or_b64 exec, exec, s[2:3]
	v_cmp_gt_u32_e32 vcc, s17, v6
	s_and_saveexec_b64 s[0:1], vcc
	s_cbranch_execz .LBB135_8
.LBB135_7:
	v_mov_b32_e32 v7, 0
	v_lshlrev_b64 v[8:9], 2, v[6:7]
	s_waitcnt vmcnt(1)
	v_mov_b32_e32 v4, s27
	v_add_co_u32_e32 v10, vcc, s7, v8
	v_addc_co_u32_e32 v4, vcc, v4, v9, vcc
	v_subrev_u32_e32 v8, s19, v6
	v_mov_b32_e32 v9, v7
	v_lshlrev_b64 v[8:9], 2, v[8:9]
	v_mov_b32_e32 v7, s5
	v_add_co_u32_e32 v8, vcc, s4, v8
	v_addc_co_u32_e32 v7, vcc, v7, v9, vcc
	v_cmp_gt_u32_e32 vcc, s19, v6
	v_cndmask_b32_e32 v9, v7, v4, vcc
	v_cndmask_b32_e32 v8, v8, v10, vcc
	global_load_dword v4, v[8:9], off
.LBB135_8:
	s_or_b64 exec, exec, s[0:1]
	v_add_u32_e32 v6, v6, v12
	v_cmp_gt_u32_e32 vcc, s17, v6
	s_and_saveexec_b64 s[2:3], vcc
	s_cbranch_execz .LBB135_10
; %bb.9:
	v_mov_b32_e32 v7, 0
	v_lshlrev_b64 v[8:9], 2, v[6:7]
	s_waitcnt vmcnt(0)
	v_mov_b32_e32 v5, s27
	v_add_co_u32_e32 v8, vcc, s7, v8
	v_addc_co_u32_e32 v5, vcc, v5, v9, vcc
	v_cmp_gt_u32_e32 vcc, s19, v6
	v_subrev_u32_e32 v6, s19, v6
	v_lshlrev_b64 v[6:7], 2, v[6:7]
	v_mov_b32_e32 v9, s5
	v_add_co_u32_e64 v6, s[0:1], s4, v6
	v_addc_co_u32_e64 v7, s[0:1], v9, v7, s[0:1]
	v_cndmask_b32_e32 v7, v7, v5, vcc
	v_cndmask_b32_e32 v6, v6, v8, vcc
	global_load_dword v5, v[6:7], off
.LBB135_10:
	s_or_b64 exec, exec, s[2:3]
.LBB135_11:
	v_min_u32_e32 v7, s17, v1
	v_sub_u32_e64 v6, v7, s30 clamp
	v_min_u32_e32 v8, s19, v7
	v_cmp_lt_u32_e32 vcc, v6, v8
	s_waitcnt vmcnt(0)
	ds_write2st64_b32 v1, v2, v3 offset1:4
	ds_write2st64_b32 v1, v4, v5 offset0:8 offset1:12
	s_waitcnt lgkmcnt(0)
	s_barrier
	s_and_saveexec_b64 s[0:1], vcc
	s_cbranch_execz .LBB135_15
; %bb.12:
	v_lshlrev_b32_e32 v9, 2, v7
	v_lshl_add_u32 v9, s19, 2, v9
	s_mov_b64 s[2:3], 0
	s_brev_b32 s4, 1
	v_bfrev_b32_e32 v10, 1
.LBB135_13:                             ; =>This Inner Loop Header: Depth=1
	v_add_u32_e32 v11, v8, v6
	v_lshrrev_b32_e32 v11, 1, v11
	v_not_b32_e32 v12, v11
	v_lshlrev_b32_e32 v13, 2, v11
	ds_read_b32 v13, v13
	v_lshl_add_u32 v12, v12, 2, v9
	ds_read_b32 v12, v12
	v_add_u32_e32 v14, 1, v11
	s_waitcnt lgkmcnt(1)
	v_cmp_ne_u32_e32 vcc, s4, v13
	v_cndmask_b32_e32 v13, 0, v13, vcc
	s_waitcnt lgkmcnt(0)
	v_cmp_ne_u32_e32 vcc, s4, v12
	v_cndmask_b32_e32 v12, 0, v12, vcc
	v_cmp_lt_i32_e32 vcc, -1, v13
	v_cndmask_b32_e32 v15, -1, v10, vcc
	v_cmp_lt_i32_e32 vcc, -1, v12
	v_xor_b32_e32 v13, v15, v13
	v_cndmask_b32_e32 v15, -1, v10, vcc
	v_xor_b32_e32 v12, v15, v12
	v_cmp_gt_u32_e32 vcc, v13, v12
	v_cndmask_b32_e32 v8, v8, v11, vcc
	v_cndmask_b32_e32 v6, v14, v6, vcc
	v_cmp_ge_u32_e32 vcc, v6, v8
	s_or_b64 s[2:3], vcc, s[2:3]
	s_andn2_b64 exec, exec, s[2:3]
	s_cbranch_execnz .LBB135_13
; %bb.14:
	s_or_b64 exec, exec, s[2:3]
.LBB135_15:
	s_or_b64 exec, exec, s[0:1]
	v_sub_u32_e32 v7, v7, v6
	v_add_u32_e32 v7, s19, v7
	v_cmp_ge_u32_e32 vcc, s19, v6
	v_cmp_ge_u32_e64 s[0:1], s17, v7
	s_or_b64 s[0:1], vcc, s[0:1]
                                        ; implicit-def: $vgpr12
                                        ; implicit-def: $vgpr13
                                        ; implicit-def: $vgpr11
                                        ; implicit-def: $vgpr10
	s_and_saveexec_b64 s[2:3], s[0:1]
	s_cbranch_execz .LBB135_35
; %bb.16:
	v_cmp_le_u32_e32 vcc, s19, v6
	v_cmp_gt_u32_e64 s[0:1], s19, v6
                                        ; implicit-def: $vgpr2
	s_and_saveexec_b64 s[4:5], s[0:1]
	s_cbranch_execz .LBB135_18
; %bb.17:
	v_lshlrev_b32_e32 v2, 2, v6
	ds_read_b32 v2, v2
.LBB135_18:
	s_or_b64 exec, exec, s[4:5]
	v_cmp_le_u32_e64 s[4:5], s17, v7
	v_cmp_gt_u32_e64 s[0:1], s17, v7
                                        ; implicit-def: $vgpr3
	s_and_saveexec_b64 s[6:7], s[0:1]
	s_cbranch_execz .LBB135_20
; %bb.19:
	v_lshlrev_b32_e32 v3, 2, v7
	ds_read_b32 v3, v3
.LBB135_20:
	s_or_b64 exec, exec, s[6:7]
	s_or_b64 s[6:7], vcc, s[4:5]
	s_mov_b64 s[0:1], -1
	s_xor_b64 s[8:9], s[6:7], -1
	s_and_saveexec_b64 s[6:7], s[8:9]
	s_cbranch_execz .LBB135_22
; %bb.21:
	s_brev_b32 s8, 1
	s_waitcnt lgkmcnt(0)
	v_cmp_ne_u32_e32 vcc, s8, v2
	v_cndmask_b32_e32 v4, 0, v2, vcc
	v_cmp_ne_u32_e32 vcc, s8, v3
	v_cndmask_b32_e32 v5, 0, v3, vcc
	v_bfrev_b32_e32 v8, 1
	v_cmp_lt_i32_e32 vcc, -1, v4
	v_cndmask_b32_e32 v9, -1, v8, vcc
	v_cmp_lt_i32_e32 vcc, -1, v5
	v_cndmask_b32_e32 v8, -1, v8, vcc
	v_xor_b32_e32 v5, v8, v5
	v_xor_b32_e32 v4, v9, v4
	v_cmp_le_u32_e32 vcc, v4, v5
	s_andn2_b64 s[4:5], s[4:5], exec
	s_and_b64 s[8:9], vcc, exec
	s_or_b64 s[4:5], s[4:5], s[8:9]
.LBB135_22:
	s_or_b64 exec, exec, s[6:7]
	v_mov_b32_e32 v4, s17
	v_mov_b32_e32 v5, s19
	v_cndmask_b32_e64 v10, v7, v6, s[4:5]
	v_cndmask_b32_e64 v4, v4, v5, s[4:5]
	v_add_u32_e32 v9, 1, v10
	v_add_u32_e32 v4, -1, v4
	v_min_u32_e32 v4, v9, v4
	v_lshlrev_b32_e32 v4, 2, v4
	ds_read_b32 v5, v4
	v_cndmask_b32_e64 v8, v9, v7, s[4:5]
	v_cndmask_b32_e64 v9, v6, v9, s[4:5]
	v_cmp_gt_u32_e32 vcc, s17, v8
	s_waitcnt lgkmcnt(0)
	v_cndmask_b32_e64 v4, v5, v3, s[4:5]
	v_cndmask_b32_e64 v5, v2, v5, s[4:5]
	s_and_saveexec_b64 s[6:7], vcc
	s_cbranch_execz .LBB135_26
; %bb.23:
	v_cmp_gt_u32_e32 vcc, s19, v9
	s_mov_b64 s[8:9], 0
	s_and_saveexec_b64 s[0:1], vcc
	s_cbranch_execz .LBB135_25
; %bb.24:
	s_brev_b32 s8, 1
	v_cmp_ne_u32_e32 vcc, s8, v5
	v_cndmask_b32_e32 v6, 0, v5, vcc
	v_cmp_ne_u32_e32 vcc, s8, v4
	v_cndmask_b32_e32 v7, 0, v4, vcc
	v_bfrev_b32_e32 v11, 1
	v_cmp_lt_i32_e32 vcc, -1, v6
	v_cndmask_b32_e32 v12, -1, v11, vcc
	v_cmp_lt_i32_e32 vcc, -1, v7
	v_cndmask_b32_e32 v11, -1, v11, vcc
	v_xor_b32_e32 v6, v12, v6
	v_xor_b32_e32 v7, v11, v7
	v_cmp_le_u32_e32 vcc, v6, v7
	s_and_b64 s[8:9], vcc, exec
.LBB135_25:
	s_or_b64 exec, exec, s[0:1]
	s_orn2_b64 s[0:1], s[8:9], exec
.LBB135_26:
	s_or_b64 exec, exec, s[6:7]
	v_mov_b32_e32 v6, s17
	v_mov_b32_e32 v7, s19
	v_cndmask_b32_e64 v11, v8, v9, s[0:1]
	v_cndmask_b32_e64 v6, v6, v7, s[0:1]
	v_add_u32_e32 v12, 1, v11
	v_add_u32_e32 v6, -1, v6
	v_min_u32_e32 v6, v12, v6
	v_lshlrev_b32_e32 v6, 2, v6
	ds_read_b32 v7, v6
	v_cndmask_b32_e64 v8, v12, v8, s[0:1]
	v_cndmask_b32_e64 v9, v9, v12, s[0:1]
	v_cmp_gt_u32_e32 vcc, s17, v8
	s_mov_b64 s[6:7], -1
	s_waitcnt lgkmcnt(0)
	v_cndmask_b32_e64 v6, v7, v4, s[0:1]
	v_cndmask_b32_e64 v7, v5, v7, s[0:1]
	s_mov_b64 s[8:9], -1
	s_and_saveexec_b64 s[26:27], vcc
	s_cbranch_execz .LBB135_30
; %bb.27:
	v_cmp_gt_u32_e32 vcc, s19, v9
	s_mov_b64 s[28:29], 0
	s_and_saveexec_b64 s[8:9], vcc
	s_cbranch_execz .LBB135_29
; %bb.28:
	s_brev_b32 s28, 1
	v_cmp_ne_u32_e32 vcc, s28, v7
	v_cndmask_b32_e32 v12, 0, v7, vcc
	v_cmp_ne_u32_e32 vcc, s28, v6
	v_cndmask_b32_e32 v13, 0, v6, vcc
	v_bfrev_b32_e32 v14, 1
	v_cmp_lt_i32_e32 vcc, -1, v12
	v_cndmask_b32_e32 v15, -1, v14, vcc
	v_cmp_lt_i32_e32 vcc, -1, v13
	v_cndmask_b32_e32 v14, -1, v14, vcc
	v_xor_b32_e32 v12, v15, v12
	v_xor_b32_e32 v13, v14, v13
	v_cmp_le_u32_e32 vcc, v12, v13
	s_and_b64 s[28:29], vcc, exec
.LBB135_29:
	s_or_b64 exec, exec, s[8:9]
	s_orn2_b64 s[8:9], s[28:29], exec
.LBB135_30:
	s_or_b64 exec, exec, s[26:27]
	v_mov_b32_e32 v12, s17
	v_mov_b32_e32 v14, s19
	v_cndmask_b32_e64 v13, v8, v9, s[8:9]
	v_cndmask_b32_e64 v12, v12, v14, s[8:9]
	v_add_u32_e32 v16, 1, v13
	v_add_u32_e32 v12, -1, v12
	v_min_u32_e32 v12, v16, v12
	v_lshlrev_b32_e32 v12, 2, v12
	ds_read_b32 v12, v12
	v_cndmask_b32_e64 v8, v16, v8, s[8:9]
	v_cndmask_b32_e64 v9, v9, v16, s[8:9]
	v_cmp_gt_u32_e32 vcc, s17, v8
	s_waitcnt lgkmcnt(0)
	v_cndmask_b32_e64 v14, v12, v6, s[8:9]
	v_cndmask_b32_e64 v15, v7, v12, s[8:9]
	s_and_saveexec_b64 s[26:27], vcc
	s_cbranch_execz .LBB135_34
; %bb.31:
	v_cmp_gt_u32_e32 vcc, s19, v9
	s_mov_b64 s[28:29], 0
	s_and_saveexec_b64 s[6:7], vcc
	s_cbranch_execz .LBB135_33
; %bb.32:
	s_brev_b32 s28, 1
	v_cmp_ne_u32_e32 vcc, s28, v15
	v_cndmask_b32_e32 v12, 0, v15, vcc
	v_cmp_ne_u32_e32 vcc, s28, v14
	v_cndmask_b32_e32 v16, 0, v14, vcc
	v_bfrev_b32_e32 v17, 1
	v_cmp_lt_i32_e32 vcc, -1, v12
	v_cndmask_b32_e32 v18, -1, v17, vcc
	v_cmp_lt_i32_e32 vcc, -1, v16
	v_cndmask_b32_e32 v17, -1, v17, vcc
	v_xor_b32_e32 v12, v18, v12
	v_xor_b32_e32 v16, v17, v16
	v_cmp_le_u32_e32 vcc, v12, v16
	s_and_b64 s[28:29], vcc, exec
.LBB135_33:
	s_or_b64 exec, exec, s[6:7]
	s_orn2_b64 s[6:7], s[28:29], exec
.LBB135_34:
	s_or_b64 exec, exec, s[26:27]
	v_cndmask_b32_e64 v2, v3, v2, s[4:5]
	v_cndmask_b32_e64 v3, v4, v5, s[0:1]
	;; [unrolled: 1-line block ×5, first 2 shown]
.LBB135_35:
	s_or_b64 exec, exec, s[2:3]
	s_lshl_b64 s[0:1], s[22:23], 3
	s_add_u32 s26, s12, s0
	s_addc_u32 s27, s13, s1
	s_lshl_b64 s[0:1], s[24:25], 3
	s_add_u32 s28, s12, s0
	v_cndmask_b32_e64 v6, 0, 1, s[20:21]
	s_addc_u32 s29, s13, s1
	v_cmp_gt_u32_e64 s[4:5], s19, v0
	v_cmp_ne_u32_e64 s[0:1], 1, v6
	s_andn2_b64 vcc, exec, s[20:21]
	v_cmp_le_u32_e64 s[2:3], s19, v0
	s_barrier
	s_cbranch_vccnz .LBB135_37
; %bb.36:
	v_subrev_u32_e32 v6, s19, v0
	v_mov_b32_e32 v7, 0
	v_lshlrev_b64 v[8:9], 3, v[6:7]
	v_mov_b32_e32 v6, s29
	v_add_co_u32_e32 v8, vcc, s28, v8
	v_addc_co_u32_e32 v6, vcc, v6, v9, vcc
	v_lshlrev_b32_e32 v20, 3, v0
	v_mov_b32_e32 v9, s27
	v_add_co_u32_e32 v21, vcc, s26, v20
	v_addc_co_u32_e32 v22, vcc, 0, v9, vcc
	v_cndmask_b32_e64 v9, v6, v22, s[4:5]
	v_cndmask_b32_e64 v8, v8, v21, s[4:5]
	v_or_b32_e32 v16, 0x100, v0
	s_movk_i32 s4, 0x800
	v_add_co_u32_e32 v17, vcc, s4, v21
	v_subrev_u32_e32 v6, s19, v16
	v_addc_co_u32_e32 v18, vcc, 0, v22, vcc
	v_lshlrev_b64 v[14:15], 3, v[6:7]
	v_mov_b32_e32 v6, s29
	v_add_co_u32_e32 v14, vcc, s28, v14
	v_addc_co_u32_e32 v6, vcc, v6, v15, vcc
	v_cmp_gt_u32_e32 vcc, s19, v16
	v_cndmask_b32_e32 v15, v6, v18, vcc
	v_or_b32_e32 v18, 0x200, v0
	s_movk_i32 s4, 0x1000
	v_cndmask_b32_e32 v14, v14, v17, vcc
	v_add_co_u32_e32 v19, vcc, s4, v21
	v_subrev_u32_e32 v6, s19, v18
	global_load_dwordx2 v[16:17], v[14:15], off
	v_addc_co_u32_e32 v23, vcc, 0, v22, vcc
	v_lshlrev_b64 v[14:15], 3, v[6:7]
	v_mov_b32_e32 v6, s29
	v_add_co_u32_e32 v14, vcc, s28, v14
	v_addc_co_u32_e32 v6, vcc, v6, v15, vcc
	v_cmp_gt_u32_e32 vcc, s19, v18
	global_load_dwordx2 v[8:9], v[8:9], off
	v_cndmask_b32_e32 v15, v6, v23, vcc
	v_cndmask_b32_e32 v14, v14, v19, vcc
	global_load_dwordx2 v[18:19], v[14:15], off
	v_or_b32_e32 v14, 0x300, v0
	s_movk_i32 s4, 0x1800
	v_add_co_u32_e32 v21, vcc, s4, v21
	v_subrev_u32_e32 v6, s19, v14
	v_addc_co_u32_e32 v22, vcc, 0, v22, vcc
	v_lshlrev_b64 v[6:7], 3, v[6:7]
	v_mov_b32_e32 v23, s29
	v_add_co_u32_e32 v6, vcc, s28, v6
	v_addc_co_u32_e32 v7, vcc, v23, v7, vcc
	v_cmp_gt_u32_e32 vcc, s19, v14
	v_or_b32_e32 v15, 0x1800, v20
	v_cndmask_b32_e32 v7, v7, v22, vcc
	v_cndmask_b32_e32 v6, v6, v21, vcc
	s_mov_b64 s[4:5], -1
	s_waitcnt vmcnt(1)
	ds_write2st64_b64 v20, v[8:9], v[16:17] offset1:4
	s_waitcnt vmcnt(0)
	ds_write_b64 v20, v[18:19] offset:4096
	s_cbranch_execz .LBB135_38
	s_branch .LBB135_57
.LBB135_37:
	s_mov_b64 s[4:5], 0
                                        ; implicit-def: $vgpr15
                                        ; implicit-def: $vgpr6_vgpr7
.LBB135_38:
	s_mov_b64 s[6:7], 0
                                        ; implicit-def: $vgpr6_vgpr7
	s_and_saveexec_b64 s[8:9], s[2:3]
	s_xor_b64 s[2:3], exec, s[8:9]
	s_cbranch_execnz .LBB135_86
; %bb.39:
	s_andn2_saveexec_b64 s[2:3], s[2:3]
	s_cbranch_execnz .LBB135_89
.LBB135_40:
	s_or_b64 exec, exec, s[2:3]
	v_add_u32_e32 v14, v1, v1
	s_and_saveexec_b64 s[2:3], s[6:7]
	s_cbranch_execz .LBB135_42
.LBB135_41:
	global_load_dwordx2 v[6:7], v[6:7], off
	s_waitcnt vmcnt(0)
	ds_write_b64 v14, v[6:7]
.LBB135_42:
	s_or_b64 exec, exec, s[2:3]
	v_or_b32_e32 v6, 0x100, v0
	v_cmp_le_u32_e32 vcc, s19, v6
	s_mov_b64 s[6:7], -1
	v_pk_mov_b32 v[8:9], s[22:23], s[22:23] op_sel:[0,1]
	s_and_saveexec_b64 s[2:3], vcc
; %bb.43:
	v_subrev_u32_e32 v6, s19, v6
	v_cmp_gt_u32_e32 vcc, s30, v6
	v_pk_mov_b32 v[8:9], s[24:25], s[24:25] op_sel:[0,1]
	s_orn2_b64 s[6:7], vcc, exec
; %bb.44:
	s_or_b64 exec, exec, s[2:3]
	s_and_saveexec_b64 s[2:3], s[6:7]
	s_cbranch_execz .LBB135_46
; %bb.45:
	v_lshlrev_b64 v[8:9], 3, v[8:9]
	v_mov_b32_e32 v7, s13
	v_add_co_u32_e32 v8, vcc, s12, v8
	v_addc_co_u32_e32 v9, vcc, v7, v9, vcc
	v_mov_b32_e32 v7, 0
	v_lshlrev_b64 v[6:7], 3, v[6:7]
	v_add_co_u32_e32 v6, vcc, v8, v6
	v_addc_co_u32_e32 v7, vcc, v9, v7, vcc
	global_load_dwordx2 v[6:7], v[6:7], off
	s_waitcnt vmcnt(0)
	ds_write_b64 v14, v[6:7] offset:2048
.LBB135_46:
	s_or_b64 exec, exec, s[2:3]
	v_or_b32_e32 v6, 0x200, v0
	v_cmp_le_u32_e32 vcc, s19, v6
	s_mov_b64 s[6:7], -1
	v_pk_mov_b32 v[8:9], s[22:23], s[22:23] op_sel:[0,1]
	s_and_saveexec_b64 s[2:3], vcc
; %bb.47:
	v_subrev_u32_e32 v6, s19, v6
	v_cmp_gt_u32_e32 vcc, s30, v6
	v_pk_mov_b32 v[8:9], s[24:25], s[24:25] op_sel:[0,1]
	s_orn2_b64 s[6:7], vcc, exec
; %bb.48:
	s_or_b64 exec, exec, s[2:3]
	s_and_saveexec_b64 s[2:3], s[6:7]
	s_cbranch_execz .LBB135_50
; %bb.49:
	v_lshlrev_b64 v[8:9], 3, v[8:9]
	v_mov_b32_e32 v7, s13
	v_add_co_u32_e32 v8, vcc, s12, v8
	v_addc_co_u32_e32 v9, vcc, v7, v9, vcc
	v_mov_b32_e32 v7, 0
	v_lshlrev_b64 v[6:7], 3, v[6:7]
	v_add_co_u32_e32 v6, vcc, v8, v6
	v_addc_co_u32_e32 v7, vcc, v9, v7, vcc
	global_load_dwordx2 v[6:7], v[6:7], off
	s_waitcnt vmcnt(0)
	ds_write_b64 v14, v[6:7] offset:4096
.LBB135_50:
	s_or_b64 exec, exec, s[2:3]
	v_or_b32_e32 v8, 0x300, v0
	v_cmp_le_u32_e32 vcc, s19, v8
                                        ; implicit-def: $vgpr15
                                        ; implicit-def: $vgpr6_vgpr7
	s_and_saveexec_b64 s[2:3], vcc
	s_xor_b64 s[2:3], exec, s[2:3]
	s_cbranch_execz .LBB135_54
; %bb.51:
	v_subrev_u32_e32 v8, s19, v8
	v_cmp_gt_u32_e32 vcc, s30, v8
	s_mov_b64 s[8:9], s[4:5]
                                        ; implicit-def: $vgpr15
                                        ; implicit-def: $vgpr6_vgpr7
	s_and_saveexec_b64 s[6:7], vcc
; %bb.52:
	v_mov_b32_e32 v9, 0
	v_lshlrev_b64 v[6:7], 3, v[8:9]
	v_mov_b32_e32 v8, s29
	v_add_co_u32_e32 v6, vcc, s28, v6
	v_or_b32_e32 v15, 0x1800, v14
	v_addc_co_u32_e32 v7, vcc, v8, v7, vcc
	s_or_b64 s[8:9], s[4:5], exec
; %bb.53:
	s_or_b64 exec, exec, s[6:7]
	s_andn2_b64 s[4:5], s[4:5], exec
	s_and_b64 s[6:7], s[8:9], exec
	s_or_b64 s[4:5], s[4:5], s[6:7]
                                        ; implicit-def: $vgpr8
                                        ; implicit-def: $vgpr14
.LBB135_54:
	s_andn2_saveexec_b64 s[2:3], s[2:3]
; %bb.55:
	v_lshlrev_b32_e32 v6, 3, v8
	v_mov_b32_e32 v7, s27
	v_add_co_u32_e32 v6, vcc, s26, v6
	v_addc_co_u32_e32 v7, vcc, 0, v7, vcc
	v_or_b32_e32 v15, 0x1800, v14
	s_or_b64 s[4:5], s[4:5], exec
; %bb.56:
	s_or_b64 exec, exec, s[2:3]
.LBB135_57:
	s_and_saveexec_b64 s[2:3], s[4:5]
	s_cbranch_execz .LBB135_59
; %bb.58:
	global_load_dwordx2 v[6:7], v[6:7], off
	s_waitcnt vmcnt(0)
	ds_write_b64 v15, v[6:7]
.LBB135_59:
	s_or_b64 exec, exec, s[2:3]
	s_and_b64 vcc, exec, s[0:1]
	v_add_u32_e32 v6, s18, v1
	s_waitcnt lgkmcnt(0)
	s_barrier
	s_cbranch_vccnz .LBB135_61
; %bb.60:
	v_lshlrev_b32_e32 v14, 3, v10
	v_lshlrev_b32_e32 v16, 3, v11
	;; [unrolled: 1-line block ×3, first 2 shown]
	ds_read_b64 v[14:15], v14
	ds_read_b64 v[16:17], v16
	;; [unrolled: 1-line block ×3, first 2 shown]
	v_mov_b32_e32 v7, 0
	v_lshlrev_b64 v[8:9], 3, v[6:7]
	v_mov_b32_e32 v20, s15
	v_add_co_u32_e32 v8, vcc, s14, v8
	v_addc_co_u32_e32 v9, vcc, v20, v9, vcc
	s_mov_b64 s[0:1], -1
	s_waitcnt lgkmcnt(1)
	global_store_dwordx4 v[8:9], v[14:17], off
	s_waitcnt lgkmcnt(0)
	global_store_dwordx2 v[8:9], v[18:19], off offset:16
	s_cbranch_execz .LBB135_62
	s_branch .LBB135_71
.LBB135_61:
	s_mov_b64 s[0:1], 0
.LBB135_62:
	v_cmp_gt_u32_e32 vcc, s17, v1
	s_and_saveexec_b64 s[2:3], vcc
	s_cbranch_execz .LBB135_64
; %bb.63:
	v_lshlrev_b32_e32 v10, 3, v10
	ds_read_b64 v[14:15], v10
	v_mov_b32_e32 v7, 0
	v_lshlrev_b64 v[8:9], 3, v[6:7]
	v_mov_b32_e32 v7, s15
	v_add_co_u32_e32 v8, vcc, s14, v8
	v_addc_co_u32_e32 v9, vcc, v7, v9, vcc
	s_waitcnt lgkmcnt(0)
	global_store_dwordx2 v[8:9], v[14:15], off
.LBB135_64:
	s_or_b64 exec, exec, s[2:3]
	v_or_b32_e32 v7, 1, v1
	v_cmp_gt_u32_e32 vcc, s17, v7
	s_and_saveexec_b64 s[2:3], vcc
	s_cbranch_execz .LBB135_66
; %bb.65:
	v_lshlrev_b32_e32 v10, 3, v11
	ds_read_b64 v[10:11], v10
	v_mov_b32_e32 v7, 0
	v_lshlrev_b64 v[8:9], 3, v[6:7]
	v_mov_b32_e32 v7, s15
	v_add_co_u32_e32 v8, vcc, s14, v8
	v_addc_co_u32_e32 v9, vcc, v7, v9, vcc
	s_waitcnt lgkmcnt(0)
	global_store_dwordx2 v[8:9], v[10:11], off offset:8
.LBB135_66:
	s_or_b64 exec, exec, s[2:3]
	v_or_b32_e32 v7, 2, v1
	v_cmp_gt_u32_e32 vcc, s17, v7
	s_and_saveexec_b64 s[2:3], vcc
	s_cbranch_execz .LBB135_68
; %bb.67:
	v_lshlrev_b32_e32 v10, 3, v13
	ds_read_b64 v[10:11], v10
	v_mov_b32_e32 v7, 0
	v_lshlrev_b64 v[8:9], 3, v[6:7]
	v_mov_b32_e32 v7, s15
	v_add_co_u32_e32 v8, vcc, s14, v8
	v_addc_co_u32_e32 v9, vcc, v7, v9, vcc
	s_waitcnt lgkmcnt(0)
	global_store_dwordx2 v[8:9], v[10:11], off offset:16
.LBB135_68:
	s_or_b64 exec, exec, s[2:3]
	v_or_b32_e32 v7, 3, v1
	v_cmp_gt_u32_e32 vcc, s17, v7
	s_and_saveexec_b64 s[2:3], vcc
; %bb.69:
	v_mov_b32_e32 v7, 0
	s_or_b64 s[0:1], s[0:1], exec
; %bb.70:
	s_or_b64 exec, exec, s[2:3]
.LBB135_71:
	s_and_saveexec_b64 s[2:3], s[0:1]
	s_cbranch_execz .LBB135_73
; %bb.72:
	v_lshlrev_b32_e32 v8, 3, v12
	ds_read_b64 v[8:9], v8
	v_lshlrev_b64 v[6:7], 3, v[6:7]
	v_mov_b32_e32 v10, s15
	v_add_co_u32_e32 v6, vcc, s14, v6
	v_addc_co_u32_e32 v7, vcc, v10, v7, vcc
	s_waitcnt lgkmcnt(0)
	global_store_dwordx2 v[6:7], v[8:9], off offset:24
.LBB135_73:
	s_or_b64 exec, exec, s[2:3]
	v_lshrrev_b32_e32 v6, 3, v0
	v_lshlrev_b32_e32 v7, 2, v1
	v_lshl_add_u32 v7, v6, 2, v7
	s_barrier
	s_barrier
	ds_write2_b32 v7, v2, v3 offset1:1
	ds_write2_b32 v7, v4, v5 offset0:2 offset1:3
	v_and_b32_e32 v2, 28, v6
	v_or_b32_e32 v6, 0x100, v0
	v_add_u32_e32 v7, v1, v2
	v_lshrrev_b32_e32 v2, 3, v6
	v_and_b32_e32 v2, 60, v2
	v_or_b32_e32 v5, 0x200, v0
	s_mov_b32 s19, 0
	v_add_u32_e32 v8, v1, v2
	v_lshrrev_b32_e32 v2, 3, v5
	s_lshl_b64 s[0:1], s[18:19], 2
	v_and_b32_e32 v2, 0x5c, v2
	v_or_b32_e32 v4, 0x300, v0
	s_add_u32 s0, s10, s0
	v_add_u32_e32 v9, v1, v2
	v_lshrrev_b32_e32 v2, 3, v4
	s_addc_u32 s1, s11, s1
	v_and_b32_e32 v2, 0x7c, v2
	v_add_u32_e32 v10, v1, v2
	v_mov_b32_e32 v3, s1
	v_add_co_u32_e32 v2, vcc, s0, v1
	v_addc_co_u32_e32 v3, vcc, 0, v3, vcc
	s_and_b64 vcc, exec, s[20:21]
	s_waitcnt lgkmcnt(0)
	s_cbranch_vccz .LBB135_75
; %bb.74:
	s_barrier
	ds_read_b32 v11, v7
	ds_read_b32 v12, v8 offset:1024
	ds_read_b32 v13, v9 offset:2048
	;; [unrolled: 1-line block ×3, first 2 shown]
	s_waitcnt lgkmcnt(3)
	global_store_dword v[2:3], v11, off
	s_waitcnt lgkmcnt(2)
	global_store_dword v[2:3], v12, off offset:1024
	s_waitcnt lgkmcnt(1)
	global_store_dword v[2:3], v13, off offset:2048
	s_mov_b64 s[0:1], -1
	s_cbranch_execz .LBB135_76
	s_branch .LBB135_81
.LBB135_75:
	s_mov_b64 s[0:1], 0
                                        ; implicit-def: $vgpr1
.LBB135_76:
	s_barrier
	s_waitcnt lgkmcnt(0)
	ds_read_b32 v11, v8 offset:1024
	ds_read_b32 v8, v9 offset:2048
	;; [unrolled: 1-line block ×3, first 2 shown]
	s_sub_i32 s2, s16, s18
	v_cmp_gt_u32_e32 vcc, s2, v0
	s_and_saveexec_b64 s[0:1], vcc
	s_cbranch_execnz .LBB135_90
; %bb.77:
	s_or_b64 exec, exec, s[0:1]
	v_cmp_gt_u32_e32 vcc, s2, v6
	s_and_saveexec_b64 s[0:1], vcc
	s_cbranch_execnz .LBB135_91
.LBB135_78:
	s_or_b64 exec, exec, s[0:1]
	v_cmp_gt_u32_e32 vcc, s2, v5
	s_and_saveexec_b64 s[0:1], vcc
	s_cbranch_execz .LBB135_80
.LBB135_79:
	s_waitcnt lgkmcnt(1)
	global_store_dword v[2:3], v8, off offset:2048
.LBB135_80:
	s_or_b64 exec, exec, s[0:1]
	v_cmp_gt_u32_e64 s[0:1], s2, v4
.LBB135_81:
	s_and_saveexec_b64 s[2:3], s[0:1]
	s_cbranch_execz .LBB135_83
; %bb.82:
	s_waitcnt lgkmcnt(0)
	global_store_dword v[2:3], v1, off offset:3072
.LBB135_83:
	s_endpgm
.LBB135_84:
	s_waitcnt vmcnt(3)
	v_mov_b32_e32 v2, s27
	s_waitcnt vmcnt(1)
	v_add_co_u32_e32 v4, vcc, s7, v1
	v_mov_b32_e32 v3, 0
	s_waitcnt vmcnt(0)
	v_addc_co_u32_e32 v5, vcc, 0, v2, vcc
	v_subrev_u32_e32 v2, s19, v0
	v_lshlrev_b64 v[2:3], 2, v[2:3]
	v_mov_b32_e32 v7, s5
	v_add_co_u32_e32 v2, vcc, s4, v2
	v_addc_co_u32_e32 v3, vcc, v7, v3, vcc
	v_cmp_gt_u32_e32 vcc, s19, v0
	v_cndmask_b32_e32 v3, v3, v5, vcc
	v_cndmask_b32_e32 v2, v2, v4, vcc
	global_load_dword v2, v[2:3], off
	s_or_b64 exec, exec, s[0:1]
	v_cmp_gt_u32_e32 vcc, s17, v8
	s_and_saveexec_b64 s[2:3], vcc
	s_cbranch_execz .LBB135_6
.LBB135_85:
	v_mov_b32_e32 v9, 0
	v_lshlrev_b64 v[10:11], 2, v[8:9]
	s_waitcnt vmcnt(2)
	v_mov_b32_e32 v3, s27
	v_add_co_u32_e32 v7, vcc, s7, v10
	v_addc_co_u32_e32 v3, vcc, v3, v11, vcc
	v_cmp_gt_u32_e32 vcc, s19, v8
	v_subrev_u32_e32 v8, s19, v8
	v_lshlrev_b64 v[8:9], 2, v[8:9]
	v_mov_b32_e32 v10, s5
	v_add_co_u32_e64 v8, s[0:1], s4, v8
	v_addc_co_u32_e64 v9, s[0:1], v10, v9, s[0:1]
	v_cndmask_b32_e32 v9, v9, v3, vcc
	v_cndmask_b32_e32 v8, v8, v7, vcc
	global_load_dword v3, v[8:9], off
	s_or_b64 exec, exec, s[2:3]
	v_cmp_gt_u32_e32 vcc, s17, v6
	s_and_saveexec_b64 s[0:1], vcc
	s_cbranch_execnz .LBB135_7
	s_branch .LBB135_8
.LBB135_86:
	v_subrev_u32_e32 v8, s19, v0
	v_cmp_gt_u32_e32 vcc, s30, v8
                                        ; implicit-def: $vgpr6_vgpr7
	s_and_saveexec_b64 s[8:9], vcc
	s_xor_b64 s[8:9], exec, s[8:9]
; %bb.87:
	v_mov_b32_e32 v9, 0
	v_lshlrev_b64 v[6:7], 3, v[8:9]
	v_mov_b32_e32 v8, s29
	v_add_co_u32_e32 v6, vcc, s28, v6
	s_mov_b64 s[6:7], exec
	v_addc_co_u32_e32 v7, vcc, v8, v7, vcc
; %bb.88:
	s_or_b64 exec, exec, s[8:9]
	s_and_b64 s[6:7], s[6:7], exec
	s_andn2_saveexec_b64 s[2:3], s[2:3]
	s_cbranch_execz .LBB135_40
.LBB135_89:
	v_lshlrev_b32_e32 v6, 3, v0
	v_mov_b32_e32 v7, s27
	v_add_co_u32_e32 v6, vcc, s26, v6
	v_addc_co_u32_e32 v7, vcc, 0, v7, vcc
	s_or_b64 s[6:7], s[6:7], exec
	s_or_b64 exec, exec, s[2:3]
	v_add_u32_e32 v14, v1, v1
	s_and_saveexec_b64 s[2:3], s[6:7]
	s_cbranch_execnz .LBB135_41
	s_branch .LBB135_42
.LBB135_90:
	ds_read_b32 v0, v7
	s_waitcnt lgkmcnt(0)
	global_store_dword v[2:3], v0, off
	s_or_b64 exec, exec, s[0:1]
	v_cmp_gt_u32_e32 vcc, s2, v6
	s_and_saveexec_b64 s[0:1], vcc
	s_cbranch_execz .LBB135_78
.LBB135_91:
	s_waitcnt lgkmcnt(2)
	global_store_dword v[2:3], v11, off offset:1024
	s_or_b64 exec, exec, s[0:1]
	v_cmp_gt_u32_e32 vcc, s2, v5
	s_and_saveexec_b64 s[0:1], vcc
	s_cbranch_execnz .LBB135_79
	s_branch .LBB135_80
	.section	.rodata,"a",@progbits
	.p2align	6, 0x0
	.amdhsa_kernel _ZN7rocprim17ROCPRIM_304000_NS6detail35device_block_merge_mergepath_kernelINS1_37wrapped_merge_sort_block_merge_configINS0_14default_configEfN2at4cuda3cub6detail10OpaqueTypeILi8EEEEEPfSC_PSA_SD_jNS1_19radix_merge_compareILb0ELb0EfNS0_19identity_decomposerEEEEEvT0_T1_T2_T3_T4_SL_jT5_PKSL_NS1_7vsmem_tE
		.amdhsa_group_segment_fixed_size 8208
		.amdhsa_private_segment_fixed_size 0
		.amdhsa_kernarg_size 320
		.amdhsa_user_sgpr_count 6
		.amdhsa_user_sgpr_private_segment_buffer 1
		.amdhsa_user_sgpr_dispatch_ptr 0
		.amdhsa_user_sgpr_queue_ptr 0
		.amdhsa_user_sgpr_kernarg_segment_ptr 1
		.amdhsa_user_sgpr_dispatch_id 0
		.amdhsa_user_sgpr_flat_scratch_init 0
		.amdhsa_user_sgpr_kernarg_preload_length 0
		.amdhsa_user_sgpr_kernarg_preload_offset 0
		.amdhsa_user_sgpr_private_segment_size 0
		.amdhsa_uses_dynamic_stack 0
		.amdhsa_system_sgpr_private_segment_wavefront_offset 0
		.amdhsa_system_sgpr_workgroup_id_x 1
		.amdhsa_system_sgpr_workgroup_id_y 1
		.amdhsa_system_sgpr_workgroup_id_z 1
		.amdhsa_system_sgpr_workgroup_info 0
		.amdhsa_system_vgpr_workitem_id 0
		.amdhsa_next_free_vgpr 24
		.amdhsa_next_free_sgpr 31
		.amdhsa_accum_offset 24
		.amdhsa_reserve_vcc 1
		.amdhsa_reserve_flat_scratch 0
		.amdhsa_float_round_mode_32 0
		.amdhsa_float_round_mode_16_64 0
		.amdhsa_float_denorm_mode_32 3
		.amdhsa_float_denorm_mode_16_64 3
		.amdhsa_dx10_clamp 1
		.amdhsa_ieee_mode 1
		.amdhsa_fp16_overflow 0
		.amdhsa_tg_split 0
		.amdhsa_exception_fp_ieee_invalid_op 0
		.amdhsa_exception_fp_denorm_src 0
		.amdhsa_exception_fp_ieee_div_zero 0
		.amdhsa_exception_fp_ieee_overflow 0
		.amdhsa_exception_fp_ieee_underflow 0
		.amdhsa_exception_fp_ieee_inexact 0
		.amdhsa_exception_int_div_zero 0
	.end_amdhsa_kernel
	.section	.text._ZN7rocprim17ROCPRIM_304000_NS6detail35device_block_merge_mergepath_kernelINS1_37wrapped_merge_sort_block_merge_configINS0_14default_configEfN2at4cuda3cub6detail10OpaqueTypeILi8EEEEEPfSC_PSA_SD_jNS1_19radix_merge_compareILb0ELb0EfNS0_19identity_decomposerEEEEEvT0_T1_T2_T3_T4_SL_jT5_PKSL_NS1_7vsmem_tE,"axG",@progbits,_ZN7rocprim17ROCPRIM_304000_NS6detail35device_block_merge_mergepath_kernelINS1_37wrapped_merge_sort_block_merge_configINS0_14default_configEfN2at4cuda3cub6detail10OpaqueTypeILi8EEEEEPfSC_PSA_SD_jNS1_19radix_merge_compareILb0ELb0EfNS0_19identity_decomposerEEEEEvT0_T1_T2_T3_T4_SL_jT5_PKSL_NS1_7vsmem_tE,comdat
.Lfunc_end135:
	.size	_ZN7rocprim17ROCPRIM_304000_NS6detail35device_block_merge_mergepath_kernelINS1_37wrapped_merge_sort_block_merge_configINS0_14default_configEfN2at4cuda3cub6detail10OpaqueTypeILi8EEEEEPfSC_PSA_SD_jNS1_19radix_merge_compareILb0ELb0EfNS0_19identity_decomposerEEEEEvT0_T1_T2_T3_T4_SL_jT5_PKSL_NS1_7vsmem_tE, .Lfunc_end135-_ZN7rocprim17ROCPRIM_304000_NS6detail35device_block_merge_mergepath_kernelINS1_37wrapped_merge_sort_block_merge_configINS0_14default_configEfN2at4cuda3cub6detail10OpaqueTypeILi8EEEEEPfSC_PSA_SD_jNS1_19radix_merge_compareILb0ELb0EfNS0_19identity_decomposerEEEEEvT0_T1_T2_T3_T4_SL_jT5_PKSL_NS1_7vsmem_tE
                                        ; -- End function
	.section	.AMDGPU.csdata,"",@progbits
; Kernel info:
; codeLenInByte = 3828
; NumSgprs: 35
; NumVgprs: 24
; NumAgprs: 0
; TotalNumVgprs: 24
; ScratchSize: 0
; MemoryBound: 1
; FloatMode: 240
; IeeeMode: 1
; LDSByteSize: 8208 bytes/workgroup (compile time only)
; SGPRBlocks: 4
; VGPRBlocks: 2
; NumSGPRsForWavesPerEU: 35
; NumVGPRsForWavesPerEU: 24
; AccumOffset: 24
; Occupancy: 7
; WaveLimiterHint : 1
; COMPUTE_PGM_RSRC2:SCRATCH_EN: 0
; COMPUTE_PGM_RSRC2:USER_SGPR: 6
; COMPUTE_PGM_RSRC2:TRAP_HANDLER: 0
; COMPUTE_PGM_RSRC2:TGID_X_EN: 1
; COMPUTE_PGM_RSRC2:TGID_Y_EN: 1
; COMPUTE_PGM_RSRC2:TGID_Z_EN: 1
; COMPUTE_PGM_RSRC2:TIDIG_COMP_CNT: 0
; COMPUTE_PGM_RSRC3_GFX90A:ACCUM_OFFSET: 5
; COMPUTE_PGM_RSRC3_GFX90A:TG_SPLIT: 0
	.section	.text._ZN7rocprim17ROCPRIM_304000_NS6detail33device_block_merge_oddeven_kernelINS1_37wrapped_merge_sort_block_merge_configINS0_14default_configEfN2at4cuda3cub6detail10OpaqueTypeILi8EEEEEPfSC_PSA_SD_jNS1_19radix_merge_compareILb0ELb0EfNS0_19identity_decomposerEEEEEvT0_T1_T2_T3_T4_SL_T5_,"axG",@progbits,_ZN7rocprim17ROCPRIM_304000_NS6detail33device_block_merge_oddeven_kernelINS1_37wrapped_merge_sort_block_merge_configINS0_14default_configEfN2at4cuda3cub6detail10OpaqueTypeILi8EEEEEPfSC_PSA_SD_jNS1_19radix_merge_compareILb0ELb0EfNS0_19identity_decomposerEEEEEvT0_T1_T2_T3_T4_SL_T5_,comdat
	.protected	_ZN7rocprim17ROCPRIM_304000_NS6detail33device_block_merge_oddeven_kernelINS1_37wrapped_merge_sort_block_merge_configINS0_14default_configEfN2at4cuda3cub6detail10OpaqueTypeILi8EEEEEPfSC_PSA_SD_jNS1_19radix_merge_compareILb0ELb0EfNS0_19identity_decomposerEEEEEvT0_T1_T2_T3_T4_SL_T5_ ; -- Begin function _ZN7rocprim17ROCPRIM_304000_NS6detail33device_block_merge_oddeven_kernelINS1_37wrapped_merge_sort_block_merge_configINS0_14default_configEfN2at4cuda3cub6detail10OpaqueTypeILi8EEEEEPfSC_PSA_SD_jNS1_19radix_merge_compareILb0ELb0EfNS0_19identity_decomposerEEEEEvT0_T1_T2_T3_T4_SL_T5_
	.globl	_ZN7rocprim17ROCPRIM_304000_NS6detail33device_block_merge_oddeven_kernelINS1_37wrapped_merge_sort_block_merge_configINS0_14default_configEfN2at4cuda3cub6detail10OpaqueTypeILi8EEEEEPfSC_PSA_SD_jNS1_19radix_merge_compareILb0ELb0EfNS0_19identity_decomposerEEEEEvT0_T1_T2_T3_T4_SL_T5_
	.p2align	8
	.type	_ZN7rocprim17ROCPRIM_304000_NS6detail33device_block_merge_oddeven_kernelINS1_37wrapped_merge_sort_block_merge_configINS0_14default_configEfN2at4cuda3cub6detail10OpaqueTypeILi8EEEEEPfSC_PSA_SD_jNS1_19radix_merge_compareILb0ELb0EfNS0_19identity_decomposerEEEEEvT0_T1_T2_T3_T4_SL_T5_,@function
_ZN7rocprim17ROCPRIM_304000_NS6detail33device_block_merge_oddeven_kernelINS1_37wrapped_merge_sort_block_merge_configINS0_14default_configEfN2at4cuda3cub6detail10OpaqueTypeILi8EEEEEPfSC_PSA_SD_jNS1_19radix_merge_compareILb0ELb0EfNS0_19identity_decomposerEEEEEvT0_T1_T2_T3_T4_SL_T5_: ; @_ZN7rocprim17ROCPRIM_304000_NS6detail33device_block_merge_oddeven_kernelINS1_37wrapped_merge_sort_block_merge_configINS0_14default_configEfN2at4cuda3cub6detail10OpaqueTypeILi8EEEEEPfSC_PSA_SD_jNS1_19radix_merge_compareILb0ELb0EfNS0_19identity_decomposerEEEEEvT0_T1_T2_T3_T4_SL_T5_
; %bb.0:
	s_load_dwordx2 s[16:17], s[4:5], 0x20
	s_waitcnt lgkmcnt(0)
	s_lshr_b32 s2, s16, 8
	s_cmp_lg_u32 s6, s2
	s_cselect_b64 s[0:1], -1, 0
	s_cmp_eq_u32 s6, s2
	s_cselect_b64 s[18:19], -1, 0
	s_lshl_b32 s20, s6, 8
	s_sub_i32 s2, s16, s20
	v_cmp_gt_u32_e64 s[2:3], s2, v0
	s_or_b64 s[0:1], s[0:1], s[2:3]
	s_and_saveexec_b64 s[8:9], s[0:1]
	s_cbranch_execz .LBB136_26
; %bb.1:
	s_load_dwordx8 s[8:15], s[4:5], 0x0
	s_mov_b32 s21, 0
	s_lshl_b64 s[0:1], s[20:21], 2
	v_lshlrev_b32_e32 v4, 3, v0
	v_lshlrev_b32_e32 v1, 2, v0
	s_waitcnt lgkmcnt(0)
	s_add_u32 s0, s8, s0
	s_addc_u32 s1, s9, s1
	s_lshl_b64 s[4:5], s[20:21], 3
	s_add_u32 s4, s12, s4
	s_addc_u32 s5, s13, s5
	global_load_dwordx2 v[2:3], v4, s[4:5]
	global_load_dword v6, v1, s[0:1]
	s_lshr_b32 s0, s17, 8
	s_sub_i32 s1, 0, s0
	s_and_b32 s1, s6, s1
	s_and_b32 s0, s1, s0
	s_lshl_b32 s22, s1, 8
	s_sub_i32 s6, 0, s17
	s_cmp_eq_u32 s0, 0
	s_cselect_b64 s[0:1], -1, 0
	s_and_b64 s[4:5], s[0:1], exec
	s_cselect_b32 s21, s17, s6
	s_add_i32 s21, s21, s22
	s_cmp_lt_u32 s21, s16
	v_add_u32_e32 v4, s20, v0
	s_cbranch_scc1 .LBB136_6
; %bb.2:
	s_and_b64 vcc, exec, s[18:19]
	s_cbranch_vccz .LBB136_7
; %bb.3:
	v_cmp_gt_u32_e32 vcc, s16, v4
	s_mov_b64 s[6:7], 0
	s_mov_b64 s[4:5], 0
                                        ; implicit-def: $vgpr0_vgpr1
	s_and_saveexec_b64 s[12:13], vcc
	s_cbranch_execz .LBB136_5
; %bb.4:
	v_mov_b32_e32 v5, 0
	v_lshlrev_b64 v[0:1], 3, v[4:5]
	v_mov_b32_e32 v7, s15
	v_add_co_u32_e32 v0, vcc, s14, v0
	v_addc_co_u32_e32 v1, vcc, v7, v1, vcc
	v_lshlrev_b64 v[8:9], 2, v[4:5]
	v_mov_b32_e32 v5, s11
	v_add_co_u32_e32 v8, vcc, s10, v8
	s_mov_b64 s[4:5], exec
	v_addc_co_u32_e32 v9, vcc, v5, v9, vcc
	s_waitcnt vmcnt(0)
	global_store_dword v[8:9], v6, off
.LBB136_5:
	s_or_b64 exec, exec, s[12:13]
	s_and_b64 vcc, exec, s[6:7]
	s_cbranch_vccnz .LBB136_8
	s_branch .LBB136_9
.LBB136_6:
	s_mov_b64 s[4:5], 0
                                        ; implicit-def: $vgpr0_vgpr1
	s_cbranch_execnz .LBB136_10
	s_branch .LBB136_24
.LBB136_7:
	s_mov_b64 s[4:5], 0
                                        ; implicit-def: $vgpr0_vgpr1
	s_cbranch_execz .LBB136_9
.LBB136_8:
	v_mov_b32_e32 v5, 0
	v_lshlrev_b64 v[0:1], 2, v[4:5]
	v_mov_b32_e32 v7, s11
	v_add_co_u32_e32 v0, vcc, s10, v0
	v_addc_co_u32_e32 v1, vcc, v7, v1, vcc
	s_waitcnt vmcnt(0)
	global_store_dword v[0:1], v6, off
	v_lshlrev_b64 v[0:1], 3, v[4:5]
	v_mov_b32_e32 v5, s15
	v_add_co_u32_e32 v0, vcc, s14, v0
	v_addc_co_u32_e32 v1, vcc, v5, v1, vcc
	s_or_b64 s[4:5], s[4:5], exec
.LBB136_9:
	s_branch .LBB136_24
.LBB136_10:
	s_min_u32 s12, s21, s16
	s_add_i32 s6, s12, s17
	s_min_u32 s13, s6, s16
	s_min_u32 s6, s22, s12
	s_add_i32 s22, s22, s12
	v_subrev_u32_e32 v0, s22, v4
	v_add_u32_e32 v4, s6, v0
	s_and_b64 vcc, exec, s[18:19]
	s_cbranch_vccz .LBB136_18
; %bb.11:
                                        ; implicit-def: $vgpr0_vgpr1
	s_and_saveexec_b64 s[6:7], s[2:3]
	s_cbranch_execz .LBB136_17
; %bb.12:
	s_cmp_ge_u32 s21, s13
	v_mov_b32_e32 v5, s12
	s_cbranch_scc1 .LBB136_16
; %bb.13:
	s_brev_b32 s16, 1
	s_waitcnt vmcnt(0)
	v_cmp_ne_u32_e32 vcc, s16, v6
	v_cndmask_b32_e32 v0, 0, v6, vcc
	v_bfrev_b32_e32 v7, 1
	v_cmp_lt_i32_e32 vcc, -1, v0
	v_cndmask_b32_e32 v1, -1, v7, vcc
	v_xor_b32_e32 v8, v1, v0
	s_mov_b64 s[2:3], 0
	v_mov_b32_e32 v9, s13
	v_mov_b32_e32 v5, s12
	;; [unrolled: 1-line block ×4, first 2 shown]
.LBB136_14:                             ; =>This Inner Loop Header: Depth=1
	v_add_u32_e32 v0, v5, v9
	v_lshrrev_b32_e32 v0, 1, v0
	v_lshlrev_b64 v[12:13], 2, v[0:1]
	v_add_co_u32_e32 v12, vcc, s8, v12
	v_addc_co_u32_e32 v13, vcc, v10, v13, vcc
	global_load_dword v11, v[12:13], off
	v_add_u32_e32 v12, 1, v0
	s_waitcnt vmcnt(0)
	v_cmp_ne_u32_e32 vcc, s16, v11
	v_cndmask_b32_e32 v11, 0, v11, vcc
	v_cmp_lt_i32_e32 vcc, -1, v11
	v_cndmask_b32_e32 v13, -1, v7, vcc
	v_xor_b32_e32 v11, v13, v11
	v_cmp_gt_u32_e32 vcc, v8, v11
	v_cndmask_b32_e64 v13, 0, 1, vcc
	v_cmp_le_u32_e32 vcc, v11, v8
	v_cndmask_b32_e64 v11, 0, 1, vcc
	v_cndmask_b32_e64 v11, v11, v13, s[0:1]
	v_and_b32_e32 v11, 1, v11
	v_cmp_eq_u32_e32 vcc, 1, v11
	v_cndmask_b32_e32 v9, v0, v9, vcc
	v_cndmask_b32_e32 v5, v5, v12, vcc
	v_cmp_ge_u32_e32 vcc, v5, v9
	s_or_b64 s[2:3], vcc, s[2:3]
	s_andn2_b64 exec, exec, s[2:3]
	s_cbranch_execnz .LBB136_14
; %bb.15:
	s_or_b64 exec, exec, s[2:3]
.LBB136_16:
	v_add_u32_e32 v0, v5, v4
	v_mov_b32_e32 v1, 0
	v_lshlrev_b64 v[8:9], 2, v[0:1]
	v_mov_b32_e32 v5, s11
	v_add_co_u32_e32 v8, vcc, s10, v8
	v_addc_co_u32_e32 v9, vcc, v5, v9, vcc
	v_lshlrev_b64 v[0:1], 3, v[0:1]
	v_mov_b32_e32 v5, s15
	v_add_co_u32_e32 v0, vcc, s14, v0
	s_waitcnt vmcnt(0)
	global_store_dword v[8:9], v6, off
	v_addc_co_u32_e32 v1, vcc, v5, v1, vcc
	s_or_b64 s[4:5], s[4:5], exec
.LBB136_17:
	s_or_b64 exec, exec, s[6:7]
	s_branch .LBB136_24
.LBB136_18:
                                        ; implicit-def: $vgpr0_vgpr1
	s_cbranch_execz .LBB136_24
; %bb.19:
	s_cmp_ge_u32 s21, s13
	v_mov_b32_e32 v5, s12
	s_cbranch_scc1 .LBB136_23
; %bb.20:
	s_brev_b32 s4, 1
	s_waitcnt vmcnt(0)
	v_cmp_ne_u32_e32 vcc, s4, v6
	v_cndmask_b32_e32 v0, 0, v6, vcc
	v_bfrev_b32_e32 v7, 1
	v_cmp_lt_i32_e32 vcc, -1, v0
	v_cndmask_b32_e32 v1, -1, v7, vcc
	v_xor_b32_e32 v8, v1, v0
	s_mov_b64 s[2:3], 0
	v_mov_b32_e32 v9, s13
	v_mov_b32_e32 v5, s12
	;; [unrolled: 1-line block ×4, first 2 shown]
.LBB136_21:                             ; =>This Inner Loop Header: Depth=1
	v_add_u32_e32 v0, v5, v9
	v_lshrrev_b32_e32 v0, 1, v0
	v_lshlrev_b64 v[12:13], 2, v[0:1]
	v_add_co_u32_e32 v12, vcc, s8, v12
	v_addc_co_u32_e32 v13, vcc, v10, v13, vcc
	global_load_dword v11, v[12:13], off
	v_add_u32_e32 v12, 1, v0
	s_waitcnt vmcnt(0)
	v_cmp_ne_u32_e32 vcc, s4, v11
	v_cndmask_b32_e32 v11, 0, v11, vcc
	v_cmp_lt_i32_e32 vcc, -1, v11
	v_cndmask_b32_e32 v13, -1, v7, vcc
	v_xor_b32_e32 v11, v13, v11
	v_cmp_gt_u32_e32 vcc, v8, v11
	v_cndmask_b32_e64 v13, 0, 1, vcc
	v_cmp_le_u32_e32 vcc, v11, v8
	v_cndmask_b32_e64 v11, 0, 1, vcc
	v_cndmask_b32_e64 v11, v11, v13, s[0:1]
	v_and_b32_e32 v11, 1, v11
	v_cmp_eq_u32_e32 vcc, 1, v11
	v_cndmask_b32_e32 v9, v0, v9, vcc
	v_cndmask_b32_e32 v5, v5, v12, vcc
	v_cmp_ge_u32_e32 vcc, v5, v9
	s_or_b64 s[2:3], vcc, s[2:3]
	s_andn2_b64 exec, exec, s[2:3]
	s_cbranch_execnz .LBB136_21
; %bb.22:
	s_or_b64 exec, exec, s[2:3]
.LBB136_23:
	v_add_u32_e32 v0, v5, v4
	v_mov_b32_e32 v1, 0
	v_lshlrev_b64 v[4:5], 2, v[0:1]
	v_mov_b32_e32 v7, s11
	v_add_co_u32_e32 v4, vcc, s10, v4
	v_addc_co_u32_e32 v5, vcc, v7, v5, vcc
	v_lshlrev_b64 v[0:1], 3, v[0:1]
	s_waitcnt vmcnt(0)
	global_store_dword v[4:5], v6, off
	v_mov_b32_e32 v4, s15
	v_add_co_u32_e32 v0, vcc, s14, v0
	v_addc_co_u32_e32 v1, vcc, v4, v1, vcc
	s_mov_b64 s[4:5], -1
.LBB136_24:
	s_and_b64 exec, exec, s[4:5]
	s_cbranch_execz .LBB136_26
; %bb.25:
	s_waitcnt vmcnt(1)
	global_store_dwordx2 v[0:1], v[2:3], off
.LBB136_26:
	s_endpgm
	.section	.rodata,"a",@progbits
	.p2align	6, 0x0
	.amdhsa_kernel _ZN7rocprim17ROCPRIM_304000_NS6detail33device_block_merge_oddeven_kernelINS1_37wrapped_merge_sort_block_merge_configINS0_14default_configEfN2at4cuda3cub6detail10OpaqueTypeILi8EEEEEPfSC_PSA_SD_jNS1_19radix_merge_compareILb0ELb0EfNS0_19identity_decomposerEEEEEvT0_T1_T2_T3_T4_SL_T5_
		.amdhsa_group_segment_fixed_size 0
		.amdhsa_private_segment_fixed_size 0
		.amdhsa_kernarg_size 44
		.amdhsa_user_sgpr_count 6
		.amdhsa_user_sgpr_private_segment_buffer 1
		.amdhsa_user_sgpr_dispatch_ptr 0
		.amdhsa_user_sgpr_queue_ptr 0
		.amdhsa_user_sgpr_kernarg_segment_ptr 1
		.amdhsa_user_sgpr_dispatch_id 0
		.amdhsa_user_sgpr_flat_scratch_init 0
		.amdhsa_user_sgpr_kernarg_preload_length 0
		.amdhsa_user_sgpr_kernarg_preload_offset 0
		.amdhsa_user_sgpr_private_segment_size 0
		.amdhsa_uses_dynamic_stack 0
		.amdhsa_system_sgpr_private_segment_wavefront_offset 0
		.amdhsa_system_sgpr_workgroup_id_x 1
		.amdhsa_system_sgpr_workgroup_id_y 0
		.amdhsa_system_sgpr_workgroup_id_z 0
		.amdhsa_system_sgpr_workgroup_info 0
		.amdhsa_system_vgpr_workitem_id 0
		.amdhsa_next_free_vgpr 14
		.amdhsa_next_free_sgpr 23
		.amdhsa_accum_offset 16
		.amdhsa_reserve_vcc 1
		.amdhsa_reserve_flat_scratch 0
		.amdhsa_float_round_mode_32 0
		.amdhsa_float_round_mode_16_64 0
		.amdhsa_float_denorm_mode_32 3
		.amdhsa_float_denorm_mode_16_64 3
		.amdhsa_dx10_clamp 1
		.amdhsa_ieee_mode 1
		.amdhsa_fp16_overflow 0
		.amdhsa_tg_split 0
		.amdhsa_exception_fp_ieee_invalid_op 0
		.amdhsa_exception_fp_denorm_src 0
		.amdhsa_exception_fp_ieee_div_zero 0
		.amdhsa_exception_fp_ieee_overflow 0
		.amdhsa_exception_fp_ieee_underflow 0
		.amdhsa_exception_fp_ieee_inexact 0
		.amdhsa_exception_int_div_zero 0
	.end_amdhsa_kernel
	.section	.text._ZN7rocprim17ROCPRIM_304000_NS6detail33device_block_merge_oddeven_kernelINS1_37wrapped_merge_sort_block_merge_configINS0_14default_configEfN2at4cuda3cub6detail10OpaqueTypeILi8EEEEEPfSC_PSA_SD_jNS1_19radix_merge_compareILb0ELb0EfNS0_19identity_decomposerEEEEEvT0_T1_T2_T3_T4_SL_T5_,"axG",@progbits,_ZN7rocprim17ROCPRIM_304000_NS6detail33device_block_merge_oddeven_kernelINS1_37wrapped_merge_sort_block_merge_configINS0_14default_configEfN2at4cuda3cub6detail10OpaqueTypeILi8EEEEEPfSC_PSA_SD_jNS1_19radix_merge_compareILb0ELb0EfNS0_19identity_decomposerEEEEEvT0_T1_T2_T3_T4_SL_T5_,comdat
.Lfunc_end136:
	.size	_ZN7rocprim17ROCPRIM_304000_NS6detail33device_block_merge_oddeven_kernelINS1_37wrapped_merge_sort_block_merge_configINS0_14default_configEfN2at4cuda3cub6detail10OpaqueTypeILi8EEEEEPfSC_PSA_SD_jNS1_19radix_merge_compareILb0ELb0EfNS0_19identity_decomposerEEEEEvT0_T1_T2_T3_T4_SL_T5_, .Lfunc_end136-_ZN7rocprim17ROCPRIM_304000_NS6detail33device_block_merge_oddeven_kernelINS1_37wrapped_merge_sort_block_merge_configINS0_14default_configEfN2at4cuda3cub6detail10OpaqueTypeILi8EEEEEPfSC_PSA_SD_jNS1_19radix_merge_compareILb0ELb0EfNS0_19identity_decomposerEEEEEvT0_T1_T2_T3_T4_SL_T5_
                                        ; -- End function
	.section	.AMDGPU.csdata,"",@progbits
; Kernel info:
; codeLenInByte = 960
; NumSgprs: 27
; NumVgprs: 14
; NumAgprs: 0
; TotalNumVgprs: 14
; ScratchSize: 0
; MemoryBound: 0
; FloatMode: 240
; IeeeMode: 1
; LDSByteSize: 0 bytes/workgroup (compile time only)
; SGPRBlocks: 3
; VGPRBlocks: 1
; NumSGPRsForWavesPerEU: 27
; NumVGPRsForWavesPerEU: 14
; AccumOffset: 16
; Occupancy: 8
; WaveLimiterHint : 0
; COMPUTE_PGM_RSRC2:SCRATCH_EN: 0
; COMPUTE_PGM_RSRC2:USER_SGPR: 6
; COMPUTE_PGM_RSRC2:TRAP_HANDLER: 0
; COMPUTE_PGM_RSRC2:TGID_X_EN: 1
; COMPUTE_PGM_RSRC2:TGID_Y_EN: 0
; COMPUTE_PGM_RSRC2:TGID_Z_EN: 0
; COMPUTE_PGM_RSRC2:TIDIG_COMP_CNT: 0
; COMPUTE_PGM_RSRC3_GFX90A:ACCUM_OFFSET: 3
; COMPUTE_PGM_RSRC3_GFX90A:TG_SPLIT: 0
	.section	.text._ZN7rocprim17ROCPRIM_304000_NS6detail26onesweep_histograms_kernelINS1_34wrapped_radix_sort_onesweep_configINS0_14default_configEfN2at4cuda3cub6detail10OpaqueTypeILi8EEEEELb0EPKfmNS0_19identity_decomposerEEEvT1_PT2_SG_SG_T3_jj,"axG",@progbits,_ZN7rocprim17ROCPRIM_304000_NS6detail26onesweep_histograms_kernelINS1_34wrapped_radix_sort_onesweep_configINS0_14default_configEfN2at4cuda3cub6detail10OpaqueTypeILi8EEEEELb0EPKfmNS0_19identity_decomposerEEEvT1_PT2_SG_SG_T3_jj,comdat
	.protected	_ZN7rocprim17ROCPRIM_304000_NS6detail26onesweep_histograms_kernelINS1_34wrapped_radix_sort_onesweep_configINS0_14default_configEfN2at4cuda3cub6detail10OpaqueTypeILi8EEEEELb0EPKfmNS0_19identity_decomposerEEEvT1_PT2_SG_SG_T3_jj ; -- Begin function _ZN7rocprim17ROCPRIM_304000_NS6detail26onesweep_histograms_kernelINS1_34wrapped_radix_sort_onesweep_configINS0_14default_configEfN2at4cuda3cub6detail10OpaqueTypeILi8EEEEELb0EPKfmNS0_19identity_decomposerEEEvT1_PT2_SG_SG_T3_jj
	.globl	_ZN7rocprim17ROCPRIM_304000_NS6detail26onesweep_histograms_kernelINS1_34wrapped_radix_sort_onesweep_configINS0_14default_configEfN2at4cuda3cub6detail10OpaqueTypeILi8EEEEELb0EPKfmNS0_19identity_decomposerEEEvT1_PT2_SG_SG_T3_jj
	.p2align	8
	.type	_ZN7rocprim17ROCPRIM_304000_NS6detail26onesweep_histograms_kernelINS1_34wrapped_radix_sort_onesweep_configINS0_14default_configEfN2at4cuda3cub6detail10OpaqueTypeILi8EEEEELb0EPKfmNS0_19identity_decomposerEEEvT1_PT2_SG_SG_T3_jj,@function
_ZN7rocprim17ROCPRIM_304000_NS6detail26onesweep_histograms_kernelINS1_34wrapped_radix_sort_onesweep_configINS0_14default_configEfN2at4cuda3cub6detail10OpaqueTypeILi8EEEEELb0EPKfmNS0_19identity_decomposerEEEvT1_PT2_SG_SG_T3_jj: ; @_ZN7rocprim17ROCPRIM_304000_NS6detail26onesweep_histograms_kernelINS1_34wrapped_radix_sort_onesweep_configINS0_14default_configEfN2at4cuda3cub6detail10OpaqueTypeILi8EEEEELb0EPKfmNS0_19identity_decomposerEEEvT1_PT2_SG_SG_T3_jj
; %bb.0:
	s_load_dwordx8 s[12:19], s[4:5], 0x0
	s_load_dwordx2 s[20:21], s[4:5], 0x24
	s_mov_b32 s7, 0
	s_mul_i32 s1, s6, 0x3000
	s_mul_hi_u32 s0, s6, 0x3000
	s_waitcnt lgkmcnt(0)
	v_pk_mov_b32 v[2:3], s[18:19], s[18:19] op_sel:[0,1]
	v_cmp_ge_u64_e32 vcc, s[6:7], v[2:3]
	s_add_u32 s12, s12, s1
	s_addc_u32 s13, s13, s0
	s_mov_b64 s[0:1], -1
	v_lshlrev_b32_e32 v1, 2, v0
	s_cbranch_vccz .LBB137_52
; %bb.1:
	s_mul_i32 s0, s18, 0xfffff400
	s_add_i32 s16, s0, s16
	v_mov_b32_e32 v2, s13
	v_add_co_u32_e32 v8, vcc, s12, v1
	v_addc_co_u32_e32 v9, vcc, 0, v2, vcc
	v_cmp_gt_u32_e64 s[10:11], s16, v0
                                        ; implicit-def: $vgpr2_vgpr3_vgpr4_vgpr5_vgpr6_vgpr7
	s_and_saveexec_b64 s[0:1], s[10:11]
	s_cbranch_execz .LBB137_3
; %bb.2:
	global_load_dword v2, v[8:9], off
.LBB137_3:
	s_or_b64 exec, exec, s[0:1]
	v_or_b32_e32 v10, 0x200, v0
	v_cmp_gt_u32_e64 s[8:9], s16, v10
	s_and_saveexec_b64 s[0:1], s[8:9]
	s_cbranch_execz .LBB137_5
; %bb.4:
	global_load_dword v3, v[8:9], off offset:2048
.LBB137_5:
	s_or_b64 exec, exec, s[0:1]
	v_or_b32_e32 v10, 0x400, v0
	v_cmp_gt_u32_e64 s[6:7], s16, v10
	s_and_saveexec_b64 s[0:1], s[6:7]
	s_cbranch_execz .LBB137_7
; %bb.6:
	v_add_co_u32_e32 v10, vcc, 0x1000, v8
	v_addc_co_u32_e32 v11, vcc, 0, v9, vcc
	global_load_dword v4, v[10:11], off
.LBB137_7:
	s_or_b64 exec, exec, s[0:1]
	v_or_b32_e32 v10, 0x600, v0
	v_cmp_gt_u32_e64 s[4:5], s16, v10
	s_and_saveexec_b64 s[0:1], s[4:5]
	s_cbranch_execz .LBB137_9
; %bb.8:
	v_add_co_u32_e32 v10, vcc, 0x1000, v8
	v_addc_co_u32_e32 v11, vcc, 0, v9, vcc
	global_load_dword v5, v[10:11], off offset:2048
.LBB137_9:
	s_or_b64 exec, exec, s[0:1]
	v_or_b32_e32 v10, 0x800, v0
	v_cmp_gt_u32_e64 s[2:3], s16, v10
	s_and_saveexec_b64 s[0:1], s[2:3]
	s_cbranch_execz .LBB137_11
; %bb.10:
	v_add_co_u32_e32 v10, vcc, 0x2000, v8
	v_addc_co_u32_e32 v11, vcc, 0, v9, vcc
	global_load_dword v6, v[10:11], off
.LBB137_11:
	s_or_b64 exec, exec, s[0:1]
	v_or_b32_e32 v10, 0xa00, v0
	v_cmp_gt_u32_e64 s[0:1], s16, v10
	s_and_saveexec_b64 s[16:17], s[0:1]
	s_cbranch_execz .LBB137_13
; %bb.12:
	v_add_co_u32_e32 v8, vcc, 0x2000, v8
	v_addc_co_u32_e32 v9, vcc, 0, v9, vcc
	global_load_dword v7, v[8:9], off offset:2048
.LBB137_13:
	s_or_b64 exec, exec, s[16:17]
	v_mov_b32_e32 v8, 0
	s_mov_b64 s[16:17], -1
	ds_write2st64_b32 v1, v8, v8 offset1:8
	ds_write2st64_b32 v1, v8, v8 offset0:16 offset1:24
	s_and_saveexec_b64 s[18:19], s[16:17]
	s_cbranch_execz .LBB137_15
; %bb.14:
	ds_write_b32 v1, v8 offset:8192
.LBB137_15:
	s_or_b64 exec, exec, s[18:19]
	s_and_saveexec_b64 s[18:19], s[16:17]
	s_cbranch_execz .LBB137_17
; %bb.16:
	v_mov_b32_e32 v8, 0
	ds_write_b32 v1, v8 offset:10240
.LBB137_17:
	s_or_b64 exec, exec, s[18:19]
	v_cmp_gt_u32_e64 s[16:17], 7, 6
	v_cmp_gt_u32_e64 s[22:23], 7, 5
	s_and_saveexec_b64 s[18:19], s[22:23]
	s_cbranch_execz .LBB137_19
; %bb.18:
	v_mov_b32_e32 v8, 0
	ds_write_b32 v1, v8 offset:12288
.LBB137_19:
	s_or_b64 exec, exec, s[18:19]
	s_and_saveexec_b64 s[18:19], s[16:17]
	s_cbranch_execz .LBB137_21
; %bb.20:
	v_mov_b32_e32 v8, 0
	ds_write_b32 v1, v8 offset:14336
.LBB137_21:
	s_or_b64 exec, exec, s[18:19]
	s_cmp_gt_u32 s21, s20
	s_cselect_b64 s[16:17], -1, 0
	s_cmp_le_u32 s21, s20
	s_waitcnt lgkmcnt(0)
	s_barrier
	s_cbranch_scc1 .LBB137_46
; %bb.22:
	v_bfrev_b32_e32 v8, 1
	s_waitcnt vmcnt(0)
	v_cmp_lt_i32_e32 vcc, -1, v2
	v_cndmask_b32_e32 v10, -1, v8, vcc
	v_xor_b32_e32 v2, v10, v2
	s_brev_b32 s18, -2
	v_and_b32_e32 v9, 3, v0
	v_cmp_ne_u32_e32 vcc, s18, v2
	v_cndmask_b32_e32 v8, v8, v2, vcc
	v_lshlrev_b32_e32 v2, 2, v9
	s_sub_i32 s22, s21, s20
	v_mov_b32_e32 v9, 1
	s_mov_b32 s23, s22
	v_mov_b32_e32 v10, v2
	s_mov_b32 s24, s20
	s_branch .LBB137_24
.LBB137_23:                             ;   in Loop: Header=BB137_24 Depth=1
	s_or_b64 exec, exec, s[18:19]
	s_add_i32 s24, s24, 8
	s_add_i32 s23, s23, -8
	s_cmp_ge_u32 s24, s21
	v_add_u32_e32 v10, 0x1000, v10
	s_cbranch_scc1 .LBB137_26
.LBB137_24:                             ; =>This Inner Loop Header: Depth=1
	s_and_saveexec_b64 s[18:19], s[10:11]
	s_cbranch_execz .LBB137_23
; %bb.25:                               ;   in Loop: Header=BB137_24 Depth=1
	s_min_u32 s25, s23, 8
	v_lshrrev_b32_e32 v11, s24, v8
	v_bfe_u32 v11, v11, 0, s25
	v_lshl_add_u32 v11, v11, 4, v10
	ds_add_u32 v11, v9
	s_branch .LBB137_23
.LBB137_26:
	v_bfrev_b32_e32 v8, 1
	v_cmp_lt_i32_e32 vcc, -1, v3
	v_cndmask_b32_e32 v9, -1, v8, vcc
	v_xor_b32_e32 v3, v9, v3
	s_brev_b32 s10, -2
	v_cmp_ne_u32_e32 vcc, s10, v3
	v_cndmask_b32_e32 v3, v8, v3, vcc
	v_mov_b32_e32 v8, 1
	s_mov_b32 s18, s22
	v_mov_b32_e32 v9, v2
	s_mov_b32 s19, s20
	s_branch .LBB137_28
.LBB137_27:                             ;   in Loop: Header=BB137_28 Depth=1
	s_or_b64 exec, exec, s[10:11]
	s_add_i32 s19, s19, 8
	s_add_i32 s18, s18, -8
	s_cmp_lt_u32 s19, s21
	v_add_u32_e32 v9, 0x1000, v9
	s_cbranch_scc0 .LBB137_30
.LBB137_28:                             ; =>This Inner Loop Header: Depth=1
	s_and_saveexec_b64 s[10:11], s[8:9]
	s_cbranch_execz .LBB137_27
; %bb.29:                               ;   in Loop: Header=BB137_28 Depth=1
	s_min_u32 s23, s18, 8
	v_lshrrev_b32_e32 v10, s19, v3
	v_bfe_u32 v10, v10, 0, s23
	v_lshl_add_u32 v10, v10, 4, v9
	ds_add_u32 v10, v8
	s_branch .LBB137_27
.LBB137_30:
	v_bfrev_b32_e32 v3, 1
	v_cmp_lt_i32_e32 vcc, -1, v4
	v_cndmask_b32_e32 v8, -1, v3, vcc
	v_xor_b32_e32 v4, v8, v4
	s_brev_b32 s8, -2
	v_cmp_ne_u32_e32 vcc, s8, v4
	v_cndmask_b32_e32 v3, v3, v4, vcc
	v_mov_b32_e32 v4, 1
	s_mov_b32 s10, s22
	v_mov_b32_e32 v8, v2
	s_mov_b32 s11, s20
	s_branch .LBB137_32
.LBB137_31:                             ;   in Loop: Header=BB137_32 Depth=1
	s_or_b64 exec, exec, s[8:9]
	s_add_i32 s11, s11, 8
	s_add_i32 s10, s10, -8
	s_cmp_lt_u32 s11, s21
	v_add_u32_e32 v8, 0x1000, v8
	s_cbranch_scc0 .LBB137_34
.LBB137_32:                             ; =>This Inner Loop Header: Depth=1
	s_and_saveexec_b64 s[8:9], s[6:7]
	s_cbranch_execz .LBB137_31
; %bb.33:                               ;   in Loop: Header=BB137_32 Depth=1
	s_min_u32 s18, s10, 8
	v_lshrrev_b32_e32 v9, s11, v3
	v_bfe_u32 v9, v9, 0, s18
	v_lshl_add_u32 v9, v9, 4, v8
	ds_add_u32 v9, v4
	s_branch .LBB137_31
.LBB137_34:
	;; [unrolled: 30-line block ×4, first 2 shown]
	v_bfrev_b32_e32 v3, 1
	v_cmp_lt_i32_e32 vcc, -1, v7
	v_cndmask_b32_e32 v4, -1, v3, vcc
	v_xor_b32_e32 v4, v4, v7
	s_brev_b32 s2, -2
	v_cmp_ne_u32_e32 vcc, s2, v4
	v_cndmask_b32_e32 v3, v3, v4, vcc
	v_mov_b32_e32 v4, 1
	s_mov_b32 s4, s20
	s_branch .LBB137_44
.LBB137_43:                             ;   in Loop: Header=BB137_44 Depth=1
	s_or_b64 exec, exec, s[2:3]
	s_add_i32 s4, s4, 8
	s_add_i32 s22, s22, -8
	s_cmp_lt_u32 s4, s21
	v_add_u32_e32 v2, 0x1000, v2
	s_cbranch_scc0 .LBB137_46
.LBB137_44:                             ; =>This Inner Loop Header: Depth=1
	s_and_saveexec_b64 s[2:3], s[0:1]
	s_cbranch_execz .LBB137_43
; %bb.45:                               ;   in Loop: Header=BB137_44 Depth=1
	s_min_u32 s5, s22, 8
	v_lshrrev_b32_e32 v5, s4, v3
	v_bfe_u32 v5, v5, 0, s5
	v_lshl_add_u32 v5, v5, 4, v2
	ds_add_u32 v5, v4
	s_branch .LBB137_43
.LBB137_46:
	s_and_b64 vcc, exec, s[16:17]
	s_waitcnt lgkmcnt(0)
	s_barrier
	s_cbranch_vccz .LBB137_51
; %bb.47:
	s_movk_i32 s0, 0x100
	v_cmp_gt_u32_e32 vcc, s0, v0
	s_waitcnt vmcnt(0)
	v_lshlrev_b32_e32 v4, 4, v0
	v_mov_b32_e32 v3, 0
	v_mov_b32_e32 v2, v0
	s_mov_b32 s4, s20
	s_branch .LBB137_49
.LBB137_48:                             ;   in Loop: Header=BB137_49 Depth=1
	s_or_b64 exec, exec, s[2:3]
	s_add_i32 s4, s4, 8
	v_add_u32_e32 v2, 0x100, v2
	s_cmp_lt_u32 s4, s21
	v_add_u32_e32 v4, 0x1000, v4
	s_cbranch_scc0 .LBB137_51
.LBB137_49:                             ; =>This Inner Loop Header: Depth=1
	s_and_saveexec_b64 s[2:3], vcc
	s_cbranch_execz .LBB137_48
; %bb.50:                               ;   in Loop: Header=BB137_49 Depth=1
	ds_read2_b32 v[6:7], v4 offset1:1
	ds_read2_b32 v[8:9], v4 offset0:2 offset1:3
	v_lshlrev_b64 v[10:11], 3, v[2:3]
	v_mov_b32_e32 v5, s15
	s_waitcnt lgkmcnt(1)
	v_add_u32_e32 v6, v7, v6
	s_waitcnt lgkmcnt(0)
	v_add3_u32 v6, v6, v8, v9
	v_add_co_u32_e64 v8, s[0:1], s14, v10
	v_addc_co_u32_e64 v9, s[0:1], v5, v11, s[0:1]
	v_mov_b32_e32 v7, v3
	global_atomic_add_x2 v[8:9], v[6:7], off
	s_branch .LBB137_48
.LBB137_51:
	s_mov_b64 s[0:1], 0
.LBB137_52:
	s_and_b64 vcc, exec, s[0:1]
	s_cbranch_vccz .LBB137_92
; %bb.53:
	s_waitcnt vmcnt(0)
	v_mov_b32_e32 v2, s13
	v_add_co_u32_e32 v5, vcc, s12, v1
	v_addc_co_u32_e32 v6, vcc, 0, v2, vcc
	v_add_co_u32_e32 v2, vcc, 0x1000, v5
	v_addc_co_u32_e32 v3, vcc, 0, v6, vcc
	v_add_co_u32_e32 v10, vcc, 0x2000, v5
	global_load_dword v4, v1, s[12:13] offset:2048
	v_addc_co_u32_e32 v11, vcc, 0, v6, vcc
	global_load_dword v8, v[2:3], off
	global_load_dword v6, v[2:3], off offset:2048
	global_load_dword v7, v[10:11], off
	global_load_dword v9, v1, s[12:13]
	global_load_dword v5, v[10:11], off offset:2048
	s_cmp_eq_u32 s20, 0
	s_cselect_b64 s[0:1], -1, 0
	s_cmp_eq_u32 s21, 32
	s_cselect_b64 s[2:3], -1, 0
	s_and_b64 s[0:1], s[0:1], s[2:3]
	s_mov_b64 s[2:3], -1
	s_and_b64 vcc, exec, s[0:1]
	v_cmp_gt_u32_e64 s[0:1], 7, 4
	v_cmp_gt_u32_e64 s[4:5], 7, 3
	s_cbranch_vccnz .LBB137_81
; %bb.54:
	v_mov_b32_e32 v2, 0
	ds_write2st64_b32 v1, v2, v2 offset1:8
	ds_write2st64_b32 v1, v2, v2 offset0:16 offset1:24
	s_and_saveexec_b64 s[2:3], s[4:5]
	s_cbranch_execz .LBB137_56
; %bb.55:
	ds_write_b32 v1, v2 offset:8192
.LBB137_56:
	s_or_b64 exec, exec, s[2:3]
	s_and_saveexec_b64 s[2:3], s[0:1]
	s_cbranch_execz .LBB137_58
; %bb.57:
	v_mov_b32_e32 v2, 0
	ds_write_b32 v1, v2 offset:10240
.LBB137_58:
	s_or_b64 exec, exec, s[2:3]
	v_cmp_gt_u32_e64 s[0:1], 7, 6
	v_cmp_gt_u32_e64 s[4:5], 7, 5
	s_and_saveexec_b64 s[2:3], s[4:5]
	s_cbranch_execz .LBB137_60
; %bb.59:
	v_mov_b32_e32 v2, 0
	ds_write_b32 v1, v2 offset:12288
.LBB137_60:
	s_or_b64 exec, exec, s[2:3]
	s_and_saveexec_b64 s[2:3], s[0:1]
	s_cbranch_execz .LBB137_62
; %bb.61:
	v_mov_b32_e32 v2, 0
	ds_write_b32 v1, v2 offset:14336
.LBB137_62:
	s_or_b64 exec, exec, s[2:3]
	s_cmp_gt_u32 s21, s20
	s_cselect_b64 s[0:1], -1, 0
	s_and_b64 vcc, exec, s[0:1]
	s_waitcnt lgkmcnt(0)
	s_barrier
	s_cbranch_vccz .LBB137_75
; %bb.63:
	v_bfrev_b32_e32 v3, 1
	s_waitcnt vmcnt(1)
	v_cmp_lt_i32_e32 vcc, -1, v9
	v_cndmask_b32_e32 v10, -1, v3, vcc
	v_and_b32_e32 v2, 3, v0
	v_xor_b32_e32 v10, v10, v9
	s_brev_b32 s2, -2
	v_cmp_ne_u32_e32 vcc, s2, v10
	v_lshlrev_b32_e32 v2, 2, v2
	s_sub_i32 s2, s21, s20
	v_cndmask_b32_e32 v3, v3, v10, vcc
	v_mov_b32_e32 v10, 1
	s_mov_b32 s3, s2
	v_mov_b32_e32 v11, v2
	s_mov_b32 s4, s20
.LBB137_64:                             ; =>This Inner Loop Header: Depth=1
	s_min_u32 s5, s3, 8
	v_lshrrev_b32_e32 v12, s4, v3
	v_bfe_u32 v12, v12, 0, s5
	v_lshl_add_u32 v12, v12, 4, v11
	ds_add_u32 v12, v10
	s_add_i32 s4, s4, 8
	s_add_i32 s3, s3, -8
	s_cmp_ge_u32 s4, s21
	v_add_u32_e32 v11, 0x1000, v11
	s_cbranch_scc0 .LBB137_64
; %bb.65:
	v_bfrev_b32_e32 v3, 1
	v_cmp_lt_i32_e32 vcc, -1, v4
	v_cndmask_b32_e32 v10, -1, v3, vcc
	v_xor_b32_e32 v10, v10, v4
	s_brev_b32 s3, -2
	v_cmp_ne_u32_e32 vcc, s3, v10
	v_cndmask_b32_e32 v3, v3, v10, vcc
	v_mov_b32_e32 v10, 1
	s_mov_b32 s3, s2
	v_mov_b32_e32 v11, v2
	s_mov_b32 s4, s20
.LBB137_66:                             ; =>This Inner Loop Header: Depth=1
	s_min_u32 s5, s3, 8
	v_lshrrev_b32_e32 v12, s4, v3
	v_bfe_u32 v12, v12, 0, s5
	v_lshl_add_u32 v12, v12, 4, v11
	ds_add_u32 v12, v10
	s_add_i32 s4, s4, 8
	s_add_i32 s3, s3, -8
	s_cmp_lt_u32 s4, s21
	v_add_u32_e32 v11, 0x1000, v11
	s_cbranch_scc1 .LBB137_66
; %bb.67:
	v_bfrev_b32_e32 v3, 1
	v_cmp_lt_i32_e32 vcc, -1, v8
	v_cndmask_b32_e32 v10, -1, v3, vcc
	v_xor_b32_e32 v10, v10, v8
	s_brev_b32 s3, -2
	v_cmp_ne_u32_e32 vcc, s3, v10
	v_cndmask_b32_e32 v3, v3, v10, vcc
	v_mov_b32_e32 v10, 1
	s_mov_b32 s3, s2
	v_mov_b32_e32 v11, v2
	s_mov_b32 s4, s20
.LBB137_68:                             ; =>This Inner Loop Header: Depth=1
	s_min_u32 s5, s3, 8
	v_lshrrev_b32_e32 v12, s4, v3
	v_bfe_u32 v12, v12, 0, s5
	v_lshl_add_u32 v12, v12, 4, v11
	ds_add_u32 v12, v10
	s_add_i32 s4, s4, 8
	s_add_i32 s3, s3, -8
	s_cmp_lt_u32 s4, s21
	v_add_u32_e32 v11, 0x1000, v11
	s_cbranch_scc1 .LBB137_68
	;; [unrolled: 23-line block ×4, first 2 shown]
; %bb.73:
	v_bfrev_b32_e32 v3, 1
	s_waitcnt vmcnt(0)
	v_cmp_lt_i32_e32 vcc, -1, v5
	v_cndmask_b32_e32 v10, -1, v3, vcc
	v_xor_b32_e32 v10, v10, v5
	s_brev_b32 s3, -2
	v_cmp_ne_u32_e32 vcc, s3, v10
	v_cndmask_b32_e32 v3, v3, v10, vcc
	v_mov_b32_e32 v10, 1
	s_mov_b32 s3, s20
.LBB137_74:                             ; =>This Inner Loop Header: Depth=1
	s_min_u32 s4, s2, 8
	v_lshrrev_b32_e32 v11, s3, v3
	v_bfe_u32 v11, v11, 0, s4
	v_lshl_add_u32 v11, v11, 4, v2
	ds_add_u32 v11, v10
	s_add_i32 s3, s3, 8
	s_add_i32 s2, s2, -8
	s_cmp_lt_u32 s3, s21
	v_add_u32_e32 v2, 0x1000, v2
	s_cbranch_scc1 .LBB137_74
.LBB137_75:
	s_and_b64 vcc, exec, s[0:1]
	s_waitcnt lgkmcnt(0)
	s_barrier
	s_cbranch_vccz .LBB137_80
; %bb.76:
	s_movk_i32 s0, 0x100
	v_cmp_gt_u32_e32 vcc, s0, v0
	v_lshlrev_b32_e32 v10, 4, v0
	v_mov_b32_e32 v3, 0
	v_mov_b32_e32 v2, v0
	s_branch .LBB137_78
.LBB137_77:                             ;   in Loop: Header=BB137_78 Depth=1
	s_or_b64 exec, exec, s[2:3]
	s_add_i32 s20, s20, 8
	v_add_u32_e32 v2, 0x100, v2
	s_cmp_ge_u32 s20, s21
	v_add_u32_e32 v10, 0x1000, v10
	s_cbranch_scc1 .LBB137_80
.LBB137_78:                             ; =>This Inner Loop Header: Depth=1
	s_and_saveexec_b64 s[2:3], vcc
	s_cbranch_execz .LBB137_77
; %bb.79:                               ;   in Loop: Header=BB137_78 Depth=1
	ds_read2_b32 v[12:13], v10 offset1:1
	ds_read2_b32 v[14:15], v10 offset0:2 offset1:3
	v_lshlrev_b64 v[16:17], 3, v[2:3]
	v_mov_b32_e32 v11, s15
	s_waitcnt lgkmcnt(1)
	v_add_u32_e32 v12, v13, v12
	s_waitcnt lgkmcnt(0)
	v_add3_u32 v12, v12, v14, v15
	v_add_co_u32_e64 v14, s[0:1], s14, v16
	v_addc_co_u32_e64 v15, s[0:1], v11, v17, s[0:1]
	v_mov_b32_e32 v13, v3
	global_atomic_add_x2 v[14:15], v[12:13], off
	s_branch .LBB137_77
.LBB137_80:
	s_mov_b64 s[2:3], 0
.LBB137_81:
	s_and_b64 vcc, exec, s[2:3]
	s_cbranch_vccz .LBB137_92
; %bb.82:
	v_mov_b32_e32 v2, 0
	v_cmp_gt_u32_e64 s[0:1], 7, 4
	v_cmp_gt_u32_e64 s[4:5], 7, 3
	ds_write2st64_b32 v1, v2, v2 offset1:8
	ds_write2st64_b32 v1, v2, v2 offset0:16 offset1:24
	s_and_saveexec_b64 s[2:3], s[4:5]
	s_cbranch_execz .LBB137_84
; %bb.83:
	ds_write_b32 v1, v2 offset:8192
.LBB137_84:
	s_or_b64 exec, exec, s[2:3]
	s_and_saveexec_b64 s[2:3], s[0:1]
	s_cbranch_execz .LBB137_86
; %bb.85:
	v_mov_b32_e32 v2, 0
	ds_write_b32 v1, v2 offset:10240
.LBB137_86:
	s_or_b64 exec, exec, s[2:3]
	v_cmp_gt_u32_e64 s[0:1], 7, 6
	v_cmp_gt_u32_e64 s[4:5], 7, 5
	s_and_saveexec_b64 s[2:3], s[4:5]
	s_cbranch_execz .LBB137_88
; %bb.87:
	v_mov_b32_e32 v2, 0
	ds_write_b32 v1, v2 offset:12288
.LBB137_88:
	s_or_b64 exec, exec, s[2:3]
	s_and_saveexec_b64 s[2:3], s[0:1]
	s_cbranch_execz .LBB137_90
; %bb.89:
	v_mov_b32_e32 v2, 0
	ds_write_b32 v1, v2 offset:14336
.LBB137_90:
	s_or_b64 exec, exec, s[2:3]
	v_bfrev_b32_e32 v1, 1
	s_waitcnt vmcnt(1)
	v_cmp_lt_i32_e32 vcc, -1, v9
	v_cndmask_b32_e32 v2, -1, v1, vcc
	v_cmp_lt_i32_e32 vcc, -1, v4
	v_cndmask_b32_e32 v3, -1, v1, vcc
	v_cmp_lt_i32_e32 vcc, -1, v8
	v_xor_b32_e32 v3, v3, v4
	v_cndmask_b32_e32 v4, -1, v1, vcc
	v_cmp_lt_i32_e32 vcc, -1, v6
	v_xor_b32_e32 v4, v4, v8
	;; [unrolled: 3-line block ×3, first 2 shown]
	v_xor_b32_e32 v6, v8, v6
	v_cndmask_b32_e32 v8, -1, v1, vcc
	s_waitcnt vmcnt(0)
	v_cmp_lt_i32_e32 vcc, -1, v5
	s_brev_b32 s0, -2
	v_xor_b32_e32 v7, v8, v7
	v_cndmask_b32_e32 v8, -1, v1, vcc
	v_cmp_ne_u32_e32 vcc, s0, v2
	v_cndmask_b32_e32 v2, v1, v2, vcc
	v_xor_b32_e32 v5, v8, v5
	v_and_b32_e32 v8, 3, v0
	v_lshlrev_b32_e32 v9, 2, v2
	s_movk_i32 s1, 0x3fc
	v_and_or_b32 v9, v9, s1, v8
	v_lshlrev_b32_e32 v9, 2, v9
	v_mov_b32_e32 v10, 1
	s_waitcnt lgkmcnt(0)
	s_barrier
	ds_add_u32 v9, v10
	v_bfe_u32 v9, v2, 8, 8
	v_lshl_or_b32 v9, v9, 2, v8
	v_lshlrev_b32_e32 v9, 2, v9
	ds_add_u32 v9, v10 offset:4096
	v_bfe_u32 v9, v2, 16, 8
	v_lshl_or_b32 v9, v9, 2, v8
	v_lshrrev_b32_e32 v2, 24, v2
	v_lshlrev_b32_e32 v9, 2, v9
	v_lshl_or_b32 v2, v2, 2, v8
	ds_add_u32 v9, v10 offset:8192
	v_lshlrev_b32_e32 v2, 2, v2
	v_cmp_ne_u32_e32 vcc, s0, v3
	ds_add_u32 v2, v10 offset:12288
	v_cndmask_b32_e32 v2, v1, v3, vcc
	v_lshlrev_b32_e32 v3, 2, v2
	v_and_or_b32 v3, v3, s1, v8
	v_lshlrev_b32_e32 v3, 2, v3
	ds_add_u32 v3, v10
	v_bfe_u32 v3, v2, 8, 8
	v_lshl_or_b32 v3, v3, 2, v8
	v_lshlrev_b32_e32 v3, 2, v3
	ds_add_u32 v3, v10 offset:4096
	v_bfe_u32 v3, v2, 16, 8
	v_lshl_or_b32 v3, v3, 2, v8
	v_lshrrev_b32_e32 v2, 24, v2
	v_lshlrev_b32_e32 v3, 2, v3
	v_lshl_or_b32 v2, v2, 2, v8
	ds_add_u32 v3, v10 offset:8192
	v_lshlrev_b32_e32 v2, 2, v2
	v_cmp_ne_u32_e32 vcc, s0, v4
	ds_add_u32 v2, v10 offset:12288
	v_cndmask_b32_e32 v2, v1, v4, vcc
	v_lshlrev_b32_e32 v3, 2, v2
	v_and_or_b32 v3, v3, s1, v8
	v_lshlrev_b32_e32 v3, 2, v3
	;; [unrolled: 18-line block ×4, first 2 shown]
	ds_add_u32 v3, v10
	v_bfe_u32 v3, v2, 8, 8
	v_lshl_or_b32 v3, v3, 2, v8
	v_lshlrev_b32_e32 v3, 2, v3
	ds_add_u32 v3, v10 offset:4096
	v_bfe_u32 v3, v2, 16, 8
	v_lshl_or_b32 v3, v3, 2, v8
	v_lshrrev_b32_e32 v2, 24, v2
	v_lshlrev_b32_e32 v3, 2, v3
	v_lshl_or_b32 v2, v2, 2, v8
	v_cmp_ne_u32_e32 vcc, s0, v5
	ds_add_u32 v3, v10 offset:8192
	v_lshlrev_b32_e32 v2, 2, v2
	v_cndmask_b32_e32 v1, v1, v5, vcc
	ds_add_u32 v2, v10 offset:12288
	v_lshlrev_b32_e32 v2, 2, v1
	v_and_or_b32 v2, v2, s1, v8
	v_lshlrev_b32_e32 v2, 2, v2
	ds_add_u32 v2, v10
	v_bfe_u32 v2, v1, 8, 8
	v_lshl_or_b32 v2, v2, 2, v8
	v_lshlrev_b32_e32 v2, 2, v2
	ds_add_u32 v2, v10 offset:4096
	v_bfe_u32 v2, v1, 16, 8
	v_lshl_or_b32 v2, v2, 2, v8
	v_lshrrev_b32_e32 v1, 24, v1
	v_lshlrev_b32_e32 v2, 2, v2
	v_lshl_or_b32 v1, v1, 2, v8
	ds_add_u32 v2, v10 offset:8192
	v_lshlrev_b32_e32 v1, 2, v1
	ds_add_u32 v1, v10 offset:12288
	s_movk_i32 s0, 0x100
	v_cmp_gt_u32_e32 vcc, s0, v0
	s_waitcnt lgkmcnt(0)
	s_barrier
	s_and_saveexec_b64 s[0:1], vcc
	s_cbranch_execz .LBB137_92
; %bb.91:
	v_lshlrev_b32_e32 v6, 4, v0
	ds_read2_b32 v[2:3], v6 offset1:1
	ds_read2_b32 v[4:5], v6 offset0:2 offset1:3
	v_lshlrev_b32_e32 v7, 3, v0
	v_mov_b32_e32 v1, 0
	v_add_u32_e32 v8, 0x1000, v6
	s_waitcnt lgkmcnt(1)
	v_add_u32_e32 v0, v3, v2
	s_waitcnt lgkmcnt(0)
	v_add3_u32 v0, v0, v4, v5
	global_atomic_add_x2 v7, v[0:1], s[14:15]
	v_add_u32_e32 v0, 0x1008, v6
	ds_read2_b32 v[2:3], v8 offset1:1
	ds_read2_b32 v[4:5], v0 offset1:1
	v_or_b32_e32 v8, 0x2000, v6
	v_or_b32_e32 v9, 0x2008, v6
	s_waitcnt lgkmcnt(1)
	v_add_u32_e32 v0, v3, v2
	s_waitcnt lgkmcnt(0)
	v_add3_u32 v0, v0, v4, v5
	global_atomic_add_x2 v7, v[0:1], s[14:15] offset:2048
	ds_read2_b32 v[2:3], v8 offset1:1
	ds_read2_b32 v[4:5], v9 offset1:1
	v_or_b32_e32 v8, 0x1000, v7
	v_add_u32_e32 v9, 0x3000, v6
	v_add_u32_e32 v6, 0x3008, v6
	s_waitcnt lgkmcnt(1)
	v_add_u32_e32 v0, v3, v2
	s_waitcnt lgkmcnt(0)
	v_add3_u32 v0, v0, v4, v5
	global_atomic_add_x2 v8, v[0:1], s[14:15]
	ds_read2_b32 v[2:3], v9 offset1:1
	ds_read2_b32 v[4:5], v6 offset1:1
	s_waitcnt lgkmcnt(1)
	v_add_u32_e32 v0, v3, v2
	s_waitcnt lgkmcnt(0)
	v_add3_u32 v0, v0, v4, v5
	v_or_b32_e32 v2, 0x1800, v7
	global_atomic_add_x2 v2, v[0:1], s[14:15]
.LBB137_92:
	s_endpgm
	.section	.rodata,"a",@progbits
	.p2align	6, 0x0
	.amdhsa_kernel _ZN7rocprim17ROCPRIM_304000_NS6detail26onesweep_histograms_kernelINS1_34wrapped_radix_sort_onesweep_configINS0_14default_configEfN2at4cuda3cub6detail10OpaqueTypeILi8EEEEELb0EPKfmNS0_19identity_decomposerEEEvT1_PT2_SG_SG_T3_jj
		.amdhsa_group_segment_fixed_size 16384
		.amdhsa_private_segment_fixed_size 0
		.amdhsa_kernarg_size 44
		.amdhsa_user_sgpr_count 6
		.amdhsa_user_sgpr_private_segment_buffer 1
		.amdhsa_user_sgpr_dispatch_ptr 0
		.amdhsa_user_sgpr_queue_ptr 0
		.amdhsa_user_sgpr_kernarg_segment_ptr 1
		.amdhsa_user_sgpr_dispatch_id 0
		.amdhsa_user_sgpr_flat_scratch_init 0
		.amdhsa_user_sgpr_kernarg_preload_length 0
		.amdhsa_user_sgpr_kernarg_preload_offset 0
		.amdhsa_user_sgpr_private_segment_size 0
		.amdhsa_uses_dynamic_stack 0
		.amdhsa_system_sgpr_private_segment_wavefront_offset 0
		.amdhsa_system_sgpr_workgroup_id_x 1
		.amdhsa_system_sgpr_workgroup_id_y 0
		.amdhsa_system_sgpr_workgroup_id_z 0
		.amdhsa_system_sgpr_workgroup_info 0
		.amdhsa_system_vgpr_workitem_id 0
		.amdhsa_next_free_vgpr 18
		.amdhsa_next_free_sgpr 26
		.amdhsa_accum_offset 20
		.amdhsa_reserve_vcc 1
		.amdhsa_reserve_flat_scratch 0
		.amdhsa_float_round_mode_32 0
		.amdhsa_float_round_mode_16_64 0
		.amdhsa_float_denorm_mode_32 3
		.amdhsa_float_denorm_mode_16_64 3
		.amdhsa_dx10_clamp 1
		.amdhsa_ieee_mode 1
		.amdhsa_fp16_overflow 0
		.amdhsa_tg_split 0
		.amdhsa_exception_fp_ieee_invalid_op 0
		.amdhsa_exception_fp_denorm_src 0
		.amdhsa_exception_fp_ieee_div_zero 0
		.amdhsa_exception_fp_ieee_overflow 0
		.amdhsa_exception_fp_ieee_underflow 0
		.amdhsa_exception_fp_ieee_inexact 0
		.amdhsa_exception_int_div_zero 0
	.end_amdhsa_kernel
	.section	.text._ZN7rocprim17ROCPRIM_304000_NS6detail26onesweep_histograms_kernelINS1_34wrapped_radix_sort_onesweep_configINS0_14default_configEfN2at4cuda3cub6detail10OpaqueTypeILi8EEEEELb0EPKfmNS0_19identity_decomposerEEEvT1_PT2_SG_SG_T3_jj,"axG",@progbits,_ZN7rocprim17ROCPRIM_304000_NS6detail26onesweep_histograms_kernelINS1_34wrapped_radix_sort_onesweep_configINS0_14default_configEfN2at4cuda3cub6detail10OpaqueTypeILi8EEEEELb0EPKfmNS0_19identity_decomposerEEEvT1_PT2_SG_SG_T3_jj,comdat
.Lfunc_end137:
	.size	_ZN7rocprim17ROCPRIM_304000_NS6detail26onesweep_histograms_kernelINS1_34wrapped_radix_sort_onesweep_configINS0_14default_configEfN2at4cuda3cub6detail10OpaqueTypeILi8EEEEELb0EPKfmNS0_19identity_decomposerEEEvT1_PT2_SG_SG_T3_jj, .Lfunc_end137-_ZN7rocprim17ROCPRIM_304000_NS6detail26onesweep_histograms_kernelINS1_34wrapped_radix_sort_onesweep_configINS0_14default_configEfN2at4cuda3cub6detail10OpaqueTypeILi8EEEEELb0EPKfmNS0_19identity_decomposerEEEvT1_PT2_SG_SG_T3_jj
                                        ; -- End function
	.section	.AMDGPU.csdata,"",@progbits
; Kernel info:
; codeLenInByte = 3692
; NumSgprs: 30
; NumVgprs: 18
; NumAgprs: 0
; TotalNumVgprs: 18
; ScratchSize: 0
; MemoryBound: 0
; FloatMode: 240
; IeeeMode: 1
; LDSByteSize: 16384 bytes/workgroup (compile time only)
; SGPRBlocks: 3
; VGPRBlocks: 2
; NumSGPRsForWavesPerEU: 30
; NumVGPRsForWavesPerEU: 18
; AccumOffset: 20
; Occupancy: 8
; WaveLimiterHint : 1
; COMPUTE_PGM_RSRC2:SCRATCH_EN: 0
; COMPUTE_PGM_RSRC2:USER_SGPR: 6
; COMPUTE_PGM_RSRC2:TRAP_HANDLER: 0
; COMPUTE_PGM_RSRC2:TGID_X_EN: 1
; COMPUTE_PGM_RSRC2:TGID_Y_EN: 0
; COMPUTE_PGM_RSRC2:TGID_Z_EN: 0
; COMPUTE_PGM_RSRC2:TIDIG_COMP_CNT: 0
; COMPUTE_PGM_RSRC3_GFX90A:ACCUM_OFFSET: 4
; COMPUTE_PGM_RSRC3_GFX90A:TG_SPLIT: 0
	.section	.text._ZN7rocprim17ROCPRIM_304000_NS6detail25onesweep_iteration_kernelINS1_34wrapped_radix_sort_onesweep_configINS0_14default_configEfN2at4cuda3cub6detail10OpaqueTypeILi8EEEEELb0EPKfPfPKSA_PSA_mNS0_19identity_decomposerEEEvT1_T2_T3_T4_jPT5_SO_PNS1_23onesweep_lookback_stateET6_jjj,"axG",@progbits,_ZN7rocprim17ROCPRIM_304000_NS6detail25onesweep_iteration_kernelINS1_34wrapped_radix_sort_onesweep_configINS0_14default_configEfN2at4cuda3cub6detail10OpaqueTypeILi8EEEEELb0EPKfPfPKSA_PSA_mNS0_19identity_decomposerEEEvT1_T2_T3_T4_jPT5_SO_PNS1_23onesweep_lookback_stateET6_jjj,comdat
	.protected	_ZN7rocprim17ROCPRIM_304000_NS6detail25onesweep_iteration_kernelINS1_34wrapped_radix_sort_onesweep_configINS0_14default_configEfN2at4cuda3cub6detail10OpaqueTypeILi8EEEEELb0EPKfPfPKSA_PSA_mNS0_19identity_decomposerEEEvT1_T2_T3_T4_jPT5_SO_PNS1_23onesweep_lookback_stateET6_jjj ; -- Begin function _ZN7rocprim17ROCPRIM_304000_NS6detail25onesweep_iteration_kernelINS1_34wrapped_radix_sort_onesweep_configINS0_14default_configEfN2at4cuda3cub6detail10OpaqueTypeILi8EEEEELb0EPKfPfPKSA_PSA_mNS0_19identity_decomposerEEEvT1_T2_T3_T4_jPT5_SO_PNS1_23onesweep_lookback_stateET6_jjj
	.globl	_ZN7rocprim17ROCPRIM_304000_NS6detail25onesweep_iteration_kernelINS1_34wrapped_radix_sort_onesweep_configINS0_14default_configEfN2at4cuda3cub6detail10OpaqueTypeILi8EEEEELb0EPKfPfPKSA_PSA_mNS0_19identity_decomposerEEEvT1_T2_T3_T4_jPT5_SO_PNS1_23onesweep_lookback_stateET6_jjj
	.p2align	8
	.type	_ZN7rocprim17ROCPRIM_304000_NS6detail25onesweep_iteration_kernelINS1_34wrapped_radix_sort_onesweep_configINS0_14default_configEfN2at4cuda3cub6detail10OpaqueTypeILi8EEEEELb0EPKfPfPKSA_PSA_mNS0_19identity_decomposerEEEvT1_T2_T3_T4_jPT5_SO_PNS1_23onesweep_lookback_stateET6_jjj,@function
_ZN7rocprim17ROCPRIM_304000_NS6detail25onesweep_iteration_kernelINS1_34wrapped_radix_sort_onesweep_configINS0_14default_configEfN2at4cuda3cub6detail10OpaqueTypeILi8EEEEELb0EPKfPfPKSA_PSA_mNS0_19identity_decomposerEEEvT1_T2_T3_T4_jPT5_SO_PNS1_23onesweep_lookback_stateET6_jjj: ; @_ZN7rocprim17ROCPRIM_304000_NS6detail25onesweep_iteration_kernelINS1_34wrapped_radix_sort_onesweep_configINS0_14default_configEfN2at4cuda3cub6detail10OpaqueTypeILi8EEEEELb0EPKfPfPKSA_PSA_mNS0_19identity_decomposerEEEvT1_T2_T3_T4_jPT5_SO_PNS1_23onesweep_lookback_stateET6_jjj
; %bb.0:
	s_load_dwordx4 s[48:51], s[4:5], 0x44
	s_load_dwordx8 s[36:43], s[4:5], 0x0
	s_load_dwordx4 s[44:47], s[4:5], 0x28
	s_load_dwordx2 s[34:35], s[4:5], 0x38
	s_mul_i32 s30, s6, 0xc00
	s_waitcnt lgkmcnt(0)
	s_cmp_ge_u32 s6, s50
	v_mbcnt_lo_u32_b32 v1, -1, 0
	s_cbranch_scc0 .LBB138_86
; %bb.1:
	s_load_dword s2, s[4:5], 0x20
	s_mulk_i32 s50, 0xf400
	s_mov_b32 s31, 0
	s_lshl_b64 s[0:1], s[30:31], 2
	v_and_b32_e32 v8, 0x3ff, v0
	s_waitcnt lgkmcnt(0)
	s_add_i32 s50, s50, s2
	s_add_u32 s0, s36, s0
	v_mbcnt_hi_u32_b32 v14, -1, v1
	s_addc_u32 s1, s37, s1
	v_and_b32_e32 v15, 0x1c0, v8
	v_lshlrev_b32_e32 v2, 2, v14
	v_mul_u32_u24_e32 v9, 6, v15
	v_mov_b32_e32 v3, s1
	v_add_co_u32_e32 v2, vcc, s0, v2
	v_addc_co_u32_e32 v3, vcc, 0, v3, vcc
	v_lshlrev_b32_e32 v4, 2, v9
	s_brev_b32 s8, -2
	v_add_co_u32_e32 v10, vcc, v2, v4
	s_mov_b32 s9, s8
	v_addc_co_u32_e32 v11, vcc, 0, v3, vcc
	v_or_b32_e32 v12, v14, v9
	s_mov_b32 s10, s8
	s_mov_b32 s11, s8
	s_mov_b32 s12, s8
	s_mov_b32 s13, s8
	v_pk_mov_b32 v[2:3], s[8:9], s[8:9] op_sel:[0,1]
	v_cmp_gt_u32_e32 vcc, s50, v12
	v_pk_mov_b32 v[4:5], s[10:11], s[10:11] op_sel:[0,1]
	v_pk_mov_b32 v[6:7], s[12:13], s[12:13] op_sel:[0,1]
	s_and_saveexec_b64 s[0:1], vcc
	s_cbranch_execz .LBB138_3
; %bb.2:
	global_load_dword v2, v[10:11], off
	v_bfrev_b32_e32 v3, -2
	v_mov_b32_e32 v4, v3
	v_mov_b32_e32 v5, v3
	;; [unrolled: 1-line block ×4, first 2 shown]
.LBB138_3:
	s_or_b64 exec, exec, s[0:1]
	v_add_u32_e32 v13, 64, v12
	v_cmp_gt_u32_e64 s[0:1], s50, v13
	s_and_saveexec_b64 s[2:3], s[0:1]
	s_cbranch_execz .LBB138_5
; %bb.4:
	global_load_dword v3, v[10:11], off offset:256
.LBB138_5:
	s_or_b64 exec, exec, s[2:3]
	v_add_u32_e32 v13, 0x80, v12
	v_cmp_gt_u32_e64 s[2:3], s50, v13
	s_and_saveexec_b64 s[8:9], s[2:3]
	s_cbranch_execz .LBB138_7
; %bb.6:
	global_load_dword v4, v[10:11], off offset:512
.LBB138_7:
	s_or_b64 exec, exec, s[8:9]
	v_add_u32_e32 v13, 0xc0, v12
	v_cmp_gt_u32_e64 s[26:27], s50, v13
	s_and_saveexec_b64 s[8:9], s[26:27]
	s_cbranch_execz .LBB138_9
; %bb.8:
	global_load_dword v5, v[10:11], off offset:768
.LBB138_9:
	s_or_b64 exec, exec, s[8:9]
	v_add_u32_e32 v13, 0x100, v12
	v_cmp_gt_u32_e64 s[8:9], s50, v13
	s_and_saveexec_b64 s[10:11], s[8:9]
	s_cbranch_execz .LBB138_11
; %bb.10:
	global_load_dword v6, v[10:11], off offset:1024
.LBB138_11:
	s_or_b64 exec, exec, s[10:11]
	v_add_u32_e32 v12, 0x140, v12
	v_cmp_gt_u32_e64 s[10:11], s50, v12
	s_and_saveexec_b64 s[12:13], s[10:11]
	s_cbranch_execz .LBB138_13
; %bb.12:
	global_load_dword v7, v[10:11], off offset:1280
.LBB138_13:
	s_or_b64 exec, exec, s[12:13]
	s_load_dword s12, s[4:5], 0x5c
	s_load_dword s7, s[4:5], 0x50
	s_add_u32 s13, s4, 0x50
	s_addc_u32 s14, s5, 0
	v_mov_b32_e32 v10, 0
	s_waitcnt lgkmcnt(0)
	s_lshr_b32 s15, s12, 16
	s_cmp_lt_u32 s6, s7
	s_cselect_b32 s12, 12, 18
	s_add_u32 s12, s13, s12
	s_addc_u32 s13, s14, 0
	global_load_ushort v12, v10, s[12:13]
	v_bfrev_b32_e32 v20, 1
	s_waitcnt vmcnt(1)
	v_cmp_lt_i32_e64 s[12:13], -1, v2
	v_mul_u32_u24_e32 v16, 5, v8
	v_cndmask_b32_e64 v18, -1, v20, s[12:13]
	s_brev_b32 s16, -2
	v_lshlrev_b32_e32 v17, 2, v16
	v_xor_b32_e32 v16, v18, v2
	v_cmp_ne_u32_e64 s[12:13], s16, v16
	v_cndmask_b32_e64 v2, v20, v16, s[12:13]
	s_lshl_b32 s12, -1, s49
	v_lshrrev_b32_e32 v2, s48, v2
	s_not_b32 s33, s12
	v_and_b32_e32 v2, s33, v2
	v_and_b32_e32 v19, 1, v2
	v_bfe_u32 v11, v0, 10, 10
	v_bfe_u32 v13, v0, 20, 10
	v_add_co_u32_e64 v21, s[12:13], -1, v19
	v_mad_u32_u24 v13, v13, s15, v11
	v_lshlrev_b32_e32 v11, 30, v2
	v_addc_co_u32_e64 v22, s[12:13], 0, -1, s[12:13]
	v_cmp_ne_u32_e64 s[12:13], 0, v19
	v_cmp_gt_i64_e64 s[14:15], 0, v[10:11]
	v_not_b32_e32 v19, v11
	v_lshlrev_b32_e32 v11, 29, v2
	v_xor_b32_e32 v22, s13, v22
	v_xor_b32_e32 v21, s12, v21
	v_ashrrev_i32_e32 v19, 31, v19
	v_cmp_gt_i64_e64 s[12:13], 0, v[10:11]
	v_not_b32_e32 v23, v11
	v_lshlrev_b32_e32 v11, 28, v2
	v_and_b32_e32 v22, exec_hi, v22
	v_and_b32_e32 v21, exec_lo, v21
	v_xor_b32_e32 v24, s15, v19
	v_xor_b32_e32 v19, s14, v19
	v_ashrrev_i32_e32 v23, 31, v23
	v_cmp_gt_i64_e64 s[14:15], 0, v[10:11]
	v_not_b32_e32 v25, v11
	v_lshlrev_b32_e32 v11, 27, v2
	v_and_b32_e32 v22, v22, v24
	v_and_b32_e32 v19, v21, v19
	v_xor_b32_e32 v21, s13, v23
	v_xor_b32_e32 v23, s12, v23
	v_ashrrev_i32_e32 v24, 31, v25
	v_cmp_gt_i64_e64 s[12:13], 0, v[10:11]
	v_not_b32_e32 v25, v11
	v_lshlrev_b32_e32 v11, 26, v2
	v_and_b32_e32 v21, v22, v21
	v_and_b32_e32 v19, v19, v23
	;; [unrolled: 8-line block ×3, first 2 shown]
	v_xor_b32_e32 v22, s13, v24
	v_xor_b32_e32 v23, s12, v24
	v_ashrrev_i32_e32 v24, 31, v25
	v_cmp_gt_i64_e64 s[12:13], 0, v[10:11]
	v_not_b32_e32 v11, v11
	v_and_b32_e32 v21, v21, v22
	v_and_b32_e32 v19, v19, v23
	v_xor_b32_e32 v22, s15, v24
	v_xor_b32_e32 v23, s14, v24
	v_ashrrev_i32_e32 v11, 31, v11
	v_lshl_add_u32 v18, v2, 3, v2
	v_and_b32_e32 v22, v21, v22
	v_and_b32_e32 v23, v19, v23
	v_xor_b32_e32 v24, s13, v11
	v_xor_b32_e32 v11, s12, v11
	ds_write2_b32 v17, v10, v10 offset0:8 offset1:9
	ds_write2_b32 v17, v10, v10 offset0:10 offset1:11
	ds_write_b32 v17, v10 offset:48
	s_waitcnt lgkmcnt(0)
	s_barrier
	s_waitcnt lgkmcnt(0)
	; wave barrier
	s_waitcnt vmcnt(0)
	v_mad_u64_u32 v[12:13], s[14:15], v13, v12, v[8:9]
	v_lshrrev_b32_e32 v21, 6, v12
	v_add_lshl_u32 v19, v18, v21, 2
	v_and_b32_e32 v18, v23, v11
	v_lshlrev_b32_e32 v11, 24, v2
	v_not_b32_e32 v2, v11
	v_cmp_gt_i64_e64 s[12:13], 0, v[10:11]
	v_ashrrev_i32_e32 v2, 31, v2
	v_and_b32_e32 v12, v22, v24
	v_xor_b32_e32 v11, s13, v2
	v_xor_b32_e32 v2, s12, v2
	v_and_b32_e32 v13, v12, v11
	v_and_b32_e32 v12, v18, v2
	v_mbcnt_lo_u32_b32 v2, v12, 0
	v_mbcnt_hi_u32_b32 v18, v13, v2
	v_cmp_eq_u32_e64 s[12:13], 0, v18
	v_cmp_ne_u64_e64 s[14:15], 0, v[12:13]
	s_and_b64 s[14:15], s[14:15], s[12:13]
	s_and_saveexec_b64 s[12:13], s[14:15]
	s_cbranch_execz .LBB138_15
; %bb.14:
	v_bcnt_u32_b32 v2, v12, 0
	v_bcnt_u32_b32 v2, v13, v2
	ds_write_b32 v19, v2 offset:32
.LBB138_15:
	s_or_b64 exec, exec, s[12:13]
	v_cmp_lt_i32_e64 s[12:13], -1, v3
	v_cndmask_b32_e64 v2, -1, v20, s[12:13]
	v_xor_b32_e32 v12, v2, v3
	v_cmp_ne_u32_e64 s[12:13], s16, v12
	v_cndmask_b32_e64 v2, v20, v12, s[12:13]
	v_lshrrev_b32_e32 v2, s48, v2
	v_and_b32_e32 v2, s33, v2
	v_lshl_add_u32 v3, v2, 3, v2
	v_add_lshl_u32 v20, v3, v21, 2
	v_and_b32_e32 v3, 1, v2
	v_add_co_u32_e64 v11, s[12:13], -1, v3
	v_addc_co_u32_e64 v22, s[12:13], 0, -1, s[12:13]
	v_cmp_ne_u32_e64 s[12:13], 0, v3
	v_xor_b32_e32 v11, s12, v11
	v_xor_b32_e32 v3, s13, v22
	v_and_b32_e32 v22, exec_lo, v11
	v_lshlrev_b32_e32 v11, 30, v2
	v_cmp_gt_i64_e64 s[12:13], 0, v[10:11]
	v_not_b32_e32 v11, v11
	v_ashrrev_i32_e32 v11, 31, v11
	v_xor_b32_e32 v23, s13, v11
	v_xor_b32_e32 v11, s12, v11
	v_and_b32_e32 v22, v22, v11
	v_lshlrev_b32_e32 v11, 29, v2
	v_cmp_gt_i64_e64 s[12:13], 0, v[10:11]
	v_not_b32_e32 v11, v11
	v_and_b32_e32 v3, exec_hi, v3
	v_ashrrev_i32_e32 v11, 31, v11
	v_and_b32_e32 v3, v3, v23
	v_xor_b32_e32 v23, s13, v11
	v_xor_b32_e32 v11, s12, v11
	v_and_b32_e32 v22, v22, v11
	v_lshlrev_b32_e32 v11, 28, v2
	v_cmp_gt_i64_e64 s[12:13], 0, v[10:11]
	v_not_b32_e32 v11, v11
	v_ashrrev_i32_e32 v11, 31, v11
	v_and_b32_e32 v3, v3, v23
	v_xor_b32_e32 v23, s13, v11
	v_xor_b32_e32 v11, s12, v11
	v_and_b32_e32 v22, v22, v11
	v_lshlrev_b32_e32 v11, 27, v2
	v_cmp_gt_i64_e64 s[12:13], 0, v[10:11]
	v_not_b32_e32 v11, v11
	;; [unrolled: 8-line block ×4, first 2 shown]
	v_ashrrev_i32_e32 v11, 31, v11
	v_and_b32_e32 v3, v3, v23
	v_xor_b32_e32 v23, s13, v11
	v_xor_b32_e32 v11, s12, v11
	v_and_b32_e32 v22, v22, v11
	v_lshlrev_b32_e32 v11, 24, v2
	v_not_b32_e32 v2, v11
	v_cmp_gt_i64_e64 s[12:13], 0, v[10:11]
	v_ashrrev_i32_e32 v2, 31, v2
	v_xor_b32_e32 v10, s13, v2
	v_xor_b32_e32 v2, s12, v2
	; wave barrier
	ds_read_b32 v13, v20 offset:32
	v_and_b32_e32 v3, v3, v23
	v_and_b32_e32 v2, v22, v2
	;; [unrolled: 1-line block ×3, first 2 shown]
	v_mbcnt_lo_u32_b32 v10, v2, 0
	v_mbcnt_hi_u32_b32 v22, v3, v10
	v_cmp_eq_u32_e64 s[12:13], 0, v22
	v_cmp_ne_u64_e64 s[14:15], 0, v[2:3]
	s_and_b64 s[14:15], s[14:15], s[12:13]
	; wave barrier
	s_and_saveexec_b64 s[12:13], s[14:15]
	s_cbranch_execz .LBB138_17
; %bb.16:
	v_bcnt_u32_b32 v2, v2, 0
	v_bcnt_u32_b32 v2, v3, v2
	s_waitcnt lgkmcnt(0)
	v_add_u32_e32 v2, v13, v2
	ds_write_b32 v20, v2 offset:32
.LBB138_17:
	s_or_b64 exec, exec, s[12:13]
	v_bfrev_b32_e32 v27, 1
	v_cmp_lt_i32_e64 s[12:13], -1, v4
	v_cndmask_b32_e64 v2, -1, v27, s[12:13]
	v_xor_b32_e32 v23, v2, v4
	v_cmp_ne_u32_e64 s[12:13], s16, v23
	v_cndmask_b32_e64 v2, v27, v23, s[12:13]
	v_lshrrev_b32_e32 v2, s48, v2
	v_and_b32_e32 v4, s33, v2
	v_and_b32_e32 v3, 1, v4
	v_add_co_u32_e64 v10, s[12:13], -1, v3
	v_addc_co_u32_e64 v11, s[12:13], 0, -1, s[12:13]
	v_cmp_ne_u32_e64 s[12:13], 0, v3
	v_lshl_add_u32 v2, v4, 3, v4
	v_xor_b32_e32 v3, s13, v11
	v_add_lshl_u32 v25, v2, v21, 2
	v_mov_b32_e32 v2, 0
	v_and_b32_e32 v11, exec_hi, v3
	v_lshlrev_b32_e32 v3, 30, v4
	v_xor_b32_e32 v10, s12, v10
	v_cmp_gt_i64_e64 s[12:13], 0, v[2:3]
	v_not_b32_e32 v3, v3
	v_ashrrev_i32_e32 v3, 31, v3
	v_and_b32_e32 v10, exec_lo, v10
	v_xor_b32_e32 v26, s13, v3
	v_xor_b32_e32 v3, s12, v3
	v_and_b32_e32 v10, v10, v3
	v_lshlrev_b32_e32 v3, 29, v4
	v_cmp_gt_i64_e64 s[12:13], 0, v[2:3]
	v_not_b32_e32 v3, v3
	v_ashrrev_i32_e32 v3, 31, v3
	v_and_b32_e32 v11, v11, v26
	v_xor_b32_e32 v26, s13, v3
	v_xor_b32_e32 v3, s12, v3
	v_and_b32_e32 v10, v10, v3
	v_lshlrev_b32_e32 v3, 28, v4
	v_cmp_gt_i64_e64 s[12:13], 0, v[2:3]
	v_not_b32_e32 v3, v3
	v_ashrrev_i32_e32 v3, 31, v3
	v_and_b32_e32 v11, v11, v26
	;; [unrolled: 8-line block ×5, first 2 shown]
	v_xor_b32_e32 v26, s13, v3
	v_xor_b32_e32 v3, s12, v3
	v_and_b32_e32 v10, v10, v3
	v_lshlrev_b32_e32 v3, 24, v4
	v_cmp_gt_i64_e64 s[12:13], 0, v[2:3]
	v_not_b32_e32 v3, v3
	v_ashrrev_i32_e32 v3, 31, v3
	v_xor_b32_e32 v4, s13, v3
	v_xor_b32_e32 v3, s12, v3
	; wave barrier
	ds_read_b32 v24, v25 offset:32
	v_and_b32_e32 v11, v11, v26
	v_and_b32_e32 v10, v10, v3
	;; [unrolled: 1-line block ×3, first 2 shown]
	v_mbcnt_lo_u32_b32 v3, v10, 0
	v_mbcnt_hi_u32_b32 v26, v11, v3
	v_cmp_eq_u32_e64 s[12:13], 0, v26
	v_cmp_ne_u64_e64 s[14:15], 0, v[10:11]
	s_and_b64 s[14:15], s[14:15], s[12:13]
	; wave barrier
	s_and_saveexec_b64 s[12:13], s[14:15]
	s_cbranch_execz .LBB138_19
; %bb.18:
	v_bcnt_u32_b32 v3, v10, 0
	v_bcnt_u32_b32 v3, v11, v3
	s_waitcnt lgkmcnt(0)
	v_add_u32_e32 v3, v24, v3
	ds_write_b32 v25, v3 offset:32
.LBB138_19:
	s_or_b64 exec, exec, s[12:13]
	v_cmp_lt_i32_e64 s[12:13], -1, v5
	v_cndmask_b32_e64 v3, -1, v27, s[12:13]
	v_xor_b32_e32 v10, v3, v5
	v_cmp_ne_u32_e64 s[12:13], s16, v10
	v_cndmask_b32_e64 v3, v27, v10, s[12:13]
	v_lshrrev_b32_e32 v3, s48, v3
	v_and_b32_e32 v4, s33, v3
	v_lshl_add_u32 v3, v4, 3, v4
	v_add_lshl_u32 v27, v3, v21, 2
	v_and_b32_e32 v3, 1, v4
	v_add_co_u32_e64 v5, s[12:13], -1, v3
	v_addc_co_u32_e64 v28, s[12:13], 0, -1, s[12:13]
	v_cmp_ne_u32_e64 s[12:13], 0, v3
	v_xor_b32_e32 v3, s13, v28
	v_and_b32_e32 v28, exec_hi, v3
	v_lshlrev_b32_e32 v3, 30, v4
	v_xor_b32_e32 v5, s12, v5
	v_cmp_gt_i64_e64 s[12:13], 0, v[2:3]
	v_not_b32_e32 v3, v3
	v_ashrrev_i32_e32 v3, 31, v3
	v_and_b32_e32 v5, exec_lo, v5
	v_xor_b32_e32 v29, s13, v3
	v_xor_b32_e32 v3, s12, v3
	v_and_b32_e32 v5, v5, v3
	v_lshlrev_b32_e32 v3, 29, v4
	v_cmp_gt_i64_e64 s[12:13], 0, v[2:3]
	v_not_b32_e32 v3, v3
	v_ashrrev_i32_e32 v3, 31, v3
	v_and_b32_e32 v28, v28, v29
	v_xor_b32_e32 v29, s13, v3
	v_xor_b32_e32 v3, s12, v3
	v_and_b32_e32 v5, v5, v3
	v_lshlrev_b32_e32 v3, 28, v4
	v_cmp_gt_i64_e64 s[12:13], 0, v[2:3]
	v_not_b32_e32 v3, v3
	v_ashrrev_i32_e32 v3, 31, v3
	v_and_b32_e32 v28, v28, v29
	;; [unrolled: 8-line block ×5, first 2 shown]
	v_xor_b32_e32 v29, s13, v3
	v_xor_b32_e32 v3, s12, v3
	v_and_b32_e32 v5, v5, v3
	v_lshlrev_b32_e32 v3, 24, v4
	v_cmp_gt_i64_e64 s[12:13], 0, v[2:3]
	v_not_b32_e32 v2, v3
	v_ashrrev_i32_e32 v2, 31, v2
	v_xor_b32_e32 v3, s13, v2
	v_xor_b32_e32 v2, s12, v2
	; wave barrier
	ds_read_b32 v11, v27 offset:32
	v_and_b32_e32 v28, v28, v29
	v_and_b32_e32 v2, v5, v2
	;; [unrolled: 1-line block ×3, first 2 shown]
	v_mbcnt_lo_u32_b32 v4, v2, 0
	v_mbcnt_hi_u32_b32 v29, v3, v4
	v_cmp_eq_u32_e64 s[12:13], 0, v29
	v_cmp_ne_u64_e64 s[14:15], 0, v[2:3]
	s_and_b64 s[14:15], s[14:15], s[12:13]
	; wave barrier
	s_and_saveexec_b64 s[12:13], s[14:15]
	s_cbranch_execz .LBB138_21
; %bb.20:
	v_bcnt_u32_b32 v2, v2, 0
	v_bcnt_u32_b32 v2, v3, v2
	s_waitcnt lgkmcnt(0)
	v_add_u32_e32 v2, v11, v2
	ds_write_b32 v27, v2 offset:32
.LBB138_21:
	s_or_b64 exec, exec, s[12:13]
	v_bfrev_b32_e32 v32, 1
	v_cmp_lt_i32_e64 s[12:13], -1, v6
	v_cndmask_b32_e64 v2, -1, v32, s[12:13]
	v_xor_b32_e32 v6, v2, v6
	v_cmp_ne_u32_e64 s[12:13], s16, v6
	v_cndmask_b32_e64 v2, v32, v6, s[12:13]
	v_lshrrev_b32_e32 v2, s48, v2
	v_and_b32_e32 v4, s33, v2
	v_and_b32_e32 v3, 1, v4
	v_add_co_u32_e64 v5, s[12:13], -1, v3
	v_addc_co_u32_e64 v31, s[12:13], 0, -1, s[12:13]
	v_cmp_ne_u32_e64 s[12:13], 0, v3
	v_lshl_add_u32 v2, v4, 3, v4
	v_xor_b32_e32 v3, s13, v31
	v_add_lshl_u32 v28, v2, v21, 2
	v_mov_b32_e32 v2, 0
	v_and_b32_e32 v31, exec_hi, v3
	v_lshlrev_b32_e32 v3, 30, v4
	v_xor_b32_e32 v5, s12, v5
	v_cmp_gt_i64_e64 s[12:13], 0, v[2:3]
	v_not_b32_e32 v3, v3
	v_ashrrev_i32_e32 v3, 31, v3
	v_and_b32_e32 v5, exec_lo, v5
	v_xor_b32_e32 v33, s13, v3
	v_xor_b32_e32 v3, s12, v3
	v_and_b32_e32 v5, v5, v3
	v_lshlrev_b32_e32 v3, 29, v4
	v_cmp_gt_i64_e64 s[12:13], 0, v[2:3]
	v_not_b32_e32 v3, v3
	v_ashrrev_i32_e32 v3, 31, v3
	v_and_b32_e32 v31, v31, v33
	v_xor_b32_e32 v33, s13, v3
	v_xor_b32_e32 v3, s12, v3
	v_and_b32_e32 v5, v5, v3
	v_lshlrev_b32_e32 v3, 28, v4
	v_cmp_gt_i64_e64 s[12:13], 0, v[2:3]
	v_not_b32_e32 v3, v3
	v_ashrrev_i32_e32 v3, 31, v3
	v_and_b32_e32 v31, v31, v33
	;; [unrolled: 8-line block ×5, first 2 shown]
	v_xor_b32_e32 v33, s13, v3
	v_xor_b32_e32 v3, s12, v3
	v_and_b32_e32 v31, v31, v33
	v_and_b32_e32 v33, v5, v3
	v_lshlrev_b32_e32 v3, 24, v4
	v_cmp_gt_i64_e64 s[12:13], 0, v[2:3]
	v_not_b32_e32 v3, v3
	v_ashrrev_i32_e32 v3, 31, v3
	v_xor_b32_e32 v4, s13, v3
	v_xor_b32_e32 v3, s12, v3
	; wave barrier
	ds_read_b32 v30, v28 offset:32
	v_and_b32_e32 v5, v31, v4
	v_and_b32_e32 v4, v33, v3
	v_mbcnt_lo_u32_b32 v3, v4, 0
	v_mbcnt_hi_u32_b32 v31, v5, v3
	v_cmp_eq_u32_e64 s[12:13], 0, v31
	v_cmp_ne_u64_e64 s[14:15], 0, v[4:5]
	s_and_b64 s[14:15], s[14:15], s[12:13]
	; wave barrier
	s_and_saveexec_b64 s[12:13], s[14:15]
	s_cbranch_execz .LBB138_23
; %bb.22:
	v_bcnt_u32_b32 v3, v4, 0
	v_bcnt_u32_b32 v3, v5, v3
	s_waitcnt lgkmcnt(0)
	v_add_u32_e32 v3, v30, v3
	ds_write_b32 v28, v3 offset:32
.LBB138_23:
	s_or_b64 exec, exec, s[12:13]
	v_cmp_lt_i32_e64 s[12:13], -1, v7
	v_cndmask_b32_e64 v3, -1, v32, s[12:13]
	v_xor_b32_e32 v7, v3, v7
	v_cmp_ne_u32_e64 s[12:13], s16, v7
	v_cndmask_b32_e64 v3, v32, v7, s[12:13]
	v_lshrrev_b32_e32 v3, s48, v3
	v_and_b32_e32 v4, s33, v3
	v_lshl_add_u32 v3, v4, 3, v4
	v_add_lshl_u32 v34, v3, v21, 2
	v_and_b32_e32 v3, 1, v4
	v_add_co_u32_e64 v5, s[12:13], -1, v3
	v_addc_co_u32_e64 v21, s[12:13], 0, -1, s[12:13]
	v_cmp_ne_u32_e64 s[12:13], 0, v3
	v_xor_b32_e32 v3, s13, v21
	v_and_b32_e32 v21, exec_hi, v3
	v_lshlrev_b32_e32 v3, 30, v4
	v_xor_b32_e32 v5, s12, v5
	v_cmp_gt_i64_e64 s[12:13], 0, v[2:3]
	v_not_b32_e32 v3, v3
	v_ashrrev_i32_e32 v3, 31, v3
	v_and_b32_e32 v5, exec_lo, v5
	v_xor_b32_e32 v35, s13, v3
	v_xor_b32_e32 v3, s12, v3
	v_and_b32_e32 v5, v5, v3
	v_lshlrev_b32_e32 v3, 29, v4
	v_cmp_gt_i64_e64 s[12:13], 0, v[2:3]
	v_not_b32_e32 v3, v3
	v_ashrrev_i32_e32 v3, 31, v3
	v_and_b32_e32 v21, v21, v35
	v_xor_b32_e32 v35, s13, v3
	v_xor_b32_e32 v3, s12, v3
	v_and_b32_e32 v5, v5, v3
	v_lshlrev_b32_e32 v3, 28, v4
	v_cmp_gt_i64_e64 s[12:13], 0, v[2:3]
	v_not_b32_e32 v3, v3
	v_ashrrev_i32_e32 v3, 31, v3
	v_and_b32_e32 v21, v21, v35
	;; [unrolled: 8-line block ×5, first 2 shown]
	v_xor_b32_e32 v35, s13, v3
	v_xor_b32_e32 v3, s12, v3
	v_and_b32_e32 v5, v5, v3
	v_lshlrev_b32_e32 v3, 24, v4
	v_cmp_gt_i64_e64 s[12:13], 0, v[2:3]
	v_not_b32_e32 v2, v3
	v_ashrrev_i32_e32 v2, 31, v2
	v_xor_b32_e32 v3, s13, v2
	v_xor_b32_e32 v2, s12, v2
	; wave barrier
	ds_read_b32 v32, v34 offset:32
	v_and_b32_e32 v21, v21, v35
	v_and_b32_e32 v2, v5, v2
	;; [unrolled: 1-line block ×3, first 2 shown]
	v_mbcnt_lo_u32_b32 v4, v2, 0
	v_mbcnt_hi_u32_b32 v35, v3, v4
	v_cmp_eq_u32_e64 s[12:13], 0, v35
	v_cmp_ne_u64_e64 s[14:15], 0, v[2:3]
	v_add_u32_e32 v33, 32, v17
	s_and_b64 s[14:15], s[14:15], s[12:13]
	; wave barrier
	s_and_saveexec_b64 s[12:13], s[14:15]
	s_cbranch_execz .LBB138_25
; %bb.24:
	v_bcnt_u32_b32 v2, v2, 0
	v_bcnt_u32_b32 v2, v3, v2
	s_waitcnt lgkmcnt(0)
	v_add_u32_e32 v2, v32, v2
	ds_write_b32 v34, v2 offset:32
.LBB138_25:
	s_or_b64 exec, exec, s[12:13]
	; wave barrier
	s_waitcnt lgkmcnt(0)
	s_barrier
	ds_read2_b32 v[4:5], v17 offset0:8 offset1:9
	ds_read2_b32 v[2:3], v33 offset0:2 offset1:3
	ds_read_b32 v21, v33 offset:16
	v_min_u32_e32 v15, 0x1c0, v15
	v_or_b32_e32 v15, 63, v15
	s_waitcnt lgkmcnt(1)
	v_add3_u32 v36, v5, v4, v2
	s_waitcnt lgkmcnt(0)
	v_add3_u32 v21, v36, v3, v21
	v_and_b32_e32 v36, 15, v14
	v_cmp_ne_u32_e64 s[12:13], 0, v36
	v_mov_b32_dpp v37, v21 row_shr:1 row_mask:0xf bank_mask:0xf
	v_cndmask_b32_e64 v37, 0, v37, s[12:13]
	v_add_u32_e32 v21, v37, v21
	v_cmp_lt_u32_e64 s[12:13], 1, v36
	s_nop 0
	v_mov_b32_dpp v37, v21 row_shr:2 row_mask:0xf bank_mask:0xf
	v_cndmask_b32_e64 v37, 0, v37, s[12:13]
	v_add_u32_e32 v21, v21, v37
	v_cmp_lt_u32_e64 s[12:13], 3, v36
	s_nop 0
	;; [unrolled: 5-line block ×3, first 2 shown]
	v_mov_b32_dpp v37, v21 row_shr:8 row_mask:0xf bank_mask:0xf
	v_cndmask_b32_e64 v36, 0, v37, s[12:13]
	v_add_u32_e32 v21, v21, v36
	v_bfe_i32 v37, v14, 4, 1
	v_cmp_lt_u32_e64 s[12:13], 31, v14
	v_mov_b32_dpp v36, v21 row_bcast:15 row_mask:0xf bank_mask:0xf
	v_and_b32_e32 v36, v37, v36
	v_add_u32_e32 v21, v21, v36
	v_lshrrev_b32_e32 v37, 6, v8
	s_nop 0
	v_mov_b32_dpp v36, v21 row_bcast:31 row_mask:0xf bank_mask:0xf
	v_cndmask_b32_e64 v36, 0, v36, s[12:13]
	v_add_u32_e32 v36, v21, v36
	v_cmp_eq_u32_e64 s[12:13], v15, v8
	s_and_saveexec_b64 s[14:15], s[12:13]
	s_cbranch_execz .LBB138_27
; %bb.26:
	v_lshlrev_b32_e32 v15, 2, v37
	ds_write_b32 v15, v36
.LBB138_27:
	s_or_b64 exec, exec, s[14:15]
	v_cmp_gt_u32_e64 s[12:13], 8, v8
	v_lshlrev_b32_e32 v21, 2, v8
	s_waitcnt lgkmcnt(0)
	s_barrier
	s_and_saveexec_b64 s[14:15], s[12:13]
	s_cbranch_execz .LBB138_29
; %bb.28:
	ds_read_b32 v15, v21
	v_and_b32_e32 v38, 7, v14
	v_cmp_ne_u32_e64 s[12:13], 0, v38
	s_waitcnt lgkmcnt(0)
	v_mov_b32_dpp v39, v15 row_shr:1 row_mask:0xf bank_mask:0xf
	v_cndmask_b32_e64 v39, 0, v39, s[12:13]
	v_add_u32_e32 v15, v39, v15
	v_cmp_lt_u32_e64 s[12:13], 1, v38
	s_nop 0
	v_mov_b32_dpp v39, v15 row_shr:2 row_mask:0xf bank_mask:0xf
	v_cndmask_b32_e64 v39, 0, v39, s[12:13]
	v_add_u32_e32 v15, v15, v39
	v_cmp_lt_u32_e64 s[12:13], 3, v38
	s_nop 0
	v_mov_b32_dpp v39, v15 row_shr:4 row_mask:0xf bank_mask:0xf
	v_cndmask_b32_e64 v38, 0, v39, s[12:13]
	v_add_u32_e32 v15, v15, v38
	ds_write_b32 v21, v15
.LBB138_29:
	s_or_b64 exec, exec, s[14:15]
	v_cmp_lt_u32_e64 s[12:13], 63, v8
	v_mov_b32_e32 v15, 0
	s_waitcnt lgkmcnt(0)
	s_barrier
	s_and_saveexec_b64 s[14:15], s[12:13]
	s_cbranch_execz .LBB138_31
; %bb.30:
	v_lshl_add_u32 v15, v37, 2, -4
	ds_read_b32 v15, v15
.LBB138_31:
	s_or_b64 exec, exec, s[14:15]
	v_add_u32_e32 v37, -1, v14
	v_and_b32_e32 v38, 64, v14
	v_cmp_lt_i32_e64 s[12:13], v37, v38
	v_cndmask_b32_e64 v37, v37, v14, s[12:13]
	s_waitcnt lgkmcnt(0)
	v_add_u32_e32 v36, v15, v36
	v_lshlrev_b32_e32 v37, 2, v37
	ds_bpermute_b32 v36, v37, v36
	v_cmp_eq_u32_e64 s[12:13], 0, v14
	s_waitcnt lgkmcnt(0)
	v_cndmask_b32_e64 v15, v36, v15, s[12:13]
	v_cmp_ne_u32_e64 s[12:13], 0, v8
	v_cndmask_b32_e64 v15, 0, v15, s[12:13]
	v_add_u32_e32 v4, v15, v4
	v_add_u32_e32 v5, v4, v5
	;; [unrolled: 1-line block ×4, first 2 shown]
	ds_write2_b32 v17, v15, v4 offset0:8 offset1:9
	ds_write2_b32 v33, v5, v2 offset0:2 offset1:3
	ds_write_b32 v33, v3 offset:16
	s_waitcnt lgkmcnt(0)
	s_barrier
	ds_read_b32 v4, v19 offset:32
	ds_read_b32 v5, v20 offset:32
	;; [unrolled: 1-line block ×6, first 2 shown]
	s_movk_i32 s12, 0x100
	v_cmp_gt_u32_e64 s[12:13], s12, v8
	v_pk_mov_b32 v[2:3], 0, 0
                                        ; implicit-def: $vgpr20
	s_and_saveexec_b64 s[16:17], s[12:13]
	s_cbranch_execz .LBB138_35
; %bb.32:
	v_mul_u32_u24_e32 v2, 9, v8
	v_lshlrev_b32_e32 v20, 2, v2
	ds_read_b32 v2, v20 offset:32
	s_movk_i32 s14, 0xff
	v_cmp_ne_u32_e64 s[14:15], s14, v8
	v_mov_b32_e32 v3, 0xc00
	s_and_saveexec_b64 s[18:19], s[14:15]
	s_cbranch_execz .LBB138_34
; %bb.33:
	ds_read_b32 v3, v20 offset:68
.LBB138_34:
	s_or_b64 exec, exec, s[18:19]
	s_waitcnt lgkmcnt(0)
	v_sub_u32_e32 v20, v3, v2
	v_mov_b32_e32 v3, 0
.LBB138_35:
	s_or_b64 exec, exec, s[16:17]
	s_waitcnt lgkmcnt(5)
	v_add_u32_e32 v28, v4, v18
	s_waitcnt lgkmcnt(4)
	v_add3_u32 v27, v22, v13, v5
	v_lshlrev_b32_e32 v4, 2, v28
	s_waitcnt lgkmcnt(3)
	v_add3_u32 v26, v26, v24, v15
	s_waitcnt lgkmcnt(0)
	s_barrier
	ds_write_b32 v4, v16 offset:2048
	v_lshlrev_b32_e32 v4, 2, v27
	v_add3_u32 v25, v29, v11, v17
	ds_write_b32 v4, v12 offset:2048
	v_lshlrev_b32_e32 v4, 2, v26
	v_add3_u32 v24, v31, v30, v19
	;; [unrolled: 3-line block ×3, first 2 shown]
	ds_write_b32 v4, v10 offset:2048
	v_lshlrev_b32_e32 v4, 2, v24
	ds_write_b32 v4, v6 offset:2048
	v_lshlrev_b32_e32 v4, 2, v22
	ds_write_b32 v4, v7 offset:2048
	s_waitcnt lgkmcnt(0)
	s_barrier
	s_and_saveexec_b64 s[16:17], s[12:13]
	s_cbranch_execz .LBB138_45
; %bb.36:
	v_lshl_or_b32 v4, s6, 8, v8
	v_mov_b32_e32 v5, 0
	v_lshlrev_b64 v[6:7], 2, v[4:5]
	v_mov_b32_e32 v12, s35
	v_add_co_u32_e64 v6, s[14:15], s34, v6
	v_addc_co_u32_e64 v7, s[14:15], v12, v7, s[14:15]
	v_or_b32_e32 v4, 2.0, v20
	s_mov_b64 s[18:19], 0
	s_brev_b32 s24, 1
	s_mov_b32 s25, s6
	v_mov_b32_e32 v13, 0
	global_store_dword v[6:7], v4, off
                                        ; implicit-def: $sgpr14_sgpr15
	s_branch .LBB138_38
.LBB138_37:                             ;   in Loop: Header=BB138_38 Depth=1
	s_or_b64 exec, exec, s[20:21]
	v_and_b32_e32 v10, 0x3fffffff, v15
	v_add_u32_e32 v13, v10, v13
	v_cmp_eq_u32_e64 s[14:15], s24, v4
	s_and_b64 s[20:21], exec, s[14:15]
	s_or_b64 s[18:19], s[20:21], s[18:19]
	s_andn2_b64 exec, exec, s[18:19]
	s_cbranch_execz .LBB138_44
.LBB138_38:                             ; =>This Loop Header: Depth=1
                                        ;     Child Loop BB138_41 Depth 2
	s_or_b64 s[14:15], s[14:15], exec
	s_cmp_eq_u32 s25, 0
	s_cbranch_scc1 .LBB138_43
; %bb.39:                               ;   in Loop: Header=BB138_38 Depth=1
	s_add_i32 s25, s25, -1
	v_lshl_or_b32 v4, s25, 8, v8
	v_lshlrev_b64 v[10:11], 2, v[4:5]
	v_add_co_u32_e64 v10, s[14:15], s34, v10
	v_addc_co_u32_e64 v11, s[14:15], v12, v11, s[14:15]
	global_load_dword v15, v[10:11], off glc
	s_waitcnt vmcnt(0)
	v_and_b32_e32 v4, -2.0, v15
	v_cmp_eq_u32_e64 s[14:15], 0, v4
	s_and_saveexec_b64 s[20:21], s[14:15]
	s_cbranch_execz .LBB138_37
; %bb.40:                               ;   in Loop: Header=BB138_38 Depth=1
	s_mov_b64 s[22:23], 0
.LBB138_41:                             ;   Parent Loop BB138_38 Depth=1
                                        ; =>  This Inner Loop Header: Depth=2
	global_load_dword v15, v[10:11], off glc
	s_waitcnt vmcnt(0)
	v_and_b32_e32 v4, -2.0, v15
	v_cmp_ne_u32_e64 s[14:15], 0, v4
	s_or_b64 s[22:23], s[14:15], s[22:23]
	s_andn2_b64 exec, exec, s[22:23]
	s_cbranch_execnz .LBB138_41
; %bb.42:                               ;   in Loop: Header=BB138_38 Depth=1
	s_or_b64 exec, exec, s[22:23]
	s_branch .LBB138_37
.LBB138_43:                             ;   in Loop: Header=BB138_38 Depth=1
                                        ; implicit-def: $sgpr25
	s_and_b64 s[20:21], exec, s[14:15]
	s_or_b64 s[18:19], s[20:21], s[18:19]
	s_andn2_b64 exec, exec, s[18:19]
	s_cbranch_execnz .LBB138_38
.LBB138_44:
	s_or_b64 exec, exec, s[18:19]
	v_add_u32_e32 v4, v13, v20
	v_or_b32_e32 v4, 0x80000000, v4
	global_store_dword v[6:7], v4, off
	v_lshlrev_b32_e32 v6, 3, v8
	global_load_dwordx2 v[4:5], v6, s[44:45]
	v_sub_co_u32_e64 v7, s[14:15], v13, v2
	v_subb_co_u32_e64 v10, s[14:15], 0, v3, s[14:15]
	s_waitcnt vmcnt(0)
	v_add_co_u32_e64 v4, s[14:15], v7, v4
	v_addc_co_u32_e64 v5, s[14:15], v10, v5, s[14:15]
	ds_write_b64 v6, v[4:5]
.LBB138_45:
	s_or_b64 exec, exec, s[16:17]
	v_cmp_gt_u32_e64 s[14:15], s50, v8
	s_waitcnt lgkmcnt(0)
	s_barrier
	s_and_saveexec_b64 s[18:19], s[14:15]
	s_cbranch_execz .LBB138_47
; %bb.46:
	ds_read_b32 v6, v21 offset:2048
	s_brev_b32 s16, -2
	v_bfrev_b32_e32 v7, 1
	v_mov_b32_e32 v10, s39
	s_waitcnt lgkmcnt(0)
	v_cmp_ne_u32_e64 s[16:17], s16, v6
	v_cndmask_b32_e64 v4, v7, v6, s[16:17]
	v_lshrrev_b32_e32 v4, s48, v4
	v_and_b32_e32 v4, s33, v4
	v_lshlrev_b32_e32 v4, 3, v4
	ds_read_b64 v[4:5], v4
	v_cmp_lt_i32_e64 s[16:17], -1, v6
	v_cndmask_b32_e64 v7, v7, -1, s[16:17]
	v_xor_b32_e32 v6, v7, v6
	s_waitcnt lgkmcnt(0)
	v_lshlrev_b64 v[4:5], 2, v[4:5]
	v_add_co_u32_e64 v4, s[16:17], s38, v4
	v_addc_co_u32_e64 v5, s[16:17], v10, v5, s[16:17]
	v_add_co_u32_e64 v4, s[16:17], v4, v21
	v_addc_co_u32_e64 v5, s[16:17], 0, v5, s[16:17]
	global_store_dword v[4:5], v6, off
.LBB138_47:
	s_or_b64 exec, exec, s[18:19]
	v_add_u32_e32 v23, 0x200, v8
	v_cmp_gt_u32_e64 s[16:17], s50, v23
	s_and_saveexec_b64 s[20:21], s[16:17]
	s_cbranch_execz .LBB138_49
; %bb.48:
	ds_read_b32 v6, v21 offset:4096
	s_brev_b32 s18, -2
	v_bfrev_b32_e32 v7, 1
	v_mov_b32_e32 v10, s39
	s_waitcnt lgkmcnt(0)
	v_cmp_ne_u32_e64 s[18:19], s18, v6
	v_cndmask_b32_e64 v4, v7, v6, s[18:19]
	v_lshrrev_b32_e32 v4, s48, v4
	v_and_b32_e32 v4, s33, v4
	v_lshlrev_b32_e32 v4, 3, v4
	ds_read_b64 v[4:5], v4
	v_cmp_lt_i32_e64 s[18:19], -1, v6
	v_cndmask_b32_e64 v7, v7, -1, s[18:19]
	v_xor_b32_e32 v6, v7, v6
	s_waitcnt lgkmcnt(0)
	v_lshlrev_b64 v[4:5], 2, v[4:5]
	v_add_co_u32_e64 v4, s[18:19], s38, v4
	v_addc_co_u32_e64 v5, s[18:19], v10, v5, s[18:19]
	v_add_co_u32_e64 v4, s[18:19], v4, v21
	v_addc_co_u32_e64 v5, s[18:19], 0, v5, s[18:19]
	global_store_dword v[4:5], v6, off offset:2048
.LBB138_49:
	s_or_b64 exec, exec, s[20:21]
	v_or_b32_e32 v29, 0x400, v8
	v_cmp_gt_u32_e64 s[18:19], s50, v29
	s_and_saveexec_b64 s[22:23], s[18:19]
	s_cbranch_execz .LBB138_51
; %bb.50:
	ds_read_b32 v6, v21 offset:6144
	s_brev_b32 s20, -2
	v_bfrev_b32_e32 v7, 1
	v_mov_b32_e32 v10, s39
	s_waitcnt lgkmcnt(0)
	v_cmp_ne_u32_e64 s[20:21], s20, v6
	v_cndmask_b32_e64 v4, v7, v6, s[20:21]
	v_lshrrev_b32_e32 v4, s48, v4
	v_and_b32_e32 v4, s33, v4
	v_lshlrev_b32_e32 v4, 3, v4
	ds_read_b64 v[4:5], v4
	v_cmp_lt_i32_e64 s[20:21], -1, v6
	v_cndmask_b32_e64 v7, v7, -1, s[20:21]
	v_xor_b32_e32 v6, v7, v6
	v_lshlrev_b32_e32 v7, 2, v29
	s_waitcnt lgkmcnt(0)
	v_lshlrev_b64 v[4:5], 2, v[4:5]
	v_add_co_u32_e64 v4, s[20:21], s38, v4
	v_addc_co_u32_e64 v5, s[20:21], v10, v5, s[20:21]
	v_add_co_u32_e64 v4, s[20:21], v4, v7
	v_addc_co_u32_e64 v5, s[20:21], 0, v5, s[20:21]
	global_store_dword v[4:5], v6, off
.LBB138_51:
	s_or_b64 exec, exec, s[22:23]
	v_add_u32_e32 v30, 0x600, v8
	v_cmp_gt_u32_e64 s[20:21], s50, v30
	s_and_saveexec_b64 s[24:25], s[20:21]
	s_cbranch_execz .LBB138_53
; %bb.52:
	ds_read_b32 v6, v21 offset:8192
	s_brev_b32 s22, -2
	v_bfrev_b32_e32 v7, 1
	v_mov_b32_e32 v10, s39
	s_waitcnt lgkmcnt(0)
	v_cmp_ne_u32_e64 s[22:23], s22, v6
	v_cndmask_b32_e64 v4, v7, v6, s[22:23]
	v_lshrrev_b32_e32 v4, s48, v4
	v_and_b32_e32 v4, s33, v4
	v_lshlrev_b32_e32 v4, 3, v4
	ds_read_b64 v[4:5], v4
	v_cmp_lt_i32_e64 s[22:23], -1, v6
	v_cndmask_b32_e64 v7, v7, -1, s[22:23]
	v_xor_b32_e32 v6, v7, v6
	v_lshlrev_b32_e32 v7, 2, v30
	s_waitcnt lgkmcnt(0)
	v_lshlrev_b64 v[4:5], 2, v[4:5]
	v_add_co_u32_e64 v4, s[22:23], s38, v4
	v_addc_co_u32_e64 v5, s[22:23], v10, v5, s[22:23]
	v_add_co_u32_e64 v4, s[22:23], v4, v7
	v_addc_co_u32_e64 v5, s[22:23], 0, v5, s[22:23]
	global_store_dword v[4:5], v6, off
.LBB138_53:
	s_or_b64 exec, exec, s[24:25]
	v_or_b32_e32 v31, 0x800, v8
	v_cmp_gt_u32_e64 s[22:23], s50, v31
	s_and_saveexec_b64 s[28:29], s[22:23]
	s_cbranch_execz .LBB138_55
; %bb.54:
	ds_read_b32 v6, v21 offset:10240
	s_brev_b32 s24, -2
	v_bfrev_b32_e32 v7, 1
	v_mov_b32_e32 v10, s39
	s_waitcnt lgkmcnt(0)
	v_cmp_ne_u32_e64 s[24:25], s24, v6
	v_cndmask_b32_e64 v4, v7, v6, s[24:25]
	v_lshrrev_b32_e32 v4, s48, v4
	v_and_b32_e32 v4, s33, v4
	v_lshlrev_b32_e32 v4, 3, v4
	ds_read_b64 v[4:5], v4
	v_cmp_lt_i32_e64 s[24:25], -1, v6
	v_cndmask_b32_e64 v7, v7, -1, s[24:25]
	v_xor_b32_e32 v6, v7, v6
	v_lshlrev_b32_e32 v7, 2, v31
	s_waitcnt lgkmcnt(0)
	v_lshlrev_b64 v[4:5], 2, v[4:5]
	v_add_co_u32_e64 v4, s[24:25], s38, v4
	v_addc_co_u32_e64 v5, s[24:25], v10, v5, s[24:25]
	v_add_co_u32_e64 v4, s[24:25], v4, v7
	v_addc_co_u32_e64 v5, s[24:25], 0, v5, s[24:25]
	global_store_dword v[4:5], v6, off
.LBB138_55:
	s_or_b64 exec, exec, s[28:29]
	v_add_u32_e32 v32, 0xa00, v8
	v_cmp_gt_u32_e64 s[24:25], s50, v32
	s_and_saveexec_b64 s[50:51], s[24:25]
	s_cbranch_execz .LBB138_57
; %bb.56:
	ds_read_b32 v6, v21 offset:12288
	s_brev_b32 s28, -2
	v_bfrev_b32_e32 v7, 1
	v_mov_b32_e32 v10, s39
	s_waitcnt lgkmcnt(0)
	v_cmp_ne_u32_e64 s[28:29], s28, v6
	v_cndmask_b32_e64 v4, v7, v6, s[28:29]
	v_lshrrev_b32_e32 v4, s48, v4
	v_and_b32_e32 v4, s33, v4
	v_lshlrev_b32_e32 v4, 3, v4
	ds_read_b64 v[4:5], v4
	v_cmp_lt_i32_e64 s[28:29], -1, v6
	v_cndmask_b32_e64 v7, v7, -1, s[28:29]
	v_xor_b32_e32 v6, v7, v6
	v_lshlrev_b32_e32 v7, 2, v32
	s_waitcnt lgkmcnt(0)
	v_lshlrev_b64 v[4:5], 2, v[4:5]
	v_add_co_u32_e64 v4, s[28:29], s38, v4
	v_addc_co_u32_e64 v5, s[28:29], v10, v5, s[28:29]
	v_add_co_u32_e64 v4, s[28:29], v4, v7
	v_addc_co_u32_e64 v5, s[28:29], 0, v5, s[28:29]
	global_store_dword v[4:5], v6, off
.LBB138_57:
	s_or_b64 exec, exec, s[50:51]
	s_lshl_b64 s[28:29], s[30:31], 3
	s_add_u32 s28, s40, s28
	s_addc_u32 s29, s41, s29
	v_lshlrev_b32_e32 v4, 3, v14
	v_mov_b32_e32 v5, s29
	v_add_co_u32_e64 v4, s[28:29], s28, v4
	v_addc_co_u32_e64 v5, s[28:29], 0, v5, s[28:29]
	v_lshlrev_b32_e32 v6, 3, v9
	v_add_co_u32_e64 v18, s[28:29], v4, v6
	v_addc_co_u32_e64 v19, s[28:29], 0, v5, s[28:29]
                                        ; implicit-def: $vgpr4_vgpr5
	s_and_saveexec_b64 s[28:29], vcc
	s_xor_b64 s[28:29], exec, s[28:29]
	s_cbranch_execnz .LBB138_127
; %bb.58:
	s_or_b64 exec, exec, s[28:29]
                                        ; implicit-def: $vgpr6_vgpr7
	s_and_saveexec_b64 s[28:29], s[0:1]
	s_cbranch_execnz .LBB138_128
.LBB138_59:
	s_or_b64 exec, exec, s[28:29]
                                        ; implicit-def: $vgpr10_vgpr11
	s_and_saveexec_b64 s[0:1], s[2:3]
	s_cbranch_execnz .LBB138_129
.LBB138_60:
	s_or_b64 exec, exec, s[0:1]
                                        ; implicit-def: $vgpr12_vgpr13
	s_and_saveexec_b64 s[0:1], s[26:27]
	s_cbranch_execnz .LBB138_130
.LBB138_61:
	s_or_b64 exec, exec, s[0:1]
                                        ; implicit-def: $vgpr14_vgpr15
	s_and_saveexec_b64 s[0:1], s[8:9]
	s_cbranch_execnz .LBB138_131
.LBB138_62:
	s_or_b64 exec, exec, s[0:1]
                                        ; implicit-def: $vgpr16_vgpr17
	s_and_saveexec_b64 s[0:1], s[10:11]
	s_cbranch_execz .LBB138_64
.LBB138_63:
	global_load_dwordx2 v[16:17], v[18:19], off offset:2560
.LBB138_64:
	s_or_b64 exec, exec, s[0:1]
	v_mov_b32_e32 v19, 0
	v_mov_b32_e32 v35, 0
	s_and_saveexec_b64 s[0:1], s[14:15]
	s_cbranch_execz .LBB138_66
; %bb.65:
	ds_read_b32 v9, v21 offset:2048
	s_brev_b32 s2, -2
	v_bfrev_b32_e32 v18, 1
	s_waitcnt lgkmcnt(0)
	v_cmp_ne_u32_e32 vcc, s2, v9
	v_cndmask_b32_e32 v9, v18, v9, vcc
	v_lshrrev_b32_e32 v9, s48, v9
	v_and_b32_e32 v35, s33, v9
.LBB138_66:
	s_or_b64 exec, exec, s[0:1]
	s_and_saveexec_b64 s[0:1], s[16:17]
	s_cbranch_execz .LBB138_68
; %bb.67:
	ds_read_b32 v9, v21 offset:4096
	s_brev_b32 s2, -2
	v_bfrev_b32_e32 v18, 1
	s_waitcnt lgkmcnt(0)
	v_cmp_ne_u32_e32 vcc, s2, v9
	v_cndmask_b32_e32 v9, v18, v9, vcc
	v_lshrrev_b32_e32 v9, s48, v9
	v_and_b32_e32 v19, s33, v9
.LBB138_68:
	s_or_b64 exec, exec, s[0:1]
	v_mov_b32_e32 v18, 0
	v_mov_b32_e32 v34, 0
	s_and_saveexec_b64 s[0:1], s[18:19]
	s_cbranch_execz .LBB138_70
; %bb.69:
	ds_read_b32 v9, v21 offset:6144
	s_brev_b32 s2, -2
	v_bfrev_b32_e32 v33, 1
	s_waitcnt lgkmcnt(0)
	v_cmp_ne_u32_e32 vcc, s2, v9
	v_cndmask_b32_e32 v9, v33, v9, vcc
	v_lshrrev_b32_e32 v9, s48, v9
	v_and_b32_e32 v34, s33, v9
.LBB138_70:
	s_or_b64 exec, exec, s[0:1]
	s_and_saveexec_b64 s[0:1], s[20:21]
	s_cbranch_execz .LBB138_72
; %bb.71:
	ds_read_b32 v9, v21 offset:8192
	s_brev_b32 s2, -2
	v_bfrev_b32_e32 v18, 1
	s_waitcnt lgkmcnt(0)
	v_cmp_ne_u32_e32 vcc, s2, v9
	v_cndmask_b32_e32 v9, v18, v9, vcc
	v_lshrrev_b32_e32 v9, s48, v9
	v_and_b32_e32 v18, s33, v9
.LBB138_72:
	s_or_b64 exec, exec, s[0:1]
	v_mov_b32_e32 v9, 0
	v_mov_b32_e32 v33, 0
	s_and_saveexec_b64 s[0:1], s[22:23]
	s_cbranch_execz .LBB138_74
; %bb.73:
	ds_read_b32 v33, v21 offset:10240
	s_brev_b32 s2, -2
	v_bfrev_b32_e32 v36, 1
	s_waitcnt lgkmcnt(0)
	v_cmp_ne_u32_e32 vcc, s2, v33
	v_cndmask_b32_e32 v33, v36, v33, vcc
	v_lshrrev_b32_e32 v33, s48, v33
	v_and_b32_e32 v33, s33, v33
.LBB138_74:
	s_or_b64 exec, exec, s[0:1]
	s_and_saveexec_b64 s[0:1], s[24:25]
	s_cbranch_execz .LBB138_76
; %bb.75:
	ds_read_b32 v9, v21 offset:12288
	s_brev_b32 s2, -2
	v_bfrev_b32_e32 v21, 1
	s_waitcnt lgkmcnt(0)
	v_cmp_ne_u32_e32 vcc, s2, v9
	v_cndmask_b32_e32 v9, v21, v9, vcc
	v_lshrrev_b32_e32 v9, s48, v9
	v_and_b32_e32 v9, s33, v9
.LBB138_76:
	s_or_b64 exec, exec, s[0:1]
	v_lshlrev_b32_e32 v21, 3, v28
	s_barrier
	s_waitcnt vmcnt(0)
	ds_write_b64 v21, v[4:5] offset:2048
	v_lshlrev_b32_e32 v4, 3, v27
	ds_write_b64 v4, v[6:7] offset:2048
	v_lshlrev_b32_e32 v4, 3, v26
	;; [unrolled: 2-line block ×6, first 2 shown]
	s_waitcnt lgkmcnt(0)
	s_barrier
	s_and_saveexec_b64 s[0:1], s[14:15]
	s_cbranch_execnz .LBB138_132
; %bb.77:
	s_or_b64 exec, exec, s[0:1]
	s_and_saveexec_b64 s[0:1], s[16:17]
	s_cbranch_execnz .LBB138_133
.LBB138_78:
	s_or_b64 exec, exec, s[0:1]
	s_and_saveexec_b64 s[0:1], s[18:19]
	s_cbranch_execnz .LBB138_134
.LBB138_79:
	s_or_b64 exec, exec, s[0:1]
	s_and_saveexec_b64 s[0:1], s[20:21]
	s_cbranch_execnz .LBB138_135
.LBB138_80:
	s_or_b64 exec, exec, s[0:1]
	s_and_saveexec_b64 s[0:1], s[22:23]
	s_cbranch_execnz .LBB138_136
.LBB138_81:
	s_or_b64 exec, exec, s[0:1]
	s_and_saveexec_b64 s[0:1], s[24:25]
	s_cbranch_execz .LBB138_83
.LBB138_82:
	v_lshlrev_b32_e32 v5, 3, v9
	ds_read_b64 v[6:7], v5
	ds_read_b64 v[4:5], v4 offset:22528
	v_mov_b32_e32 v9, s43
	s_waitcnt lgkmcnt(1)
	v_lshlrev_b64 v[6:7], 3, v[6:7]
	v_add_co_u32_e32 v6, vcc, s42, v6
	v_addc_co_u32_e32 v7, vcc, v9, v7, vcc
	v_lshlrev_b32_e32 v9, 3, v32
	v_add_co_u32_e32 v6, vcc, v6, v9
	v_addc_co_u32_e32 v7, vcc, 0, v7, vcc
	s_waitcnt lgkmcnt(0)
	global_store_dwordx2 v[6:7], v[4:5], off
.LBB138_83:
	s_or_b64 exec, exec, s[0:1]
	s_add_i32 s7, s7, -1
	s_cmp_eq_u32 s6, s7
	s_cselect_b64 s[0:1], -1, 0
	s_and_b64 s[2:3], s[12:13], s[0:1]
	s_mov_b64 s[0:1], 0
	s_mov_b64 s[8:9], 0
                                        ; implicit-def: $vgpr4_vgpr5
	s_and_saveexec_b64 s[10:11], s[2:3]
	s_xor_b64 s[2:3], exec, s[10:11]
; %bb.84:
	v_add_co_u32_e32 v4, vcc, v2, v20
	s_mov_b64 s[8:9], exec
	v_mov_b32_e32 v9, 0
	v_addc_co_u32_e32 v5, vcc, 0, v3, vcc
; %bb.85:
	s_or_b64 exec, exec, s[2:3]
	s_and_b64 vcc, exec, s[0:1]
	s_cbranch_vccnz .LBB138_87
	s_branch .LBB138_124
.LBB138_86:
	s_mov_b64 s[8:9], 0
                                        ; implicit-def: $vgpr4_vgpr5
                                        ; implicit-def: $vgpr8_vgpr9
	s_cbranch_execz .LBB138_124
.LBB138_87:
	s_mov_b32 s31, 0
	s_lshl_b64 s[0:1], s[30:31], 2
	v_mbcnt_hi_u32_b32 v11, -1, v1
	s_add_u32 s0, s36, s0
	v_lshlrev_b32_e32 v1, 2, v11
	v_and_b32_e32 v8, 0x3ff, v0
	v_add_co_u32_e32 v1, vcc, s0, v1
	s_load_dword s7, s[4:5], 0x50
	s_load_dword s0, s[4:5], 0x5c
	s_addc_u32 s1, s37, s1
	v_and_b32_e32 v6, 0x1c0, v8
	v_mul_u32_u24_e32 v10, 6, v6
	v_mov_b32_e32 v3, s1
	v_addc_co_u32_e32 v3, vcc, 0, v3, vcc
	v_lshlrev_b32_e32 v4, 2, v10
	v_add_co_u32_e32 v14, vcc, v1, v4
	s_add_u32 s1, s4, 0x50
	v_addc_co_u32_e32 v15, vcc, 0, v3, vcc
	s_addc_u32 s2, s5, 0
	s_waitcnt lgkmcnt(0)
	s_lshr_b32 s3, s0, 16
	global_load_dword v1, v[14:15], off
	s_cmp_lt_u32 s6, s7
	s_cselect_b32 s0, 12, 18
	s_add_u32 s0, s1, s0
	v_mov_b32_e32 v2, 0
	s_addc_u32 s1, s2, 0
	global_load_ushort v3, v2, s[0:1]
	v_mul_u32_u24_e32 v5, 5, v8
	v_lshlrev_b32_e32 v5, 2, v5
	ds_write2_b32 v5, v2, v2 offset0:8 offset1:9
	ds_write2_b32 v5, v2, v2 offset0:10 offset1:11
	ds_write_b32 v5, v2 offset:48
	global_load_dword v12, v[14:15], off offset:256
	global_load_dword v16, v[14:15], off offset:512
	;; [unrolled: 1-line block ×5, first 2 shown]
	v_bfrev_b32_e32 v13, 1
	v_bfe_u32 v4, v0, 10, 10
	v_bfe_u32 v0, v0, 20, 10
	v_mad_u32_u24 v0, v0, s3, v4
	s_brev_b32 s2, -2
	s_lshl_b32 s0, -1, s49
	s_not_b32 s14, s0
	s_waitcnt lgkmcnt(0)
	s_barrier
	s_waitcnt lgkmcnt(0)
	; wave barrier
	s_waitcnt vmcnt(6)
	v_cmp_lt_i32_e32 vcc, -1, v1
	v_cndmask_b32_e32 v4, -1, v13, vcc
	v_xor_b32_e32 v4, v4, v1
	v_cmp_ne_u32_e32 vcc, s2, v4
	v_cndmask_b32_e32 v7, v13, v4, vcc
	s_waitcnt vmcnt(5)
	v_mad_u64_u32 v[0:1], s[0:1], v0, v3, v[8:9]
	v_lshrrev_b32_e32 v1, s48, v7
	v_lshrrev_b32_e32 v19, 6, v0
	v_and_b32_e32 v0, s14, v1
	v_lshl_add_u32 v1, v0, 3, v0
	v_and_b32_e32 v9, 1, v0
	v_add_lshl_u32 v7, v19, v1, 2
	v_add_co_u32_e32 v1, vcc, -1, v9
	v_lshlrev_b32_e32 v3, 30, v0
	v_addc_co_u32_e64 v14, s[0:1], 0, -1, vcc
	v_cmp_ne_u32_e32 vcc, 0, v9
	v_cmp_gt_i64_e64 s[0:1], 0, v[2:3]
	v_not_b32_e32 v9, v3
	v_lshlrev_b32_e32 v3, 29, v0
	v_xor_b32_e32 v14, vcc_hi, v14
	v_xor_b32_e32 v1, vcc_lo, v1
	v_ashrrev_i32_e32 v9, 31, v9
	v_cmp_gt_i64_e32 vcc, 0, v[2:3]
	v_not_b32_e32 v15, v3
	v_lshlrev_b32_e32 v3, 28, v0
	v_and_b32_e32 v14, exec_hi, v14
	v_and_b32_e32 v1, exec_lo, v1
	v_xor_b32_e32 v17, s1, v9
	v_xor_b32_e32 v9, s0, v9
	v_ashrrev_i32_e32 v15, 31, v15
	v_cmp_gt_i64_e64 s[0:1], 0, v[2:3]
	v_not_b32_e32 v20, v3
	v_lshlrev_b32_e32 v3, 27, v0
	v_and_b32_e32 v14, v14, v17
	v_and_b32_e32 v1, v1, v9
	v_xor_b32_e32 v9, vcc_hi, v15
	v_xor_b32_e32 v15, vcc_lo, v15
	v_ashrrev_i32_e32 v17, 31, v20
	v_cmp_gt_i64_e32 vcc, 0, v[2:3]
	v_not_b32_e32 v3, v3
	v_and_b32_e32 v9, v14, v9
	v_and_b32_e32 v1, v1, v15
	v_xor_b32_e32 v14, s1, v17
	v_xor_b32_e32 v15, s0, v17
	v_ashrrev_i32_e32 v3, 31, v3
	v_and_b32_e32 v9, v9, v14
	v_and_b32_e32 v1, v1, v15
	v_xor_b32_e32 v14, vcc_hi, v3
	v_xor_b32_e32 v3, vcc_lo, v3
	v_and_b32_e32 v1, v1, v3
	v_lshlrev_b32_e32 v3, 26, v0
	v_cmp_gt_i64_e32 vcc, 0, v[2:3]
	v_not_b32_e32 v3, v3
	v_ashrrev_i32_e32 v3, 31, v3
	v_and_b32_e32 v9, v9, v14
	v_xor_b32_e32 v14, vcc_hi, v3
	v_xor_b32_e32 v3, vcc_lo, v3
	v_and_b32_e32 v1, v1, v3
	v_lshlrev_b32_e32 v3, 25, v0
	v_cmp_gt_i64_e32 vcc, 0, v[2:3]
	v_not_b32_e32 v3, v3
	v_ashrrev_i32_e32 v3, 31, v3
	v_and_b32_e32 v9, v9, v14
	v_xor_b32_e32 v14, vcc_hi, v3
	v_xor_b32_e32 v3, vcc_lo, v3
	v_and_b32_e32 v9, v9, v14
	v_and_b32_e32 v14, v1, v3
	v_lshlrev_b32_e32 v3, 24, v0
	v_not_b32_e32 v0, v3
	v_cmp_gt_i64_e32 vcc, 0, v[2:3]
	v_ashrrev_i32_e32 v0, 31, v0
	v_xor_b32_e32 v1, vcc_hi, v0
	v_xor_b32_e32 v0, vcc_lo, v0
	v_and_b32_e32 v0, v14, v0
	v_and_b32_e32 v1, v9, v1
	v_mbcnt_lo_u32_b32 v3, v0, 0
	v_mbcnt_hi_u32_b32 v9, v1, v3
	v_cmp_eq_u32_e32 vcc, 0, v9
	v_cmp_ne_u64_e64 s[0:1], 0, v[0:1]
	s_and_b64 s[4:5], s[0:1], vcc
	s_and_saveexec_b64 s[0:1], s[4:5]
	s_cbranch_execz .LBB138_89
; %bb.88:
	v_bcnt_u32_b32 v0, v0, 0
	v_bcnt_u32_b32 v0, v1, v0
	ds_write_b32 v7, v0 offset:32
.LBB138_89:
	s_or_b64 exec, exec, s[0:1]
	s_waitcnt vmcnt(4)
	v_cmp_lt_i32_e32 vcc, -1, v12
	v_cndmask_b32_e32 v0, -1, v13, vcc
	v_xor_b32_e32 v12, v0, v12
	v_cmp_ne_u32_e32 vcc, s2, v12
	v_cndmask_b32_e32 v0, v13, v12, vcc
	v_lshrrev_b32_e32 v0, s48, v0
	v_and_b32_e32 v0, s14, v0
	v_lshl_add_u32 v1, v0, 3, v0
	v_add_lshl_u32 v14, v19, v1, 2
	v_and_b32_e32 v1, 1, v0
	v_add_co_u32_e32 v3, vcc, -1, v1
	v_addc_co_u32_e64 v15, s[0:1], 0, -1, vcc
	v_cmp_ne_u32_e32 vcc, 0, v1
	v_xor_b32_e32 v3, vcc_lo, v3
	v_xor_b32_e32 v1, vcc_hi, v15
	v_and_b32_e32 v15, exec_lo, v3
	v_lshlrev_b32_e32 v3, 30, v0
	v_cmp_gt_i64_e32 vcc, 0, v[2:3]
	v_not_b32_e32 v3, v3
	v_ashrrev_i32_e32 v3, 31, v3
	v_xor_b32_e32 v17, vcc_hi, v3
	v_xor_b32_e32 v3, vcc_lo, v3
	v_and_b32_e32 v15, v15, v3
	v_lshlrev_b32_e32 v3, 29, v0
	v_cmp_gt_i64_e32 vcc, 0, v[2:3]
	v_not_b32_e32 v3, v3
	v_and_b32_e32 v1, exec_hi, v1
	v_ashrrev_i32_e32 v3, 31, v3
	v_and_b32_e32 v1, v1, v17
	v_xor_b32_e32 v17, vcc_hi, v3
	v_xor_b32_e32 v3, vcc_lo, v3
	v_and_b32_e32 v15, v15, v3
	v_lshlrev_b32_e32 v3, 28, v0
	v_cmp_gt_i64_e32 vcc, 0, v[2:3]
	v_not_b32_e32 v3, v3
	v_ashrrev_i32_e32 v3, 31, v3
	v_and_b32_e32 v1, v1, v17
	v_xor_b32_e32 v17, vcc_hi, v3
	v_xor_b32_e32 v3, vcc_lo, v3
	v_and_b32_e32 v15, v15, v3
	v_lshlrev_b32_e32 v3, 27, v0
	v_cmp_gt_i64_e32 vcc, 0, v[2:3]
	v_not_b32_e32 v3, v3
	;; [unrolled: 8-line block ×4, first 2 shown]
	v_ashrrev_i32_e32 v3, 31, v3
	v_and_b32_e32 v1, v1, v17
	v_xor_b32_e32 v17, vcc_hi, v3
	v_xor_b32_e32 v3, vcc_lo, v3
	v_and_b32_e32 v15, v15, v3
	v_lshlrev_b32_e32 v3, 24, v0
	v_not_b32_e32 v0, v3
	v_cmp_gt_i64_e32 vcc, 0, v[2:3]
	v_ashrrev_i32_e32 v0, 31, v0
	v_xor_b32_e32 v2, vcc_hi, v0
	v_xor_b32_e32 v0, vcc_lo, v0
	; wave barrier
	ds_read_b32 v13, v14 offset:32
	v_and_b32_e32 v1, v1, v17
	v_and_b32_e32 v0, v15, v0
	;; [unrolled: 1-line block ×3, first 2 shown]
	v_mbcnt_lo_u32_b32 v2, v0, 0
	v_mbcnt_hi_u32_b32 v15, v1, v2
	v_cmp_eq_u32_e32 vcc, 0, v15
	v_cmp_ne_u64_e64 s[0:1], 0, v[0:1]
	s_and_b64 s[2:3], s[0:1], vcc
	; wave barrier
	s_and_saveexec_b64 s[0:1], s[2:3]
	s_cbranch_execz .LBB138_91
; %bb.90:
	v_bcnt_u32_b32 v0, v0, 0
	v_bcnt_u32_b32 v0, v1, v0
	s_waitcnt lgkmcnt(0)
	v_add_u32_e32 v0, v13, v0
	ds_write_b32 v14, v0 offset:32
.LBB138_91:
	s_or_b64 exec, exec, s[0:1]
	v_bfrev_b32_e32 v23, 1
	s_waitcnt vmcnt(3)
	v_cmp_lt_i32_e32 vcc, -1, v16
	v_cndmask_b32_e32 v0, -1, v23, vcc
	v_xor_b32_e32 v16, v0, v16
	s_brev_b32 s2, -2
	v_cmp_ne_u32_e32 vcc, s2, v16
	v_cndmask_b32_e32 v0, v23, v16, vcc
	v_lshrrev_b32_e32 v0, s48, v0
	v_and_b32_e32 v2, s14, v0
	v_and_b32_e32 v1, 1, v2
	v_add_co_u32_e32 v3, vcc, -1, v1
	v_addc_co_u32_e64 v21, s[0:1], 0, -1, vcc
	v_cmp_ne_u32_e32 vcc, 0, v1
	v_lshl_add_u32 v0, v2, 3, v2
	v_xor_b32_e32 v1, vcc_hi, v21
	v_add_lshl_u32 v20, v19, v0, 2
	v_mov_b32_e32 v0, 0
	v_and_b32_e32 v21, exec_hi, v1
	v_lshlrev_b32_e32 v1, 30, v2
	v_xor_b32_e32 v3, vcc_lo, v3
	v_cmp_gt_i64_e32 vcc, 0, v[0:1]
	v_not_b32_e32 v1, v1
	v_ashrrev_i32_e32 v1, 31, v1
	v_and_b32_e32 v3, exec_lo, v3
	v_xor_b32_e32 v25, vcc_hi, v1
	v_xor_b32_e32 v1, vcc_lo, v1
	v_and_b32_e32 v3, v3, v1
	v_lshlrev_b32_e32 v1, 29, v2
	v_cmp_gt_i64_e32 vcc, 0, v[0:1]
	v_not_b32_e32 v1, v1
	v_ashrrev_i32_e32 v1, 31, v1
	v_and_b32_e32 v21, v21, v25
	v_xor_b32_e32 v25, vcc_hi, v1
	v_xor_b32_e32 v1, vcc_lo, v1
	v_and_b32_e32 v3, v3, v1
	v_lshlrev_b32_e32 v1, 28, v2
	v_cmp_gt_i64_e32 vcc, 0, v[0:1]
	v_not_b32_e32 v1, v1
	v_ashrrev_i32_e32 v1, 31, v1
	v_and_b32_e32 v21, v21, v25
	;; [unrolled: 8-line block ×5, first 2 shown]
	v_xor_b32_e32 v25, vcc_hi, v1
	v_xor_b32_e32 v1, vcc_lo, v1
	v_and_b32_e32 v21, v21, v25
	v_and_b32_e32 v25, v3, v1
	v_lshlrev_b32_e32 v1, 24, v2
	v_cmp_gt_i64_e32 vcc, 0, v[0:1]
	v_not_b32_e32 v1, v1
	v_ashrrev_i32_e32 v1, 31, v1
	v_xor_b32_e32 v2, vcc_hi, v1
	v_xor_b32_e32 v1, vcc_lo, v1
	; wave barrier
	ds_read_b32 v17, v20 offset:32
	v_and_b32_e32 v3, v21, v2
	v_and_b32_e32 v2, v25, v1
	v_mbcnt_lo_u32_b32 v1, v2, 0
	v_mbcnt_hi_u32_b32 v21, v3, v1
	v_cmp_eq_u32_e32 vcc, 0, v21
	v_cmp_ne_u64_e64 s[0:1], 0, v[2:3]
	s_and_b64 s[4:5], s[0:1], vcc
	; wave barrier
	s_and_saveexec_b64 s[0:1], s[4:5]
	s_cbranch_execz .LBB138_93
; %bb.92:
	v_bcnt_u32_b32 v1, v2, 0
	v_bcnt_u32_b32 v1, v3, v1
	s_waitcnt lgkmcnt(0)
	v_add_u32_e32 v1, v17, v1
	ds_write_b32 v20, v1 offset:32
.LBB138_93:
	s_or_b64 exec, exec, s[0:1]
	s_waitcnt vmcnt(2)
	v_cmp_lt_i32_e32 vcc, -1, v22
	v_cndmask_b32_e32 v1, -1, v23, vcc
	v_xor_b32_e32 v22, v1, v22
	v_cmp_ne_u32_e32 vcc, s2, v22
	v_cndmask_b32_e32 v1, v23, v22, vcc
	v_lshrrev_b32_e32 v1, s48, v1
	v_and_b32_e32 v2, s14, v1
	v_lshl_add_u32 v1, v2, 3, v2
	v_add_lshl_u32 v25, v19, v1, 2
	v_and_b32_e32 v1, 1, v2
	v_add_co_u32_e32 v3, vcc, -1, v1
	v_addc_co_u32_e64 v26, s[0:1], 0, -1, vcc
	v_cmp_ne_u32_e32 vcc, 0, v1
	v_xor_b32_e32 v1, vcc_hi, v26
	v_and_b32_e32 v26, exec_hi, v1
	v_lshlrev_b32_e32 v1, 30, v2
	v_xor_b32_e32 v3, vcc_lo, v3
	v_cmp_gt_i64_e32 vcc, 0, v[0:1]
	v_not_b32_e32 v1, v1
	v_ashrrev_i32_e32 v1, 31, v1
	v_and_b32_e32 v3, exec_lo, v3
	v_xor_b32_e32 v27, vcc_hi, v1
	v_xor_b32_e32 v1, vcc_lo, v1
	v_and_b32_e32 v3, v3, v1
	v_lshlrev_b32_e32 v1, 29, v2
	v_cmp_gt_i64_e32 vcc, 0, v[0:1]
	v_not_b32_e32 v1, v1
	v_ashrrev_i32_e32 v1, 31, v1
	v_and_b32_e32 v26, v26, v27
	v_xor_b32_e32 v27, vcc_hi, v1
	v_xor_b32_e32 v1, vcc_lo, v1
	v_and_b32_e32 v3, v3, v1
	v_lshlrev_b32_e32 v1, 28, v2
	v_cmp_gt_i64_e32 vcc, 0, v[0:1]
	v_not_b32_e32 v1, v1
	v_ashrrev_i32_e32 v1, 31, v1
	v_and_b32_e32 v26, v26, v27
	;; [unrolled: 8-line block ×5, first 2 shown]
	v_xor_b32_e32 v27, vcc_hi, v1
	v_xor_b32_e32 v1, vcc_lo, v1
	v_and_b32_e32 v3, v3, v1
	v_lshlrev_b32_e32 v1, 24, v2
	v_cmp_gt_i64_e32 vcc, 0, v[0:1]
	v_not_b32_e32 v0, v1
	v_ashrrev_i32_e32 v0, 31, v0
	v_xor_b32_e32 v1, vcc_hi, v0
	v_xor_b32_e32 v0, vcc_lo, v0
	; wave barrier
	ds_read_b32 v23, v25 offset:32
	v_and_b32_e32 v26, v26, v27
	v_and_b32_e32 v0, v3, v0
	;; [unrolled: 1-line block ×3, first 2 shown]
	v_mbcnt_lo_u32_b32 v2, v0, 0
	v_mbcnt_hi_u32_b32 v26, v1, v2
	v_cmp_eq_u32_e32 vcc, 0, v26
	v_cmp_ne_u64_e64 s[0:1], 0, v[0:1]
	s_and_b64 s[2:3], s[0:1], vcc
	; wave barrier
	s_and_saveexec_b64 s[0:1], s[2:3]
	s_cbranch_execz .LBB138_95
; %bb.94:
	v_bcnt_u32_b32 v0, v0, 0
	v_bcnt_u32_b32 v0, v1, v0
	s_waitcnt lgkmcnt(0)
	v_add_u32_e32 v0, v23, v0
	ds_write_b32 v25, v0 offset:32
.LBB138_95:
	s_or_b64 exec, exec, s[0:1]
	v_bfrev_b32_e32 v31, 1
	s_waitcnt vmcnt(1)
	v_cmp_lt_i32_e32 vcc, -1, v24
	v_cndmask_b32_e32 v0, -1, v31, vcc
	v_xor_b32_e32 v27, v0, v24
	s_brev_b32 s2, -2
	v_cmp_ne_u32_e32 vcc, s2, v27
	v_cndmask_b32_e32 v0, v31, v27, vcc
	v_lshrrev_b32_e32 v0, s48, v0
	v_and_b32_e32 v2, s14, v0
	v_and_b32_e32 v1, 1, v2
	v_add_co_u32_e32 v3, vcc, -1, v1
	v_addc_co_u32_e64 v29, s[0:1], 0, -1, vcc
	v_cmp_ne_u32_e32 vcc, 0, v1
	v_lshl_add_u32 v0, v2, 3, v2
	v_xor_b32_e32 v1, vcc_hi, v29
	v_add_lshl_u32 v24, v19, v0, 2
	v_mov_b32_e32 v0, 0
	v_and_b32_e32 v29, exec_hi, v1
	v_lshlrev_b32_e32 v1, 30, v2
	v_xor_b32_e32 v3, vcc_lo, v3
	v_cmp_gt_i64_e32 vcc, 0, v[0:1]
	v_not_b32_e32 v1, v1
	v_ashrrev_i32_e32 v1, 31, v1
	v_and_b32_e32 v3, exec_lo, v3
	v_xor_b32_e32 v30, vcc_hi, v1
	v_xor_b32_e32 v1, vcc_lo, v1
	v_and_b32_e32 v3, v3, v1
	v_lshlrev_b32_e32 v1, 29, v2
	v_cmp_gt_i64_e32 vcc, 0, v[0:1]
	v_not_b32_e32 v1, v1
	v_ashrrev_i32_e32 v1, 31, v1
	v_and_b32_e32 v29, v29, v30
	v_xor_b32_e32 v30, vcc_hi, v1
	v_xor_b32_e32 v1, vcc_lo, v1
	v_and_b32_e32 v3, v3, v1
	v_lshlrev_b32_e32 v1, 28, v2
	v_cmp_gt_i64_e32 vcc, 0, v[0:1]
	v_not_b32_e32 v1, v1
	v_ashrrev_i32_e32 v1, 31, v1
	v_and_b32_e32 v29, v29, v30
	;; [unrolled: 8-line block ×5, first 2 shown]
	v_xor_b32_e32 v30, vcc_hi, v1
	v_xor_b32_e32 v1, vcc_lo, v1
	v_and_b32_e32 v29, v29, v30
	v_and_b32_e32 v30, v3, v1
	v_lshlrev_b32_e32 v1, 24, v2
	v_cmp_gt_i64_e32 vcc, 0, v[0:1]
	v_not_b32_e32 v1, v1
	v_ashrrev_i32_e32 v1, 31, v1
	v_xor_b32_e32 v2, vcc_hi, v1
	v_xor_b32_e32 v1, vcc_lo, v1
	; wave barrier
	ds_read_b32 v28, v24 offset:32
	v_and_b32_e32 v3, v29, v2
	v_and_b32_e32 v2, v30, v1
	v_mbcnt_lo_u32_b32 v1, v2, 0
	v_mbcnt_hi_u32_b32 v29, v3, v1
	v_cmp_eq_u32_e32 vcc, 0, v29
	v_cmp_ne_u64_e64 s[0:1], 0, v[2:3]
	s_and_b64 s[4:5], s[0:1], vcc
	; wave barrier
	s_and_saveexec_b64 s[0:1], s[4:5]
	s_cbranch_execz .LBB138_97
; %bb.96:
	v_bcnt_u32_b32 v1, v2, 0
	v_bcnt_u32_b32 v1, v3, v1
	s_waitcnt lgkmcnt(0)
	v_add_u32_e32 v1, v28, v1
	ds_write_b32 v24, v1 offset:32
.LBB138_97:
	s_or_b64 exec, exec, s[0:1]
	s_waitcnt vmcnt(0)
	v_cmp_lt_i32_e32 vcc, -1, v18
	v_cndmask_b32_e32 v1, -1, v31, vcc
	v_xor_b32_e32 v30, v1, v18
	v_cmp_ne_u32_e32 vcc, s2, v30
	v_cndmask_b32_e32 v1, v31, v30, vcc
	v_lshrrev_b32_e32 v1, s48, v1
	v_and_b32_e32 v2, s14, v1
	v_lshl_add_u32 v1, v2, 3, v2
	v_add_lshl_u32 v19, v1, v19, 2
	v_and_b32_e32 v1, 1, v2
	v_add_co_u32_e32 v3, vcc, -1, v1
	v_addc_co_u32_e64 v18, s[0:1], 0, -1, vcc
	v_cmp_ne_u32_e32 vcc, 0, v1
	v_xor_b32_e32 v1, vcc_hi, v18
	v_and_b32_e32 v18, exec_hi, v1
	v_lshlrev_b32_e32 v1, 30, v2
	v_xor_b32_e32 v3, vcc_lo, v3
	v_cmp_gt_i64_e32 vcc, 0, v[0:1]
	v_not_b32_e32 v1, v1
	v_ashrrev_i32_e32 v1, 31, v1
	v_and_b32_e32 v3, exec_lo, v3
	v_xor_b32_e32 v33, vcc_hi, v1
	v_xor_b32_e32 v1, vcc_lo, v1
	v_and_b32_e32 v3, v3, v1
	v_lshlrev_b32_e32 v1, 29, v2
	v_cmp_gt_i64_e32 vcc, 0, v[0:1]
	v_not_b32_e32 v1, v1
	v_ashrrev_i32_e32 v1, 31, v1
	v_and_b32_e32 v18, v18, v33
	v_xor_b32_e32 v33, vcc_hi, v1
	v_xor_b32_e32 v1, vcc_lo, v1
	v_and_b32_e32 v3, v3, v1
	v_lshlrev_b32_e32 v1, 28, v2
	v_cmp_gt_i64_e32 vcc, 0, v[0:1]
	v_not_b32_e32 v1, v1
	v_ashrrev_i32_e32 v1, 31, v1
	v_and_b32_e32 v18, v18, v33
	;; [unrolled: 8-line block ×5, first 2 shown]
	v_xor_b32_e32 v33, vcc_hi, v1
	v_xor_b32_e32 v1, vcc_lo, v1
	v_and_b32_e32 v3, v3, v1
	v_lshlrev_b32_e32 v1, 24, v2
	v_cmp_gt_i64_e32 vcc, 0, v[0:1]
	v_not_b32_e32 v0, v1
	v_ashrrev_i32_e32 v0, 31, v0
	v_xor_b32_e32 v1, vcc_hi, v0
	v_xor_b32_e32 v0, vcc_lo, v0
	; wave barrier
	ds_read_b32 v31, v19 offset:32
	v_and_b32_e32 v18, v18, v33
	v_and_b32_e32 v0, v3, v0
	;; [unrolled: 1-line block ×3, first 2 shown]
	v_mbcnt_lo_u32_b32 v2, v0, 0
	v_mbcnt_hi_u32_b32 v33, v1, v2
	v_cmp_eq_u32_e32 vcc, 0, v33
	v_cmp_ne_u64_e64 s[0:1], 0, v[0:1]
	v_add_u32_e32 v32, 32, v5
	s_and_b64 s[2:3], s[0:1], vcc
	; wave barrier
	s_and_saveexec_b64 s[0:1], s[2:3]
	s_cbranch_execz .LBB138_99
; %bb.98:
	v_bcnt_u32_b32 v0, v0, 0
	v_bcnt_u32_b32 v0, v1, v0
	s_waitcnt lgkmcnt(0)
	v_add_u32_e32 v0, v31, v0
	ds_write_b32 v19, v0 offset:32
.LBB138_99:
	s_or_b64 exec, exec, s[0:1]
	; wave barrier
	s_waitcnt lgkmcnt(0)
	s_barrier
	ds_read2_b32 v[2:3], v5 offset0:8 offset1:9
	ds_read2_b32 v[0:1], v32 offset0:2 offset1:3
	ds_read_b32 v18, v32 offset:16
	v_min_u32_e32 v6, 0x1c0, v6
	v_or_b32_e32 v6, 63, v6
	s_waitcnt lgkmcnt(1)
	v_add3_u32 v34, v3, v2, v0
	s_waitcnt lgkmcnt(0)
	v_add3_u32 v18, v34, v1, v18
	v_and_b32_e32 v34, 15, v11
	v_cmp_ne_u32_e32 vcc, 0, v34
	v_mov_b32_dpp v35, v18 row_shr:1 row_mask:0xf bank_mask:0xf
	v_cndmask_b32_e32 v35, 0, v35, vcc
	v_add_u32_e32 v18, v35, v18
	v_cmp_lt_u32_e32 vcc, 1, v34
	s_nop 0
	v_mov_b32_dpp v35, v18 row_shr:2 row_mask:0xf bank_mask:0xf
	v_cndmask_b32_e32 v35, 0, v35, vcc
	v_add_u32_e32 v18, v18, v35
	v_cmp_lt_u32_e32 vcc, 3, v34
	s_nop 0
	;; [unrolled: 5-line block ×3, first 2 shown]
	v_mov_b32_dpp v35, v18 row_shr:8 row_mask:0xf bank_mask:0xf
	v_cndmask_b32_e32 v34, 0, v35, vcc
	v_add_u32_e32 v18, v18, v34
	v_bfe_i32 v35, v11, 4, 1
	v_cmp_lt_u32_e32 vcc, 31, v11
	v_mov_b32_dpp v34, v18 row_bcast:15 row_mask:0xf bank_mask:0xf
	v_and_b32_e32 v34, v35, v34
	v_add_u32_e32 v18, v18, v34
	v_lshrrev_b32_e32 v35, 6, v8
	s_nop 0
	v_mov_b32_dpp v34, v18 row_bcast:31 row_mask:0xf bank_mask:0xf
	v_cndmask_b32_e32 v34, 0, v34, vcc
	v_add_u32_e32 v34, v18, v34
	v_cmp_eq_u32_e32 vcc, v6, v8
	s_and_saveexec_b64 s[0:1], vcc
	s_cbranch_execz .LBB138_101
; %bb.100:
	v_lshlrev_b32_e32 v6, 2, v35
	ds_write_b32 v6, v34
.LBB138_101:
	s_or_b64 exec, exec, s[0:1]
	v_cmp_gt_u32_e32 vcc, 8, v8
	v_lshlrev_b32_e32 v18, 2, v8
	s_waitcnt lgkmcnt(0)
	s_barrier
	s_and_saveexec_b64 s[0:1], vcc
	s_cbranch_execz .LBB138_103
; %bb.102:
	ds_read_b32 v6, v18
	v_and_b32_e32 v36, 7, v11
	v_cmp_ne_u32_e32 vcc, 0, v36
	s_waitcnt lgkmcnt(0)
	v_mov_b32_dpp v37, v6 row_shr:1 row_mask:0xf bank_mask:0xf
	v_cndmask_b32_e32 v37, 0, v37, vcc
	v_add_u32_e32 v6, v37, v6
	v_cmp_lt_u32_e32 vcc, 1, v36
	s_nop 0
	v_mov_b32_dpp v37, v6 row_shr:2 row_mask:0xf bank_mask:0xf
	v_cndmask_b32_e32 v37, 0, v37, vcc
	v_add_u32_e32 v6, v6, v37
	v_cmp_lt_u32_e32 vcc, 3, v36
	s_nop 0
	v_mov_b32_dpp v37, v6 row_shr:4 row_mask:0xf bank_mask:0xf
	v_cndmask_b32_e32 v36, 0, v37, vcc
	v_add_u32_e32 v6, v6, v36
	ds_write_b32 v18, v6
.LBB138_103:
	s_or_b64 exec, exec, s[0:1]
	v_cmp_lt_u32_e32 vcc, 63, v8
	v_mov_b32_e32 v6, 0
	s_waitcnt lgkmcnt(0)
	s_barrier
	s_and_saveexec_b64 s[0:1], vcc
	s_cbranch_execz .LBB138_105
; %bb.104:
	v_lshl_add_u32 v6, v35, 2, -4
	ds_read_b32 v6, v6
.LBB138_105:
	s_or_b64 exec, exec, s[0:1]
	v_add_u32_e32 v35, -1, v11
	v_and_b32_e32 v36, 64, v11
	v_cmp_lt_i32_e32 vcc, v35, v36
	v_cndmask_b32_e32 v35, v35, v11, vcc
	s_waitcnt lgkmcnt(0)
	v_add_u32_e32 v34, v6, v34
	v_lshlrev_b32_e32 v35, 2, v35
	ds_bpermute_b32 v34, v35, v34
	v_cmp_eq_u32_e32 vcc, 0, v11
	s_movk_i32 s2, 0xff
	s_movk_i32 s3, 0x100
	v_cmp_lt_u32_e64 s[0:1], s2, v8
	s_waitcnt lgkmcnt(0)
	v_cndmask_b32_e32 v6, v34, v6, vcc
	v_cmp_ne_u32_e32 vcc, 0, v8
	v_cndmask_b32_e32 v6, 0, v6, vcc
	v_add_u32_e32 v2, v6, v2
	v_add_u32_e32 v3, v2, v3
	;; [unrolled: 1-line block ×4, first 2 shown]
	ds_write2_b32 v5, v6, v2 offset0:8 offset1:9
	ds_write2_b32 v32, v3, v0 offset0:2 offset1:3
	ds_write_b32 v32, v1 offset:16
	s_waitcnt lgkmcnt(0)
	s_barrier
	ds_read_b32 v2, v7 offset:32
	ds_read_b32 v3, v14 offset:32
	;; [unrolled: 1-line block ×6, first 2 shown]
	v_cmp_gt_u32_e32 vcc, s3, v8
	v_pk_mov_b32 v[0:1], 0, 0
                                        ; implicit-def: $vgpr14
	s_and_saveexec_b64 s[4:5], vcc
	s_cbranch_execz .LBB138_109
; %bb.106:
	v_mul_u32_u24_e32 v0, 9, v8
	v_lshlrev_b32_e32 v14, 2, v0
	ds_read_b32 v0, v14 offset:32
	v_cmp_ne_u32_e64 s[2:3], s2, v8
	v_mov_b32_e32 v1, 0xc00
	s_and_saveexec_b64 s[10:11], s[2:3]
	s_cbranch_execz .LBB138_108
; %bb.107:
	ds_read_b32 v1, v14 offset:68
.LBB138_108:
	s_or_b64 exec, exec, s[10:11]
	s_waitcnt lgkmcnt(0)
	v_sub_u32_e32 v14, v1, v0
	v_mov_b32_e32 v1, 0
.LBB138_109:
	s_or_b64 exec, exec, s[4:5]
	s_waitcnt lgkmcnt(5)
	v_add_u32_e32 v24, v2, v9
	s_waitcnt lgkmcnt(4)
	v_add3_u32 v20, v15, v13, v3
	v_lshlrev_b32_e32 v2, 2, v24
	s_waitcnt lgkmcnt(3)
	v_add3_u32 v19, v21, v17, v5
	s_waitcnt lgkmcnt(0)
	s_barrier
	ds_write_b32 v2, v4 offset:2048
	v_lshlrev_b32_e32 v2, 2, v20
	v_add3_u32 v17, v26, v23, v6
	ds_write_b32 v2, v12 offset:2048
	v_lshlrev_b32_e32 v2, 2, v19
	v_add3_u32 v15, v29, v28, v7
	;; [unrolled: 3-line block ×3, first 2 shown]
	ds_write_b32 v2, v22 offset:2048
	v_lshlrev_b32_e32 v2, 2, v15
	ds_write_b32 v2, v27 offset:2048
	v_lshlrev_b32_e32 v2, 2, v13
	ds_write_b32 v2, v30 offset:2048
	s_waitcnt lgkmcnt(0)
	s_barrier
	s_and_saveexec_b64 s[2:3], s[0:1]
	s_xor_b64 s[0:1], exec, s[2:3]
; %bb.110:
	v_mov_b32_e32 v9, 0
; %bb.111:
	s_andn2_saveexec_b64 s[2:3], s[0:1]
	s_cbranch_execz .LBB138_121
; %bb.112:
	v_lshl_or_b32 v2, s6, 8, v8
	v_mov_b32_e32 v3, 0
	v_lshlrev_b64 v[4:5], 2, v[2:3]
	v_mov_b32_e32 v9, s35
	v_add_co_u32_e64 v4, s[0:1], s34, v4
	v_addc_co_u32_e64 v5, s[0:1], v9, v5, s[0:1]
	v_or_b32_e32 v2, 2.0, v14
	s_mov_b64 s[4:5], 0
	s_brev_b32 s15, 1
	s_mov_b32 s16, s6
	v_mov_b32_e32 v12, 0
	global_store_dword v[4:5], v2, off
                                        ; implicit-def: $sgpr0_sgpr1
	s_branch .LBB138_115
.LBB138_113:                            ;   in Loop: Header=BB138_115 Depth=1
	s_or_b64 exec, exec, s[12:13]
.LBB138_114:                            ;   in Loop: Header=BB138_115 Depth=1
	s_or_b64 exec, exec, s[10:11]
	v_and_b32_e32 v6, 0x3fffffff, v16
	v_add_u32_e32 v12, v6, v12
	v_cmp_eq_u32_e64 s[0:1], s15, v2
	s_and_b64 s[10:11], exec, s[0:1]
	s_or_b64 s[4:5], s[10:11], s[4:5]
	s_andn2_b64 exec, exec, s[4:5]
	s_cbranch_execz .LBB138_120
.LBB138_115:                            ; =>This Loop Header: Depth=1
                                        ;     Child Loop BB138_118 Depth 2
	s_or_b64 s[0:1], s[0:1], exec
	s_cmp_eq_u32 s16, 0
	s_cbranch_scc1 .LBB138_119
; %bb.116:                              ;   in Loop: Header=BB138_115 Depth=1
	s_add_i32 s16, s16, -1
	v_lshl_or_b32 v2, s16, 8, v8
	v_lshlrev_b64 v[6:7], 2, v[2:3]
	v_add_co_u32_e64 v6, s[0:1], s34, v6
	v_addc_co_u32_e64 v7, s[0:1], v9, v7, s[0:1]
	global_load_dword v16, v[6:7], off glc
	s_waitcnt vmcnt(0)
	v_and_b32_e32 v2, -2.0, v16
	v_cmp_eq_u32_e64 s[0:1], 0, v2
	s_and_saveexec_b64 s[10:11], s[0:1]
	s_cbranch_execz .LBB138_114
; %bb.117:                              ;   in Loop: Header=BB138_115 Depth=1
	s_mov_b64 s[12:13], 0
.LBB138_118:                            ;   Parent Loop BB138_115 Depth=1
                                        ; =>  This Inner Loop Header: Depth=2
	global_load_dword v16, v[6:7], off glc
	s_waitcnt vmcnt(0)
	v_and_b32_e32 v2, -2.0, v16
	v_cmp_ne_u32_e64 s[0:1], 0, v2
	s_or_b64 s[12:13], s[0:1], s[12:13]
	s_andn2_b64 exec, exec, s[12:13]
	s_cbranch_execnz .LBB138_118
	s_branch .LBB138_113
.LBB138_119:                            ;   in Loop: Header=BB138_115 Depth=1
                                        ; implicit-def: $sgpr16
	s_and_b64 s[10:11], exec, s[0:1]
	s_or_b64 s[4:5], s[10:11], s[4:5]
	s_andn2_b64 exec, exec, s[4:5]
	s_cbranch_execnz .LBB138_115
.LBB138_120:
	s_or_b64 exec, exec, s[4:5]
	v_add_u32_e32 v2, v12, v14
	v_or_b32_e32 v2, 0x80000000, v2
	global_store_dword v[4:5], v2, off
	v_lshlrev_b32_e32 v4, 3, v8
	global_load_dwordx2 v[2:3], v4, s[44:45]
	v_sub_co_u32_e64 v5, s[0:1], v12, v0
	v_subb_co_u32_e64 v6, s[0:1], 0, v1, s[0:1]
	v_mov_b32_e32 v9, 0
	s_waitcnt vmcnt(0)
	v_add_co_u32_e64 v2, s[0:1], v5, v2
	v_addc_co_u32_e64 v3, s[0:1], v6, v3, s[0:1]
	ds_write_b64 v4, v[2:3]
.LBB138_121:
	s_or_b64 exec, exec, s[2:3]
	s_waitcnt lgkmcnt(0)
	s_barrier
	ds_read2st64_b32 v[2:3], v18 offset0:16 offset1:24
	ds_read2st64_b32 v[4:5], v18 offset0:32 offset1:40
	s_brev_b32 s2, -2
	v_bfrev_b32_e32 v12, 1
	v_lshlrev_b32_e32 v6, 2, v8
	s_waitcnt lgkmcnt(1)
	v_cmp_ne_u32_e64 s[0:1], s2, v2
	v_cndmask_b32_e64 v7, v12, v2, s[0:1]
	ds_read_b32 v21, v18 offset:12288
	ds_read_b32 v28, v6 offset:2048
	v_lshrrev_b32_e32 v7, s48, v7
	v_and_b32_e32 v7, s14, v7
	s_waitcnt lgkmcnt(2)
	v_cmp_ne_u32_e64 s[0:1], s2, v4
	v_lshlrev_b32_e32 v16, 3, v7
	v_cndmask_b32_e64 v7, v12, v4, s[0:1]
	v_lshrrev_b32_e32 v7, s48, v7
	v_and_b32_e32 v7, s14, v7
	s_waitcnt lgkmcnt(1)
	v_cmp_ne_u32_e64 s[0:1], s2, v21
	v_lshlrev_b32_e32 v25, 3, v7
	v_cndmask_b32_e64 v7, v12, v21, s[0:1]
	s_waitcnt lgkmcnt(0)
	v_cmp_ne_u32_e64 s[0:1], s2, v28
	v_cndmask_b32_e64 v29, v12, v28, s[0:1]
	v_cmp_lt_i32_e64 s[0:1], -1, v28
	v_cndmask_b32_e64 v30, v12, -1, s[0:1]
	v_cmp_ne_u32_e64 s[0:1], s2, v3
	v_xor_b32_e32 v36, v30, v28
	v_cndmask_b32_e64 v28, v12, v3, s[0:1]
	v_lshrrev_b32_e32 v29, s48, v29
	v_lshrrev_b32_e32 v28, s48, v28
	;; [unrolled: 1-line block ×3, first 2 shown]
	v_and_b32_e32 v29, s14, v29
	v_and_b32_e32 v28, s14, v28
	v_cmp_ne_u32_e64 s[0:1], s2, v5
	v_and_b32_e32 v7, s14, v7
	v_lshlrev_b32_e32 v43, 3, v29
	v_lshlrev_b32_e32 v44, 3, v28
	v_cndmask_b32_e64 v28, v12, v5, s[0:1]
	v_lshlrev_b32_e32 v42, 3, v7
	ds_read_b64 v[6:7], v16
	ds_read_b64 v[22:23], v25
	;; [unrolled: 1-line block ×3, first 2 shown]
	v_lshrrev_b32_e32 v30, s48, v28
	ds_read_b64 v[28:29], v43
	v_mov_b32_e32 v34, s39
	v_and_b32_e32 v30, s14, v30
	v_lshlrev_b32_e32 v45, 3, v30
	ds_read_b64 v[30:31], v44
	ds_read_b64 v[32:33], v45
	s_waitcnt lgkmcnt(2)
	v_lshlrev_b64 v[28:29], 2, v[28:29]
	v_add_co_u32_e64 v35, s[0:1], s38, v28
	v_addc_co_u32_e64 v37, s[0:1], v34, v29, s[0:1]
	v_lshlrev_b64 v[28:29], 2, v[8:9]
	v_add_co_u32_e64 v34, s[0:1], v35, v28
	v_addc_co_u32_e64 v35, s[0:1], v37, v29, s[0:1]
	v_cmp_lt_i32_e64 s[0:1], -1, v2
	global_store_dword v[34:35], v36, off
	v_cndmask_b32_e64 v34, v12, -1, s[0:1]
	v_lshlrev_b64 v[6:7], 2, v[6:7]
	v_xor_b32_e32 v2, v34, v2
	v_mov_b32_e32 v34, s39
	v_add_co_u32_e64 v40, s[0:1], s38, v6
	v_addc_co_u32_e64 v41, s[0:1], v34, v7, s[0:1]
	s_lshl_b64 s[0:1], s[30:31], 3
	s_add_u32 s0, s40, s0
	s_addc_u32 s1, s41, s1
	v_lshlrev_b32_e32 v6, 3, v11
	v_mov_b32_e32 v7, s1
	v_add_co_u32_e64 v6, s[0:1], s0, v6
	v_addc_co_u32_e64 v7, s[0:1], 0, v7, s[0:1]
	v_lshlrev_b32_e32 v10, 3, v10
	v_add_co_u32_e64 v6, s[0:1], v6, v10
	v_addc_co_u32_e64 v7, s[0:1], 0, v7, s[0:1]
	global_load_dwordx2 v[10:11], v[6:7], off
	global_load_dwordx2 v[34:35], v[6:7], off offset:512
	global_load_dwordx2 v[36:37], v[6:7], off offset:1024
	;; [unrolled: 1-line block ×3, first 2 shown]
	v_add_co_u32_e64 v28, s[0:1], v40, v28
	v_addc_co_u32_e64 v29, s[0:1], v41, v29, s[0:1]
	global_load_dwordx2 v[40:41], v[6:7], off offset:2048
	v_cmp_lt_i32_e64 s[0:1], -1, v3
	global_load_dwordx2 v[6:7], v[6:7], off offset:2560
	s_movk_i32 s2, 0x800
	global_store_dword v[28:29], v2, off offset:2048
	v_cndmask_b32_e64 v2, v12, -1, s[0:1]
	v_xor_b32_e32 v29, v2, v3
	s_waitcnt lgkmcnt(1)
	v_lshlrev_b64 v[2:3], 2, v[30:31]
	v_or_b32_e32 v28, 0x400, v8
	v_mov_b32_e32 v30, s39
	v_add_co_u32_e64 v2, s[0:1], s38, v2
	v_addc_co_u32_e64 v3, s[0:1], v30, v3, s[0:1]
	v_lshlrev_b32_e32 v30, 2, v28
	v_add_co_u32_e64 v2, s[0:1], v2, v30
	v_addc_co_u32_e64 v3, s[0:1], 0, v3, s[0:1]
	v_cmp_lt_i32_e64 s[0:1], -1, v4
	global_store_dword v[2:3], v29, off
	v_cndmask_b32_e64 v2, v12, -1, s[0:1]
	v_xor_b32_e32 v4, v2, v4
	v_lshlrev_b64 v[2:3], 2, v[22:23]
	v_add_u32_e32 v29, 0x600, v8
	v_mov_b32_e32 v22, s39
	v_add_co_u32_e64 v2, s[0:1], s38, v2
	v_addc_co_u32_e64 v3, s[0:1], v22, v3, s[0:1]
	v_lshlrev_b32_e32 v22, 2, v29
	v_add_co_u32_e64 v2, s[0:1], v2, v22
	v_addc_co_u32_e64 v3, s[0:1], 0, v3, s[0:1]
	v_cmp_lt_i32_e64 s[0:1], -1, v5
	global_store_dword v[2:3], v4, off
	v_cndmask_b32_e64 v2, v12, -1, s[0:1]
	v_xor_b32_e32 v4, v2, v5
	s_waitcnt lgkmcnt(0)
	v_lshlrev_b64 v[2:3], 2, v[32:33]
	v_or_b32_e32 v22, 0x800, v8
	v_mov_b32_e32 v5, s39
	v_add_co_u32_e64 v2, s[0:1], s38, v2
	v_addc_co_u32_e64 v3, s[0:1], v5, v3, s[0:1]
	v_lshlrev_b32_e32 v5, 2, v22
	v_add_co_u32_e64 v2, s[0:1], v2, v5
	v_addc_co_u32_e64 v3, s[0:1], 0, v3, s[0:1]
	v_cmp_lt_i32_e64 s[0:1], -1, v21
	global_store_dword v[2:3], v4, off
	v_cndmask_b32_e64 v2, v12, -1, s[0:1]
	v_xor_b32_e32 v4, v2, v21
	v_lshlrev_b64 v[2:3], 2, v[26:27]
	v_add_u32_e32 v23, 0xa00, v8
	v_mov_b32_e32 v5, s39
	v_add_co_u32_e64 v2, s[0:1], s38, v2
	v_addc_co_u32_e64 v3, s[0:1], v5, v3, s[0:1]
	v_lshlrev_b32_e32 v5, 2, v23
	v_add_co_u32_e64 v2, s[0:1], v2, v5
	v_addc_co_u32_e64 v3, s[0:1], 0, v3, s[0:1]
	global_store_dword v[2:3], v4, off
	v_lshlrev_b32_e32 v2, 3, v24
	s_barrier
	s_waitcnt vmcnt(10)
	ds_write_b64 v2, v[10:11] offset:2048
	v_lshlrev_b32_e32 v2, 3, v20
	s_waitcnt vmcnt(9)
	ds_write_b64 v2, v[34:35] offset:2048
	v_lshlrev_b32_e32 v2, 3, v19
	;; [unrolled: 3-line block ×5, first 2 shown]
	s_waitcnt vmcnt(5)
	ds_write_b64 v2, v[6:7] offset:2048
	s_waitcnt lgkmcnt(0)
	s_barrier
	ds_read_b64 v[2:3], v43
	v_mov_b32_e32 v5, s43
	v_lshlrev_b32_e32 v4, 3, v8
	ds_read_b64 v[6:7], v16
	ds_read_b64 v[10:11], v44
	;; [unrolled: 1-line block ×3, first 2 shown]
	v_mov_b32_e32 v24, s43
	s_waitcnt lgkmcnt(3)
	v_lshlrev_b64 v[2:3], 3, v[2:3]
	v_add_co_u32_e64 v15, s[0:1], s42, v2
	v_addc_co_u32_e64 v5, s[0:1], v5, v3, s[0:1]
	v_lshlrev_b64 v[2:3], 3, v[8:9]
	v_add_co_u32_e64 v2, s[0:1], v15, v2
	v_addc_co_u32_e64 v3, s[0:1], v5, v3, s[0:1]
	ds_read_b64 v[4:5], v4 offset:2048
	v_add3_u32 v15, v18, s2, v18
	s_waitcnt lgkmcnt(3)
	v_lshlrev_b64 v[6:7], 3, v[6:7]
	ds_read_b64 v[16:17], v45
	ds_read_b64 v[18:19], v15 offset:20480
	ds_read_b64 v[20:21], v42
	v_add_co_u32_e64 v6, s[0:1], s42, v6
	s_waitcnt lgkmcnt(3)
	global_store_dwordx2 v[2:3], v[4:5], off
	ds_read2st64_b64 v[2:5], v15 offset0:8 offset1:16
	v_addc_co_u32_e64 v7, s[0:1], v24, v7, s[0:1]
	v_mov_b32_e32 v24, 0x1000
	v_lshl_add_u32 v24, v8, 3, v24
	v_add_co_u32_e64 v6, s[0:1], v6, v24
	v_addc_co_u32_e64 v7, s[0:1], 0, v7, s[0:1]
	s_waitcnt lgkmcnt(0)
	global_store_dwordx2 v[6:7], v[2:3], off
	v_lshlrev_b64 v[2:3], 3, v[10:11]
	v_mov_b32_e32 v6, s43
	v_add_co_u32_e64 v2, s[0:1], s42, v2
	v_addc_co_u32_e64 v3, s[0:1], v6, v3, s[0:1]
	v_lshlrev_b32_e32 v6, 3, v28
	v_add_co_u32_e64 v2, s[0:1], v2, v6
	v_addc_co_u32_e64 v3, s[0:1], 0, v3, s[0:1]
	global_store_dwordx2 v[2:3], v[4:5], off
	ds_read2st64_b64 v[2:5], v15 offset0:24 offset1:32
	v_lshlrev_b64 v[6:7], 3, v[12:13]
	v_mov_b32_e32 v10, s43
	v_add_co_u32_e64 v6, s[0:1], s42, v6
	v_addc_co_u32_e64 v7, s[0:1], v10, v7, s[0:1]
	v_lshlrev_b32_e32 v10, 3, v29
	v_add_co_u32_e64 v6, s[0:1], v6, v10
	v_addc_co_u32_e64 v7, s[0:1], 0, v7, s[0:1]
	s_waitcnt lgkmcnt(0)
	global_store_dwordx2 v[6:7], v[2:3], off
	v_lshlrev_b64 v[2:3], 3, v[16:17]
	v_mov_b32_e32 v6, s43
	v_add_co_u32_e64 v2, s[0:1], s42, v2
	v_addc_co_u32_e64 v3, s[0:1], v6, v3, s[0:1]
	v_lshlrev_b32_e32 v6, 3, v22
	v_add_co_u32_e64 v2, s[0:1], v2, v6
	v_addc_co_u32_e64 v3, s[0:1], 0, v3, s[0:1]
	global_store_dwordx2 v[2:3], v[4:5], off
	v_lshlrev_b64 v[2:3], 3, v[20:21]
	v_mov_b32_e32 v4, s43
	v_add_co_u32_e64 v2, s[0:1], s42, v2
	v_addc_co_u32_e64 v3, s[0:1], v4, v3, s[0:1]
	v_lshlrev_b32_e32 v4, 3, v23
	v_add_co_u32_e64 v2, s[0:1], v2, v4
	s_add_i32 s7, s7, -1
	v_addc_co_u32_e64 v3, s[0:1], 0, v3, s[0:1]
	s_cmp_eq_u32 s6, s7
	s_cselect_b64 s[0:1], -1, 0
	s_and_b64 s[2:3], vcc, s[0:1]
	global_store_dwordx2 v[2:3], v[18:19], off
                                        ; implicit-def: $vgpr4_vgpr5
	s_and_saveexec_b64 s[0:1], s[2:3]
; %bb.122:
	v_add_co_u32_e32 v4, vcc, v0, v14
	v_addc_co_u32_e32 v5, vcc, 0, v1, vcc
	s_or_b64 s[8:9], s[8:9], exec
; %bb.123:
	s_or_b64 exec, exec, s[0:1]
.LBB138_124:
	s_and_saveexec_b64 s[0:1], s[8:9]
	s_cbranch_execnz .LBB138_126
; %bb.125:
	s_endpgm
.LBB138_126:
	v_lshlrev_b32_e32 v2, 3, v8
	ds_read_b64 v[2:3], v2
	v_lshlrev_b64 v[0:1], 3, v[8:9]
	v_mov_b32_e32 v6, s47
	v_add_co_u32_e32 v0, vcc, s46, v0
	v_addc_co_u32_e32 v1, vcc, v6, v1, vcc
	s_waitcnt lgkmcnt(0)
	v_add_co_u32_e32 v2, vcc, v2, v4
	v_addc_co_u32_e32 v3, vcc, v3, v5, vcc
	global_store_dwordx2 v[0:1], v[2:3], off
	s_endpgm
.LBB138_127:
	global_load_dwordx2 v[4:5], v[18:19], off
	s_or_b64 exec, exec, s[28:29]
                                        ; implicit-def: $vgpr6_vgpr7
	s_and_saveexec_b64 s[28:29], s[0:1]
	s_cbranch_execz .LBB138_59
.LBB138_128:
	global_load_dwordx2 v[6:7], v[18:19], off offset:512
	s_or_b64 exec, exec, s[28:29]
                                        ; implicit-def: $vgpr10_vgpr11
	s_and_saveexec_b64 s[0:1], s[2:3]
	s_cbranch_execz .LBB138_60
.LBB138_129:
	global_load_dwordx2 v[10:11], v[18:19], off offset:1024
	s_or_b64 exec, exec, s[0:1]
                                        ; implicit-def: $vgpr12_vgpr13
	s_and_saveexec_b64 s[0:1], s[26:27]
	s_cbranch_execz .LBB138_61
.LBB138_130:
	global_load_dwordx2 v[12:13], v[18:19], off offset:1536
	s_or_b64 exec, exec, s[0:1]
                                        ; implicit-def: $vgpr14_vgpr15
	s_and_saveexec_b64 s[0:1], s[8:9]
	s_cbranch_execz .LBB138_62
.LBB138_131:
	global_load_dwordx2 v[14:15], v[18:19], off offset:2048
	s_or_b64 exec, exec, s[0:1]
                                        ; implicit-def: $vgpr16_vgpr17
	s_and_saveexec_b64 s[0:1], s[10:11]
	s_cbranch_execnz .LBB138_63
	s_branch .LBB138_64
.LBB138_132:
	v_lshlrev_b32_e32 v5, 3, v35
	ds_read_b64 v[6:7], v5
	ds_read_b64 v[10:11], v4 offset:2048
	v_mov_b32_e32 v5, s43
	s_waitcnt lgkmcnt(1)
	v_lshlrev_b64 v[6:7], 3, v[6:7]
	v_add_co_u32_e32 v6, vcc, s42, v6
	v_addc_co_u32_e32 v5, vcc, v5, v7, vcc
	v_add_co_u32_e32 v6, vcc, v6, v4
	v_addc_co_u32_e32 v7, vcc, 0, v5, vcc
	s_waitcnt lgkmcnt(0)
	global_store_dwordx2 v[6:7], v[10:11], off
	s_or_b64 exec, exec, s[0:1]
	s_and_saveexec_b64 s[0:1], s[16:17]
	s_cbranch_execz .LBB138_78
.LBB138_133:
	v_lshlrev_b32_e32 v5, 3, v19
	ds_read_b64 v[6:7], v5
	ds_read_b64 v[10:11], v4 offset:6144
	v_mov_b32_e32 v5, s43
	s_waitcnt lgkmcnt(1)
	v_lshlrev_b64 v[6:7], 3, v[6:7]
	v_add_co_u32_e32 v6, vcc, s42, v6
	v_addc_co_u32_e32 v5, vcc, v5, v7, vcc
	v_lshlrev_b32_e32 v7, 3, v23
	v_add_co_u32_e32 v6, vcc, v6, v7
	v_addc_co_u32_e32 v7, vcc, 0, v5, vcc
	s_waitcnt lgkmcnt(0)
	global_store_dwordx2 v[6:7], v[10:11], off
	s_or_b64 exec, exec, s[0:1]
	s_and_saveexec_b64 s[0:1], s[18:19]
	s_cbranch_execz .LBB138_79
.LBB138_134:
	v_lshlrev_b32_e32 v5, 3, v34
	ds_read_b64 v[6:7], v5
	ds_read_b64 v[10:11], v4 offset:10240
	v_mov_b32_e32 v5, s43
	s_waitcnt lgkmcnt(1)
	v_lshlrev_b64 v[6:7], 3, v[6:7]
	v_add_co_u32_e32 v6, vcc, s42, v6
	v_addc_co_u32_e32 v5, vcc, v5, v7, vcc
	v_lshlrev_b32_e32 v7, 3, v29
	v_add_co_u32_e32 v6, vcc, v6, v7
	v_addc_co_u32_e32 v7, vcc, 0, v5, vcc
	s_waitcnt lgkmcnt(0)
	global_store_dwordx2 v[6:7], v[10:11], off
	s_or_b64 exec, exec, s[0:1]
	s_and_saveexec_b64 s[0:1], s[20:21]
	s_cbranch_execz .LBB138_80
.LBB138_135:
	v_lshlrev_b32_e32 v5, 3, v18
	ds_read_b64 v[6:7], v5
	ds_read_b64 v[10:11], v4 offset:14336
	v_mov_b32_e32 v5, s43
	s_waitcnt lgkmcnt(1)
	v_lshlrev_b64 v[6:7], 3, v[6:7]
	v_add_co_u32_e32 v6, vcc, s42, v6
	v_addc_co_u32_e32 v5, vcc, v5, v7, vcc
	v_lshlrev_b32_e32 v7, 3, v30
	v_add_co_u32_e32 v6, vcc, v6, v7
	v_addc_co_u32_e32 v7, vcc, 0, v5, vcc
	s_waitcnt lgkmcnt(0)
	global_store_dwordx2 v[6:7], v[10:11], off
	s_or_b64 exec, exec, s[0:1]
	s_and_saveexec_b64 s[0:1], s[22:23]
	s_cbranch_execz .LBB138_81
.LBB138_136:
	v_lshlrev_b32_e32 v5, 3, v33
	ds_read_b64 v[6:7], v5
	ds_read_b64 v[10:11], v4 offset:18432
	v_mov_b32_e32 v5, s43
	s_waitcnt lgkmcnt(1)
	v_lshlrev_b64 v[6:7], 3, v[6:7]
	v_add_co_u32_e32 v6, vcc, s42, v6
	v_addc_co_u32_e32 v5, vcc, v5, v7, vcc
	v_lshlrev_b32_e32 v7, 3, v31
	v_add_co_u32_e32 v6, vcc, v6, v7
	v_addc_co_u32_e32 v7, vcc, 0, v5, vcc
	s_waitcnt lgkmcnt(0)
	global_store_dwordx2 v[6:7], v[10:11], off
	s_or_b64 exec, exec, s[0:1]
	s_and_saveexec_b64 s[0:1], s[24:25]
	s_cbranch_execnz .LBB138_82
	s_branch .LBB138_83
	.section	.rodata,"a",@progbits
	.p2align	6, 0x0
	.amdhsa_kernel _ZN7rocprim17ROCPRIM_304000_NS6detail25onesweep_iteration_kernelINS1_34wrapped_radix_sort_onesweep_configINS0_14default_configEfN2at4cuda3cub6detail10OpaqueTypeILi8EEEEELb0EPKfPfPKSA_PSA_mNS0_19identity_decomposerEEEvT1_T2_T3_T4_jPT5_SO_PNS1_23onesweep_lookback_stateET6_jjj
		.amdhsa_group_segment_fixed_size 26624
		.amdhsa_private_segment_fixed_size 0
		.amdhsa_kernarg_size 336
		.amdhsa_user_sgpr_count 6
		.amdhsa_user_sgpr_private_segment_buffer 1
		.amdhsa_user_sgpr_dispatch_ptr 0
		.amdhsa_user_sgpr_queue_ptr 0
		.amdhsa_user_sgpr_kernarg_segment_ptr 1
		.amdhsa_user_sgpr_dispatch_id 0
		.amdhsa_user_sgpr_flat_scratch_init 0
		.amdhsa_user_sgpr_kernarg_preload_length 0
		.amdhsa_user_sgpr_kernarg_preload_offset 0
		.amdhsa_user_sgpr_private_segment_size 0
		.amdhsa_uses_dynamic_stack 0
		.amdhsa_system_sgpr_private_segment_wavefront_offset 0
		.amdhsa_system_sgpr_workgroup_id_x 1
		.amdhsa_system_sgpr_workgroup_id_y 0
		.amdhsa_system_sgpr_workgroup_id_z 0
		.amdhsa_system_sgpr_workgroup_info 0
		.amdhsa_system_vgpr_workitem_id 2
		.amdhsa_next_free_vgpr 46
		.amdhsa_next_free_sgpr 52
		.amdhsa_accum_offset 48
		.amdhsa_reserve_vcc 1
		.amdhsa_reserve_flat_scratch 0
		.amdhsa_float_round_mode_32 0
		.amdhsa_float_round_mode_16_64 0
		.amdhsa_float_denorm_mode_32 3
		.amdhsa_float_denorm_mode_16_64 3
		.amdhsa_dx10_clamp 1
		.amdhsa_ieee_mode 1
		.amdhsa_fp16_overflow 0
		.amdhsa_tg_split 0
		.amdhsa_exception_fp_ieee_invalid_op 0
		.amdhsa_exception_fp_denorm_src 0
		.amdhsa_exception_fp_ieee_div_zero 0
		.amdhsa_exception_fp_ieee_overflow 0
		.amdhsa_exception_fp_ieee_underflow 0
		.amdhsa_exception_fp_ieee_inexact 0
		.amdhsa_exception_int_div_zero 0
	.end_amdhsa_kernel
	.section	.text._ZN7rocprim17ROCPRIM_304000_NS6detail25onesweep_iteration_kernelINS1_34wrapped_radix_sort_onesweep_configINS0_14default_configEfN2at4cuda3cub6detail10OpaqueTypeILi8EEEEELb0EPKfPfPKSA_PSA_mNS0_19identity_decomposerEEEvT1_T2_T3_T4_jPT5_SO_PNS1_23onesweep_lookback_stateET6_jjj,"axG",@progbits,_ZN7rocprim17ROCPRIM_304000_NS6detail25onesweep_iteration_kernelINS1_34wrapped_radix_sort_onesweep_configINS0_14default_configEfN2at4cuda3cub6detail10OpaqueTypeILi8EEEEELb0EPKfPfPKSA_PSA_mNS0_19identity_decomposerEEEvT1_T2_T3_T4_jPT5_SO_PNS1_23onesweep_lookback_stateET6_jjj,comdat
.Lfunc_end138:
	.size	_ZN7rocprim17ROCPRIM_304000_NS6detail25onesweep_iteration_kernelINS1_34wrapped_radix_sort_onesweep_configINS0_14default_configEfN2at4cuda3cub6detail10OpaqueTypeILi8EEEEELb0EPKfPfPKSA_PSA_mNS0_19identity_decomposerEEEvT1_T2_T3_T4_jPT5_SO_PNS1_23onesweep_lookback_stateET6_jjj, .Lfunc_end138-_ZN7rocprim17ROCPRIM_304000_NS6detail25onesweep_iteration_kernelINS1_34wrapped_radix_sort_onesweep_configINS0_14default_configEfN2at4cuda3cub6detail10OpaqueTypeILi8EEEEELb0EPKfPfPKSA_PSA_mNS0_19identity_decomposerEEEvT1_T2_T3_T4_jPT5_SO_PNS1_23onesweep_lookback_stateET6_jjj
                                        ; -- End function
	.section	.AMDGPU.csdata,"",@progbits
; Kernel info:
; codeLenInByte = 12144
; NumSgprs: 56
; NumVgprs: 46
; NumAgprs: 0
; TotalNumVgprs: 46
; ScratchSize: 0
; MemoryBound: 0
; FloatMode: 240
; IeeeMode: 1
; LDSByteSize: 26624 bytes/workgroup (compile time only)
; SGPRBlocks: 6
; VGPRBlocks: 5
; NumSGPRsForWavesPerEU: 56
; NumVGPRsForWavesPerEU: 46
; AccumOffset: 48
; Occupancy: 4
; WaveLimiterHint : 1
; COMPUTE_PGM_RSRC2:SCRATCH_EN: 0
; COMPUTE_PGM_RSRC2:USER_SGPR: 6
; COMPUTE_PGM_RSRC2:TRAP_HANDLER: 0
; COMPUTE_PGM_RSRC2:TGID_X_EN: 1
; COMPUTE_PGM_RSRC2:TGID_Y_EN: 0
; COMPUTE_PGM_RSRC2:TGID_Z_EN: 0
; COMPUTE_PGM_RSRC2:TIDIG_COMP_CNT: 2
; COMPUTE_PGM_RSRC3_GFX90A:ACCUM_OFFSET: 11
; COMPUTE_PGM_RSRC3_GFX90A:TG_SPLIT: 0
	.section	.text._ZN7rocprim17ROCPRIM_304000_NS6detail25onesweep_iteration_kernelINS1_34wrapped_radix_sort_onesweep_configINS0_14default_configEfN2at4cuda3cub6detail10OpaqueTypeILi8EEEEELb0EPfSC_PSA_SD_mNS0_19identity_decomposerEEEvT1_T2_T3_T4_jPT5_SK_PNS1_23onesweep_lookback_stateET6_jjj,"axG",@progbits,_ZN7rocprim17ROCPRIM_304000_NS6detail25onesweep_iteration_kernelINS1_34wrapped_radix_sort_onesweep_configINS0_14default_configEfN2at4cuda3cub6detail10OpaqueTypeILi8EEEEELb0EPfSC_PSA_SD_mNS0_19identity_decomposerEEEvT1_T2_T3_T4_jPT5_SK_PNS1_23onesweep_lookback_stateET6_jjj,comdat
	.protected	_ZN7rocprim17ROCPRIM_304000_NS6detail25onesweep_iteration_kernelINS1_34wrapped_radix_sort_onesweep_configINS0_14default_configEfN2at4cuda3cub6detail10OpaqueTypeILi8EEEEELb0EPfSC_PSA_SD_mNS0_19identity_decomposerEEEvT1_T2_T3_T4_jPT5_SK_PNS1_23onesweep_lookback_stateET6_jjj ; -- Begin function _ZN7rocprim17ROCPRIM_304000_NS6detail25onesweep_iteration_kernelINS1_34wrapped_radix_sort_onesweep_configINS0_14default_configEfN2at4cuda3cub6detail10OpaqueTypeILi8EEEEELb0EPfSC_PSA_SD_mNS0_19identity_decomposerEEEvT1_T2_T3_T4_jPT5_SK_PNS1_23onesweep_lookback_stateET6_jjj
	.globl	_ZN7rocprim17ROCPRIM_304000_NS6detail25onesweep_iteration_kernelINS1_34wrapped_radix_sort_onesweep_configINS0_14default_configEfN2at4cuda3cub6detail10OpaqueTypeILi8EEEEELb0EPfSC_PSA_SD_mNS0_19identity_decomposerEEEvT1_T2_T3_T4_jPT5_SK_PNS1_23onesweep_lookback_stateET6_jjj
	.p2align	8
	.type	_ZN7rocprim17ROCPRIM_304000_NS6detail25onesweep_iteration_kernelINS1_34wrapped_radix_sort_onesweep_configINS0_14default_configEfN2at4cuda3cub6detail10OpaqueTypeILi8EEEEELb0EPfSC_PSA_SD_mNS0_19identity_decomposerEEEvT1_T2_T3_T4_jPT5_SK_PNS1_23onesweep_lookback_stateET6_jjj,@function
_ZN7rocprim17ROCPRIM_304000_NS6detail25onesweep_iteration_kernelINS1_34wrapped_radix_sort_onesweep_configINS0_14default_configEfN2at4cuda3cub6detail10OpaqueTypeILi8EEEEELb0EPfSC_PSA_SD_mNS0_19identity_decomposerEEEvT1_T2_T3_T4_jPT5_SK_PNS1_23onesweep_lookback_stateET6_jjj: ; @_ZN7rocprim17ROCPRIM_304000_NS6detail25onesweep_iteration_kernelINS1_34wrapped_radix_sort_onesweep_configINS0_14default_configEfN2at4cuda3cub6detail10OpaqueTypeILi8EEEEELb0EPfSC_PSA_SD_mNS0_19identity_decomposerEEEvT1_T2_T3_T4_jPT5_SK_PNS1_23onesweep_lookback_stateET6_jjj
; %bb.0:
	s_load_dwordx4 s[48:51], s[4:5], 0x44
	s_load_dwordx8 s[36:43], s[4:5], 0x0
	s_load_dwordx4 s[44:47], s[4:5], 0x28
	s_load_dwordx2 s[34:35], s[4:5], 0x38
	s_mul_i32 s30, s6, 0xc00
	s_waitcnt lgkmcnt(0)
	s_cmp_ge_u32 s6, s50
	v_mbcnt_lo_u32_b32 v1, -1, 0
	s_cbranch_scc0 .LBB139_86
; %bb.1:
	s_load_dword s2, s[4:5], 0x20
	s_mulk_i32 s50, 0xf400
	s_mov_b32 s31, 0
	s_lshl_b64 s[0:1], s[30:31], 2
	v_and_b32_e32 v8, 0x3ff, v0
	s_waitcnt lgkmcnt(0)
	s_add_i32 s50, s50, s2
	s_add_u32 s0, s36, s0
	v_mbcnt_hi_u32_b32 v14, -1, v1
	s_addc_u32 s1, s37, s1
	v_and_b32_e32 v15, 0x1c0, v8
	v_lshlrev_b32_e32 v2, 2, v14
	v_mul_u32_u24_e32 v9, 6, v15
	v_mov_b32_e32 v3, s1
	v_add_co_u32_e32 v2, vcc, s0, v2
	v_addc_co_u32_e32 v3, vcc, 0, v3, vcc
	v_lshlrev_b32_e32 v4, 2, v9
	s_brev_b32 s8, -2
	v_add_co_u32_e32 v10, vcc, v2, v4
	s_mov_b32 s9, s8
	v_addc_co_u32_e32 v11, vcc, 0, v3, vcc
	v_or_b32_e32 v12, v14, v9
	s_mov_b32 s10, s8
	s_mov_b32 s11, s8
	;; [unrolled: 1-line block ×4, first 2 shown]
	v_pk_mov_b32 v[2:3], s[8:9], s[8:9] op_sel:[0,1]
	v_cmp_gt_u32_e32 vcc, s50, v12
	v_pk_mov_b32 v[4:5], s[10:11], s[10:11] op_sel:[0,1]
	v_pk_mov_b32 v[6:7], s[12:13], s[12:13] op_sel:[0,1]
	s_and_saveexec_b64 s[0:1], vcc
	s_cbranch_execz .LBB139_3
; %bb.2:
	global_load_dword v2, v[10:11], off
	v_bfrev_b32_e32 v3, -2
	v_mov_b32_e32 v4, v3
	v_mov_b32_e32 v5, v3
	;; [unrolled: 1-line block ×4, first 2 shown]
.LBB139_3:
	s_or_b64 exec, exec, s[0:1]
	v_add_u32_e32 v13, 64, v12
	v_cmp_gt_u32_e64 s[0:1], s50, v13
	s_and_saveexec_b64 s[2:3], s[0:1]
	s_cbranch_execz .LBB139_5
; %bb.4:
	global_load_dword v3, v[10:11], off offset:256
.LBB139_5:
	s_or_b64 exec, exec, s[2:3]
	v_add_u32_e32 v13, 0x80, v12
	v_cmp_gt_u32_e64 s[2:3], s50, v13
	s_and_saveexec_b64 s[8:9], s[2:3]
	s_cbranch_execz .LBB139_7
; %bb.6:
	global_load_dword v4, v[10:11], off offset:512
.LBB139_7:
	;; [unrolled: 8-line block ×5, first 2 shown]
	s_or_b64 exec, exec, s[12:13]
	s_load_dword s12, s[4:5], 0x5c
	s_load_dword s7, s[4:5], 0x50
	s_add_u32 s13, s4, 0x50
	s_addc_u32 s14, s5, 0
	v_mov_b32_e32 v10, 0
	s_waitcnt lgkmcnt(0)
	s_lshr_b32 s15, s12, 16
	s_cmp_lt_u32 s6, s7
	s_cselect_b32 s12, 12, 18
	s_add_u32 s12, s13, s12
	s_addc_u32 s13, s14, 0
	global_load_ushort v12, v10, s[12:13]
	v_bfrev_b32_e32 v20, 1
	s_waitcnt vmcnt(1)
	v_cmp_lt_i32_e64 s[12:13], -1, v2
	v_mul_u32_u24_e32 v16, 5, v8
	v_cndmask_b32_e64 v18, -1, v20, s[12:13]
	s_brev_b32 s16, -2
	v_lshlrev_b32_e32 v17, 2, v16
	v_xor_b32_e32 v16, v18, v2
	v_cmp_ne_u32_e64 s[12:13], s16, v16
	v_cndmask_b32_e64 v2, v20, v16, s[12:13]
	s_lshl_b32 s12, -1, s49
	v_lshrrev_b32_e32 v2, s48, v2
	s_not_b32 s33, s12
	v_and_b32_e32 v2, s33, v2
	v_and_b32_e32 v19, 1, v2
	v_bfe_u32 v11, v0, 10, 10
	v_bfe_u32 v13, v0, 20, 10
	v_add_co_u32_e64 v21, s[12:13], -1, v19
	v_mad_u32_u24 v13, v13, s15, v11
	v_lshlrev_b32_e32 v11, 30, v2
	v_addc_co_u32_e64 v22, s[12:13], 0, -1, s[12:13]
	v_cmp_ne_u32_e64 s[12:13], 0, v19
	v_cmp_gt_i64_e64 s[14:15], 0, v[10:11]
	v_not_b32_e32 v19, v11
	v_lshlrev_b32_e32 v11, 29, v2
	v_xor_b32_e32 v22, s13, v22
	v_xor_b32_e32 v21, s12, v21
	v_ashrrev_i32_e32 v19, 31, v19
	v_cmp_gt_i64_e64 s[12:13], 0, v[10:11]
	v_not_b32_e32 v23, v11
	v_lshlrev_b32_e32 v11, 28, v2
	v_and_b32_e32 v22, exec_hi, v22
	v_and_b32_e32 v21, exec_lo, v21
	v_xor_b32_e32 v24, s15, v19
	v_xor_b32_e32 v19, s14, v19
	v_ashrrev_i32_e32 v23, 31, v23
	v_cmp_gt_i64_e64 s[14:15], 0, v[10:11]
	v_not_b32_e32 v25, v11
	v_lshlrev_b32_e32 v11, 27, v2
	v_and_b32_e32 v22, v22, v24
	v_and_b32_e32 v19, v21, v19
	v_xor_b32_e32 v21, s13, v23
	v_xor_b32_e32 v23, s12, v23
	v_ashrrev_i32_e32 v24, 31, v25
	v_cmp_gt_i64_e64 s[12:13], 0, v[10:11]
	v_not_b32_e32 v25, v11
	v_lshlrev_b32_e32 v11, 26, v2
	v_and_b32_e32 v21, v22, v21
	v_and_b32_e32 v19, v19, v23
	;; [unrolled: 8-line block ×3, first 2 shown]
	v_xor_b32_e32 v22, s13, v24
	v_xor_b32_e32 v23, s12, v24
	v_ashrrev_i32_e32 v24, 31, v25
	v_cmp_gt_i64_e64 s[12:13], 0, v[10:11]
	v_not_b32_e32 v11, v11
	v_and_b32_e32 v21, v21, v22
	v_and_b32_e32 v19, v19, v23
	v_xor_b32_e32 v22, s15, v24
	v_xor_b32_e32 v23, s14, v24
	v_ashrrev_i32_e32 v11, 31, v11
	v_lshl_add_u32 v18, v2, 3, v2
	v_and_b32_e32 v22, v21, v22
	v_and_b32_e32 v23, v19, v23
	v_xor_b32_e32 v24, s13, v11
	v_xor_b32_e32 v11, s12, v11
	ds_write2_b32 v17, v10, v10 offset0:8 offset1:9
	ds_write2_b32 v17, v10, v10 offset0:10 offset1:11
	ds_write_b32 v17, v10 offset:48
	s_waitcnt lgkmcnt(0)
	s_barrier
	s_waitcnt lgkmcnt(0)
	; wave barrier
	s_waitcnt vmcnt(0)
	v_mad_u64_u32 v[12:13], s[14:15], v13, v12, v[8:9]
	v_lshrrev_b32_e32 v21, 6, v12
	v_add_lshl_u32 v19, v18, v21, 2
	v_and_b32_e32 v18, v23, v11
	v_lshlrev_b32_e32 v11, 24, v2
	v_not_b32_e32 v2, v11
	v_cmp_gt_i64_e64 s[12:13], 0, v[10:11]
	v_ashrrev_i32_e32 v2, 31, v2
	v_and_b32_e32 v12, v22, v24
	v_xor_b32_e32 v11, s13, v2
	v_xor_b32_e32 v2, s12, v2
	v_and_b32_e32 v13, v12, v11
	v_and_b32_e32 v12, v18, v2
	v_mbcnt_lo_u32_b32 v2, v12, 0
	v_mbcnt_hi_u32_b32 v18, v13, v2
	v_cmp_eq_u32_e64 s[12:13], 0, v18
	v_cmp_ne_u64_e64 s[14:15], 0, v[12:13]
	s_and_b64 s[14:15], s[14:15], s[12:13]
	s_and_saveexec_b64 s[12:13], s[14:15]
	s_cbranch_execz .LBB139_15
; %bb.14:
	v_bcnt_u32_b32 v2, v12, 0
	v_bcnt_u32_b32 v2, v13, v2
	ds_write_b32 v19, v2 offset:32
.LBB139_15:
	s_or_b64 exec, exec, s[12:13]
	v_cmp_lt_i32_e64 s[12:13], -1, v3
	v_cndmask_b32_e64 v2, -1, v20, s[12:13]
	v_xor_b32_e32 v12, v2, v3
	v_cmp_ne_u32_e64 s[12:13], s16, v12
	v_cndmask_b32_e64 v2, v20, v12, s[12:13]
	v_lshrrev_b32_e32 v2, s48, v2
	v_and_b32_e32 v2, s33, v2
	v_lshl_add_u32 v3, v2, 3, v2
	v_add_lshl_u32 v20, v3, v21, 2
	v_and_b32_e32 v3, 1, v2
	v_add_co_u32_e64 v11, s[12:13], -1, v3
	v_addc_co_u32_e64 v22, s[12:13], 0, -1, s[12:13]
	v_cmp_ne_u32_e64 s[12:13], 0, v3
	v_xor_b32_e32 v11, s12, v11
	v_xor_b32_e32 v3, s13, v22
	v_and_b32_e32 v22, exec_lo, v11
	v_lshlrev_b32_e32 v11, 30, v2
	v_cmp_gt_i64_e64 s[12:13], 0, v[10:11]
	v_not_b32_e32 v11, v11
	v_ashrrev_i32_e32 v11, 31, v11
	v_xor_b32_e32 v23, s13, v11
	v_xor_b32_e32 v11, s12, v11
	v_and_b32_e32 v22, v22, v11
	v_lshlrev_b32_e32 v11, 29, v2
	v_cmp_gt_i64_e64 s[12:13], 0, v[10:11]
	v_not_b32_e32 v11, v11
	v_and_b32_e32 v3, exec_hi, v3
	v_ashrrev_i32_e32 v11, 31, v11
	v_and_b32_e32 v3, v3, v23
	v_xor_b32_e32 v23, s13, v11
	v_xor_b32_e32 v11, s12, v11
	v_and_b32_e32 v22, v22, v11
	v_lshlrev_b32_e32 v11, 28, v2
	v_cmp_gt_i64_e64 s[12:13], 0, v[10:11]
	v_not_b32_e32 v11, v11
	v_ashrrev_i32_e32 v11, 31, v11
	v_and_b32_e32 v3, v3, v23
	v_xor_b32_e32 v23, s13, v11
	v_xor_b32_e32 v11, s12, v11
	v_and_b32_e32 v22, v22, v11
	v_lshlrev_b32_e32 v11, 27, v2
	v_cmp_gt_i64_e64 s[12:13], 0, v[10:11]
	v_not_b32_e32 v11, v11
	;; [unrolled: 8-line block ×4, first 2 shown]
	v_ashrrev_i32_e32 v11, 31, v11
	v_and_b32_e32 v3, v3, v23
	v_xor_b32_e32 v23, s13, v11
	v_xor_b32_e32 v11, s12, v11
	v_and_b32_e32 v22, v22, v11
	v_lshlrev_b32_e32 v11, 24, v2
	v_not_b32_e32 v2, v11
	v_cmp_gt_i64_e64 s[12:13], 0, v[10:11]
	v_ashrrev_i32_e32 v2, 31, v2
	v_xor_b32_e32 v10, s13, v2
	v_xor_b32_e32 v2, s12, v2
	; wave barrier
	ds_read_b32 v13, v20 offset:32
	v_and_b32_e32 v3, v3, v23
	v_and_b32_e32 v2, v22, v2
	;; [unrolled: 1-line block ×3, first 2 shown]
	v_mbcnt_lo_u32_b32 v10, v2, 0
	v_mbcnt_hi_u32_b32 v22, v3, v10
	v_cmp_eq_u32_e64 s[12:13], 0, v22
	v_cmp_ne_u64_e64 s[14:15], 0, v[2:3]
	s_and_b64 s[14:15], s[14:15], s[12:13]
	; wave barrier
	s_and_saveexec_b64 s[12:13], s[14:15]
	s_cbranch_execz .LBB139_17
; %bb.16:
	v_bcnt_u32_b32 v2, v2, 0
	v_bcnt_u32_b32 v2, v3, v2
	s_waitcnt lgkmcnt(0)
	v_add_u32_e32 v2, v13, v2
	ds_write_b32 v20, v2 offset:32
.LBB139_17:
	s_or_b64 exec, exec, s[12:13]
	v_bfrev_b32_e32 v27, 1
	v_cmp_lt_i32_e64 s[12:13], -1, v4
	v_cndmask_b32_e64 v2, -1, v27, s[12:13]
	v_xor_b32_e32 v23, v2, v4
	v_cmp_ne_u32_e64 s[12:13], s16, v23
	v_cndmask_b32_e64 v2, v27, v23, s[12:13]
	v_lshrrev_b32_e32 v2, s48, v2
	v_and_b32_e32 v4, s33, v2
	v_and_b32_e32 v3, 1, v4
	v_add_co_u32_e64 v10, s[12:13], -1, v3
	v_addc_co_u32_e64 v11, s[12:13], 0, -1, s[12:13]
	v_cmp_ne_u32_e64 s[12:13], 0, v3
	v_lshl_add_u32 v2, v4, 3, v4
	v_xor_b32_e32 v3, s13, v11
	v_add_lshl_u32 v25, v2, v21, 2
	v_mov_b32_e32 v2, 0
	v_and_b32_e32 v11, exec_hi, v3
	v_lshlrev_b32_e32 v3, 30, v4
	v_xor_b32_e32 v10, s12, v10
	v_cmp_gt_i64_e64 s[12:13], 0, v[2:3]
	v_not_b32_e32 v3, v3
	v_ashrrev_i32_e32 v3, 31, v3
	v_and_b32_e32 v10, exec_lo, v10
	v_xor_b32_e32 v26, s13, v3
	v_xor_b32_e32 v3, s12, v3
	v_and_b32_e32 v10, v10, v3
	v_lshlrev_b32_e32 v3, 29, v4
	v_cmp_gt_i64_e64 s[12:13], 0, v[2:3]
	v_not_b32_e32 v3, v3
	v_ashrrev_i32_e32 v3, 31, v3
	v_and_b32_e32 v11, v11, v26
	v_xor_b32_e32 v26, s13, v3
	v_xor_b32_e32 v3, s12, v3
	v_and_b32_e32 v10, v10, v3
	v_lshlrev_b32_e32 v3, 28, v4
	v_cmp_gt_i64_e64 s[12:13], 0, v[2:3]
	v_not_b32_e32 v3, v3
	v_ashrrev_i32_e32 v3, 31, v3
	v_and_b32_e32 v11, v11, v26
	;; [unrolled: 8-line block ×5, first 2 shown]
	v_xor_b32_e32 v26, s13, v3
	v_xor_b32_e32 v3, s12, v3
	v_and_b32_e32 v10, v10, v3
	v_lshlrev_b32_e32 v3, 24, v4
	v_cmp_gt_i64_e64 s[12:13], 0, v[2:3]
	v_not_b32_e32 v3, v3
	v_ashrrev_i32_e32 v3, 31, v3
	v_xor_b32_e32 v4, s13, v3
	v_xor_b32_e32 v3, s12, v3
	; wave barrier
	ds_read_b32 v24, v25 offset:32
	v_and_b32_e32 v11, v11, v26
	v_and_b32_e32 v10, v10, v3
	;; [unrolled: 1-line block ×3, first 2 shown]
	v_mbcnt_lo_u32_b32 v3, v10, 0
	v_mbcnt_hi_u32_b32 v26, v11, v3
	v_cmp_eq_u32_e64 s[12:13], 0, v26
	v_cmp_ne_u64_e64 s[14:15], 0, v[10:11]
	s_and_b64 s[14:15], s[14:15], s[12:13]
	; wave barrier
	s_and_saveexec_b64 s[12:13], s[14:15]
	s_cbranch_execz .LBB139_19
; %bb.18:
	v_bcnt_u32_b32 v3, v10, 0
	v_bcnt_u32_b32 v3, v11, v3
	s_waitcnt lgkmcnt(0)
	v_add_u32_e32 v3, v24, v3
	ds_write_b32 v25, v3 offset:32
.LBB139_19:
	s_or_b64 exec, exec, s[12:13]
	v_cmp_lt_i32_e64 s[12:13], -1, v5
	v_cndmask_b32_e64 v3, -1, v27, s[12:13]
	v_xor_b32_e32 v10, v3, v5
	v_cmp_ne_u32_e64 s[12:13], s16, v10
	v_cndmask_b32_e64 v3, v27, v10, s[12:13]
	v_lshrrev_b32_e32 v3, s48, v3
	v_and_b32_e32 v4, s33, v3
	v_lshl_add_u32 v3, v4, 3, v4
	v_add_lshl_u32 v27, v3, v21, 2
	v_and_b32_e32 v3, 1, v4
	v_add_co_u32_e64 v5, s[12:13], -1, v3
	v_addc_co_u32_e64 v28, s[12:13], 0, -1, s[12:13]
	v_cmp_ne_u32_e64 s[12:13], 0, v3
	v_xor_b32_e32 v3, s13, v28
	v_and_b32_e32 v28, exec_hi, v3
	v_lshlrev_b32_e32 v3, 30, v4
	v_xor_b32_e32 v5, s12, v5
	v_cmp_gt_i64_e64 s[12:13], 0, v[2:3]
	v_not_b32_e32 v3, v3
	v_ashrrev_i32_e32 v3, 31, v3
	v_and_b32_e32 v5, exec_lo, v5
	v_xor_b32_e32 v29, s13, v3
	v_xor_b32_e32 v3, s12, v3
	v_and_b32_e32 v5, v5, v3
	v_lshlrev_b32_e32 v3, 29, v4
	v_cmp_gt_i64_e64 s[12:13], 0, v[2:3]
	v_not_b32_e32 v3, v3
	v_ashrrev_i32_e32 v3, 31, v3
	v_and_b32_e32 v28, v28, v29
	v_xor_b32_e32 v29, s13, v3
	v_xor_b32_e32 v3, s12, v3
	v_and_b32_e32 v5, v5, v3
	v_lshlrev_b32_e32 v3, 28, v4
	v_cmp_gt_i64_e64 s[12:13], 0, v[2:3]
	v_not_b32_e32 v3, v3
	v_ashrrev_i32_e32 v3, 31, v3
	v_and_b32_e32 v28, v28, v29
	;; [unrolled: 8-line block ×5, first 2 shown]
	v_xor_b32_e32 v29, s13, v3
	v_xor_b32_e32 v3, s12, v3
	v_and_b32_e32 v5, v5, v3
	v_lshlrev_b32_e32 v3, 24, v4
	v_cmp_gt_i64_e64 s[12:13], 0, v[2:3]
	v_not_b32_e32 v2, v3
	v_ashrrev_i32_e32 v2, 31, v2
	v_xor_b32_e32 v3, s13, v2
	v_xor_b32_e32 v2, s12, v2
	; wave barrier
	ds_read_b32 v11, v27 offset:32
	v_and_b32_e32 v28, v28, v29
	v_and_b32_e32 v2, v5, v2
	;; [unrolled: 1-line block ×3, first 2 shown]
	v_mbcnt_lo_u32_b32 v4, v2, 0
	v_mbcnt_hi_u32_b32 v29, v3, v4
	v_cmp_eq_u32_e64 s[12:13], 0, v29
	v_cmp_ne_u64_e64 s[14:15], 0, v[2:3]
	s_and_b64 s[14:15], s[14:15], s[12:13]
	; wave barrier
	s_and_saveexec_b64 s[12:13], s[14:15]
	s_cbranch_execz .LBB139_21
; %bb.20:
	v_bcnt_u32_b32 v2, v2, 0
	v_bcnt_u32_b32 v2, v3, v2
	s_waitcnt lgkmcnt(0)
	v_add_u32_e32 v2, v11, v2
	ds_write_b32 v27, v2 offset:32
.LBB139_21:
	s_or_b64 exec, exec, s[12:13]
	v_bfrev_b32_e32 v32, 1
	v_cmp_lt_i32_e64 s[12:13], -1, v6
	v_cndmask_b32_e64 v2, -1, v32, s[12:13]
	v_xor_b32_e32 v6, v2, v6
	v_cmp_ne_u32_e64 s[12:13], s16, v6
	v_cndmask_b32_e64 v2, v32, v6, s[12:13]
	v_lshrrev_b32_e32 v2, s48, v2
	v_and_b32_e32 v4, s33, v2
	v_and_b32_e32 v3, 1, v4
	v_add_co_u32_e64 v5, s[12:13], -1, v3
	v_addc_co_u32_e64 v31, s[12:13], 0, -1, s[12:13]
	v_cmp_ne_u32_e64 s[12:13], 0, v3
	v_lshl_add_u32 v2, v4, 3, v4
	v_xor_b32_e32 v3, s13, v31
	v_add_lshl_u32 v28, v2, v21, 2
	v_mov_b32_e32 v2, 0
	v_and_b32_e32 v31, exec_hi, v3
	v_lshlrev_b32_e32 v3, 30, v4
	v_xor_b32_e32 v5, s12, v5
	v_cmp_gt_i64_e64 s[12:13], 0, v[2:3]
	v_not_b32_e32 v3, v3
	v_ashrrev_i32_e32 v3, 31, v3
	v_and_b32_e32 v5, exec_lo, v5
	v_xor_b32_e32 v33, s13, v3
	v_xor_b32_e32 v3, s12, v3
	v_and_b32_e32 v5, v5, v3
	v_lshlrev_b32_e32 v3, 29, v4
	v_cmp_gt_i64_e64 s[12:13], 0, v[2:3]
	v_not_b32_e32 v3, v3
	v_ashrrev_i32_e32 v3, 31, v3
	v_and_b32_e32 v31, v31, v33
	v_xor_b32_e32 v33, s13, v3
	v_xor_b32_e32 v3, s12, v3
	v_and_b32_e32 v5, v5, v3
	v_lshlrev_b32_e32 v3, 28, v4
	v_cmp_gt_i64_e64 s[12:13], 0, v[2:3]
	v_not_b32_e32 v3, v3
	v_ashrrev_i32_e32 v3, 31, v3
	v_and_b32_e32 v31, v31, v33
	;; [unrolled: 8-line block ×5, first 2 shown]
	v_xor_b32_e32 v33, s13, v3
	v_xor_b32_e32 v3, s12, v3
	v_and_b32_e32 v31, v31, v33
	v_and_b32_e32 v33, v5, v3
	v_lshlrev_b32_e32 v3, 24, v4
	v_cmp_gt_i64_e64 s[12:13], 0, v[2:3]
	v_not_b32_e32 v3, v3
	v_ashrrev_i32_e32 v3, 31, v3
	v_xor_b32_e32 v4, s13, v3
	v_xor_b32_e32 v3, s12, v3
	; wave barrier
	ds_read_b32 v30, v28 offset:32
	v_and_b32_e32 v5, v31, v4
	v_and_b32_e32 v4, v33, v3
	v_mbcnt_lo_u32_b32 v3, v4, 0
	v_mbcnt_hi_u32_b32 v31, v5, v3
	v_cmp_eq_u32_e64 s[12:13], 0, v31
	v_cmp_ne_u64_e64 s[14:15], 0, v[4:5]
	s_and_b64 s[14:15], s[14:15], s[12:13]
	; wave barrier
	s_and_saveexec_b64 s[12:13], s[14:15]
	s_cbranch_execz .LBB139_23
; %bb.22:
	v_bcnt_u32_b32 v3, v4, 0
	v_bcnt_u32_b32 v3, v5, v3
	s_waitcnt lgkmcnt(0)
	v_add_u32_e32 v3, v30, v3
	ds_write_b32 v28, v3 offset:32
.LBB139_23:
	s_or_b64 exec, exec, s[12:13]
	v_cmp_lt_i32_e64 s[12:13], -1, v7
	v_cndmask_b32_e64 v3, -1, v32, s[12:13]
	v_xor_b32_e32 v7, v3, v7
	v_cmp_ne_u32_e64 s[12:13], s16, v7
	v_cndmask_b32_e64 v3, v32, v7, s[12:13]
	v_lshrrev_b32_e32 v3, s48, v3
	v_and_b32_e32 v4, s33, v3
	v_lshl_add_u32 v3, v4, 3, v4
	v_add_lshl_u32 v34, v3, v21, 2
	v_and_b32_e32 v3, 1, v4
	v_add_co_u32_e64 v5, s[12:13], -1, v3
	v_addc_co_u32_e64 v21, s[12:13], 0, -1, s[12:13]
	v_cmp_ne_u32_e64 s[12:13], 0, v3
	v_xor_b32_e32 v3, s13, v21
	v_and_b32_e32 v21, exec_hi, v3
	v_lshlrev_b32_e32 v3, 30, v4
	v_xor_b32_e32 v5, s12, v5
	v_cmp_gt_i64_e64 s[12:13], 0, v[2:3]
	v_not_b32_e32 v3, v3
	v_ashrrev_i32_e32 v3, 31, v3
	v_and_b32_e32 v5, exec_lo, v5
	v_xor_b32_e32 v35, s13, v3
	v_xor_b32_e32 v3, s12, v3
	v_and_b32_e32 v5, v5, v3
	v_lshlrev_b32_e32 v3, 29, v4
	v_cmp_gt_i64_e64 s[12:13], 0, v[2:3]
	v_not_b32_e32 v3, v3
	v_ashrrev_i32_e32 v3, 31, v3
	v_and_b32_e32 v21, v21, v35
	v_xor_b32_e32 v35, s13, v3
	v_xor_b32_e32 v3, s12, v3
	v_and_b32_e32 v5, v5, v3
	v_lshlrev_b32_e32 v3, 28, v4
	v_cmp_gt_i64_e64 s[12:13], 0, v[2:3]
	v_not_b32_e32 v3, v3
	v_ashrrev_i32_e32 v3, 31, v3
	v_and_b32_e32 v21, v21, v35
	;; [unrolled: 8-line block ×5, first 2 shown]
	v_xor_b32_e32 v35, s13, v3
	v_xor_b32_e32 v3, s12, v3
	v_and_b32_e32 v5, v5, v3
	v_lshlrev_b32_e32 v3, 24, v4
	v_cmp_gt_i64_e64 s[12:13], 0, v[2:3]
	v_not_b32_e32 v2, v3
	v_ashrrev_i32_e32 v2, 31, v2
	v_xor_b32_e32 v3, s13, v2
	v_xor_b32_e32 v2, s12, v2
	; wave barrier
	ds_read_b32 v32, v34 offset:32
	v_and_b32_e32 v21, v21, v35
	v_and_b32_e32 v2, v5, v2
	;; [unrolled: 1-line block ×3, first 2 shown]
	v_mbcnt_lo_u32_b32 v4, v2, 0
	v_mbcnt_hi_u32_b32 v35, v3, v4
	v_cmp_eq_u32_e64 s[12:13], 0, v35
	v_cmp_ne_u64_e64 s[14:15], 0, v[2:3]
	v_add_u32_e32 v33, 32, v17
	s_and_b64 s[14:15], s[14:15], s[12:13]
	; wave barrier
	s_and_saveexec_b64 s[12:13], s[14:15]
	s_cbranch_execz .LBB139_25
; %bb.24:
	v_bcnt_u32_b32 v2, v2, 0
	v_bcnt_u32_b32 v2, v3, v2
	s_waitcnt lgkmcnt(0)
	v_add_u32_e32 v2, v32, v2
	ds_write_b32 v34, v2 offset:32
.LBB139_25:
	s_or_b64 exec, exec, s[12:13]
	; wave barrier
	s_waitcnt lgkmcnt(0)
	s_barrier
	ds_read2_b32 v[4:5], v17 offset0:8 offset1:9
	ds_read2_b32 v[2:3], v33 offset0:2 offset1:3
	ds_read_b32 v21, v33 offset:16
	v_min_u32_e32 v15, 0x1c0, v15
	v_or_b32_e32 v15, 63, v15
	s_waitcnt lgkmcnt(1)
	v_add3_u32 v36, v5, v4, v2
	s_waitcnt lgkmcnt(0)
	v_add3_u32 v21, v36, v3, v21
	v_and_b32_e32 v36, 15, v14
	v_cmp_ne_u32_e64 s[12:13], 0, v36
	v_mov_b32_dpp v37, v21 row_shr:1 row_mask:0xf bank_mask:0xf
	v_cndmask_b32_e64 v37, 0, v37, s[12:13]
	v_add_u32_e32 v21, v37, v21
	v_cmp_lt_u32_e64 s[12:13], 1, v36
	s_nop 0
	v_mov_b32_dpp v37, v21 row_shr:2 row_mask:0xf bank_mask:0xf
	v_cndmask_b32_e64 v37, 0, v37, s[12:13]
	v_add_u32_e32 v21, v21, v37
	v_cmp_lt_u32_e64 s[12:13], 3, v36
	s_nop 0
	;; [unrolled: 5-line block ×3, first 2 shown]
	v_mov_b32_dpp v37, v21 row_shr:8 row_mask:0xf bank_mask:0xf
	v_cndmask_b32_e64 v36, 0, v37, s[12:13]
	v_add_u32_e32 v21, v21, v36
	v_bfe_i32 v37, v14, 4, 1
	v_cmp_lt_u32_e64 s[12:13], 31, v14
	v_mov_b32_dpp v36, v21 row_bcast:15 row_mask:0xf bank_mask:0xf
	v_and_b32_e32 v36, v37, v36
	v_add_u32_e32 v21, v21, v36
	v_lshrrev_b32_e32 v37, 6, v8
	s_nop 0
	v_mov_b32_dpp v36, v21 row_bcast:31 row_mask:0xf bank_mask:0xf
	v_cndmask_b32_e64 v36, 0, v36, s[12:13]
	v_add_u32_e32 v36, v21, v36
	v_cmp_eq_u32_e64 s[12:13], v15, v8
	s_and_saveexec_b64 s[14:15], s[12:13]
	s_cbranch_execz .LBB139_27
; %bb.26:
	v_lshlrev_b32_e32 v15, 2, v37
	ds_write_b32 v15, v36
.LBB139_27:
	s_or_b64 exec, exec, s[14:15]
	v_cmp_gt_u32_e64 s[12:13], 8, v8
	v_lshlrev_b32_e32 v21, 2, v8
	s_waitcnt lgkmcnt(0)
	s_barrier
	s_and_saveexec_b64 s[14:15], s[12:13]
	s_cbranch_execz .LBB139_29
; %bb.28:
	ds_read_b32 v15, v21
	v_and_b32_e32 v38, 7, v14
	v_cmp_ne_u32_e64 s[12:13], 0, v38
	s_waitcnt lgkmcnt(0)
	v_mov_b32_dpp v39, v15 row_shr:1 row_mask:0xf bank_mask:0xf
	v_cndmask_b32_e64 v39, 0, v39, s[12:13]
	v_add_u32_e32 v15, v39, v15
	v_cmp_lt_u32_e64 s[12:13], 1, v38
	s_nop 0
	v_mov_b32_dpp v39, v15 row_shr:2 row_mask:0xf bank_mask:0xf
	v_cndmask_b32_e64 v39, 0, v39, s[12:13]
	v_add_u32_e32 v15, v15, v39
	v_cmp_lt_u32_e64 s[12:13], 3, v38
	s_nop 0
	v_mov_b32_dpp v39, v15 row_shr:4 row_mask:0xf bank_mask:0xf
	v_cndmask_b32_e64 v38, 0, v39, s[12:13]
	v_add_u32_e32 v15, v15, v38
	ds_write_b32 v21, v15
.LBB139_29:
	s_or_b64 exec, exec, s[14:15]
	v_cmp_lt_u32_e64 s[12:13], 63, v8
	v_mov_b32_e32 v15, 0
	s_waitcnt lgkmcnt(0)
	s_barrier
	s_and_saveexec_b64 s[14:15], s[12:13]
	s_cbranch_execz .LBB139_31
; %bb.30:
	v_lshl_add_u32 v15, v37, 2, -4
	ds_read_b32 v15, v15
.LBB139_31:
	s_or_b64 exec, exec, s[14:15]
	v_add_u32_e32 v37, -1, v14
	v_and_b32_e32 v38, 64, v14
	v_cmp_lt_i32_e64 s[12:13], v37, v38
	v_cndmask_b32_e64 v37, v37, v14, s[12:13]
	s_waitcnt lgkmcnt(0)
	v_add_u32_e32 v36, v15, v36
	v_lshlrev_b32_e32 v37, 2, v37
	ds_bpermute_b32 v36, v37, v36
	v_cmp_eq_u32_e64 s[12:13], 0, v14
	s_waitcnt lgkmcnt(0)
	v_cndmask_b32_e64 v15, v36, v15, s[12:13]
	v_cmp_ne_u32_e64 s[12:13], 0, v8
	v_cndmask_b32_e64 v15, 0, v15, s[12:13]
	v_add_u32_e32 v4, v15, v4
	v_add_u32_e32 v5, v4, v5
	;; [unrolled: 1-line block ×4, first 2 shown]
	ds_write2_b32 v17, v15, v4 offset0:8 offset1:9
	ds_write2_b32 v33, v5, v2 offset0:2 offset1:3
	ds_write_b32 v33, v3 offset:16
	s_waitcnt lgkmcnt(0)
	s_barrier
	ds_read_b32 v4, v19 offset:32
	ds_read_b32 v5, v20 offset:32
	;; [unrolled: 1-line block ×6, first 2 shown]
	s_movk_i32 s12, 0x100
	v_cmp_gt_u32_e64 s[12:13], s12, v8
	v_pk_mov_b32 v[2:3], 0, 0
                                        ; implicit-def: $vgpr20
	s_and_saveexec_b64 s[16:17], s[12:13]
	s_cbranch_execz .LBB139_35
; %bb.32:
	v_mul_u32_u24_e32 v2, 9, v8
	v_lshlrev_b32_e32 v20, 2, v2
	ds_read_b32 v2, v20 offset:32
	s_movk_i32 s14, 0xff
	v_cmp_ne_u32_e64 s[14:15], s14, v8
	v_mov_b32_e32 v3, 0xc00
	s_and_saveexec_b64 s[18:19], s[14:15]
	s_cbranch_execz .LBB139_34
; %bb.33:
	ds_read_b32 v3, v20 offset:68
.LBB139_34:
	s_or_b64 exec, exec, s[18:19]
	s_waitcnt lgkmcnt(0)
	v_sub_u32_e32 v20, v3, v2
	v_mov_b32_e32 v3, 0
.LBB139_35:
	s_or_b64 exec, exec, s[16:17]
	s_waitcnt lgkmcnt(5)
	v_add_u32_e32 v28, v4, v18
	s_waitcnt lgkmcnt(4)
	v_add3_u32 v27, v22, v13, v5
	v_lshlrev_b32_e32 v4, 2, v28
	s_waitcnt lgkmcnt(3)
	v_add3_u32 v26, v26, v24, v15
	s_waitcnt lgkmcnt(0)
	s_barrier
	ds_write_b32 v4, v16 offset:2048
	v_lshlrev_b32_e32 v4, 2, v27
	v_add3_u32 v25, v29, v11, v17
	ds_write_b32 v4, v12 offset:2048
	v_lshlrev_b32_e32 v4, 2, v26
	v_add3_u32 v24, v31, v30, v19
	;; [unrolled: 3-line block ×3, first 2 shown]
	ds_write_b32 v4, v10 offset:2048
	v_lshlrev_b32_e32 v4, 2, v24
	ds_write_b32 v4, v6 offset:2048
	v_lshlrev_b32_e32 v4, 2, v22
	ds_write_b32 v4, v7 offset:2048
	s_waitcnt lgkmcnt(0)
	s_barrier
	s_and_saveexec_b64 s[16:17], s[12:13]
	s_cbranch_execz .LBB139_45
; %bb.36:
	v_lshl_or_b32 v4, s6, 8, v8
	v_mov_b32_e32 v5, 0
	v_lshlrev_b64 v[6:7], 2, v[4:5]
	v_mov_b32_e32 v12, s35
	v_add_co_u32_e64 v6, s[14:15], s34, v6
	v_addc_co_u32_e64 v7, s[14:15], v12, v7, s[14:15]
	v_or_b32_e32 v4, 2.0, v20
	s_mov_b64 s[18:19], 0
	s_brev_b32 s24, 1
	s_mov_b32 s25, s6
	v_mov_b32_e32 v13, 0
	global_store_dword v[6:7], v4, off
                                        ; implicit-def: $sgpr14_sgpr15
	s_branch .LBB139_38
.LBB139_37:                             ;   in Loop: Header=BB139_38 Depth=1
	s_or_b64 exec, exec, s[20:21]
	v_and_b32_e32 v10, 0x3fffffff, v15
	v_add_u32_e32 v13, v10, v13
	v_cmp_eq_u32_e64 s[14:15], s24, v4
	s_and_b64 s[20:21], exec, s[14:15]
	s_or_b64 s[18:19], s[20:21], s[18:19]
	s_andn2_b64 exec, exec, s[18:19]
	s_cbranch_execz .LBB139_44
.LBB139_38:                             ; =>This Loop Header: Depth=1
                                        ;     Child Loop BB139_41 Depth 2
	s_or_b64 s[14:15], s[14:15], exec
	s_cmp_eq_u32 s25, 0
	s_cbranch_scc1 .LBB139_43
; %bb.39:                               ;   in Loop: Header=BB139_38 Depth=1
	s_add_i32 s25, s25, -1
	v_lshl_or_b32 v4, s25, 8, v8
	v_lshlrev_b64 v[10:11], 2, v[4:5]
	v_add_co_u32_e64 v10, s[14:15], s34, v10
	v_addc_co_u32_e64 v11, s[14:15], v12, v11, s[14:15]
	global_load_dword v15, v[10:11], off glc
	s_waitcnt vmcnt(0)
	v_and_b32_e32 v4, -2.0, v15
	v_cmp_eq_u32_e64 s[14:15], 0, v4
	s_and_saveexec_b64 s[20:21], s[14:15]
	s_cbranch_execz .LBB139_37
; %bb.40:                               ;   in Loop: Header=BB139_38 Depth=1
	s_mov_b64 s[22:23], 0
.LBB139_41:                             ;   Parent Loop BB139_38 Depth=1
                                        ; =>  This Inner Loop Header: Depth=2
	global_load_dword v15, v[10:11], off glc
	s_waitcnt vmcnt(0)
	v_and_b32_e32 v4, -2.0, v15
	v_cmp_ne_u32_e64 s[14:15], 0, v4
	s_or_b64 s[22:23], s[14:15], s[22:23]
	s_andn2_b64 exec, exec, s[22:23]
	s_cbranch_execnz .LBB139_41
; %bb.42:                               ;   in Loop: Header=BB139_38 Depth=1
	s_or_b64 exec, exec, s[22:23]
	s_branch .LBB139_37
.LBB139_43:                             ;   in Loop: Header=BB139_38 Depth=1
                                        ; implicit-def: $sgpr25
	s_and_b64 s[20:21], exec, s[14:15]
	s_or_b64 s[18:19], s[20:21], s[18:19]
	s_andn2_b64 exec, exec, s[18:19]
	s_cbranch_execnz .LBB139_38
.LBB139_44:
	s_or_b64 exec, exec, s[18:19]
	v_add_u32_e32 v4, v13, v20
	v_or_b32_e32 v4, 0x80000000, v4
	global_store_dword v[6:7], v4, off
	v_lshlrev_b32_e32 v6, 3, v8
	global_load_dwordx2 v[4:5], v6, s[44:45]
	v_sub_co_u32_e64 v7, s[14:15], v13, v2
	v_subb_co_u32_e64 v10, s[14:15], 0, v3, s[14:15]
	s_waitcnt vmcnt(0)
	v_add_co_u32_e64 v4, s[14:15], v7, v4
	v_addc_co_u32_e64 v5, s[14:15], v10, v5, s[14:15]
	ds_write_b64 v6, v[4:5]
.LBB139_45:
	s_or_b64 exec, exec, s[16:17]
	v_cmp_gt_u32_e64 s[14:15], s50, v8
	s_waitcnt lgkmcnt(0)
	s_barrier
	s_and_saveexec_b64 s[18:19], s[14:15]
	s_cbranch_execz .LBB139_47
; %bb.46:
	ds_read_b32 v6, v21 offset:2048
	s_brev_b32 s16, -2
	v_bfrev_b32_e32 v7, 1
	v_mov_b32_e32 v10, s39
	s_waitcnt lgkmcnt(0)
	v_cmp_ne_u32_e64 s[16:17], s16, v6
	v_cndmask_b32_e64 v4, v7, v6, s[16:17]
	v_lshrrev_b32_e32 v4, s48, v4
	v_and_b32_e32 v4, s33, v4
	v_lshlrev_b32_e32 v4, 3, v4
	ds_read_b64 v[4:5], v4
	v_cmp_lt_i32_e64 s[16:17], -1, v6
	v_cndmask_b32_e64 v7, v7, -1, s[16:17]
	v_xor_b32_e32 v6, v7, v6
	s_waitcnt lgkmcnt(0)
	v_lshlrev_b64 v[4:5], 2, v[4:5]
	v_add_co_u32_e64 v4, s[16:17], s38, v4
	v_addc_co_u32_e64 v5, s[16:17], v10, v5, s[16:17]
	v_add_co_u32_e64 v4, s[16:17], v4, v21
	v_addc_co_u32_e64 v5, s[16:17], 0, v5, s[16:17]
	global_store_dword v[4:5], v6, off
.LBB139_47:
	s_or_b64 exec, exec, s[18:19]
	v_add_u32_e32 v23, 0x200, v8
	v_cmp_gt_u32_e64 s[16:17], s50, v23
	s_and_saveexec_b64 s[20:21], s[16:17]
	s_cbranch_execz .LBB139_49
; %bb.48:
	ds_read_b32 v6, v21 offset:4096
	s_brev_b32 s18, -2
	v_bfrev_b32_e32 v7, 1
	v_mov_b32_e32 v10, s39
	s_waitcnt lgkmcnt(0)
	v_cmp_ne_u32_e64 s[18:19], s18, v6
	v_cndmask_b32_e64 v4, v7, v6, s[18:19]
	v_lshrrev_b32_e32 v4, s48, v4
	v_and_b32_e32 v4, s33, v4
	v_lshlrev_b32_e32 v4, 3, v4
	ds_read_b64 v[4:5], v4
	v_cmp_lt_i32_e64 s[18:19], -1, v6
	v_cndmask_b32_e64 v7, v7, -1, s[18:19]
	v_xor_b32_e32 v6, v7, v6
	s_waitcnt lgkmcnt(0)
	v_lshlrev_b64 v[4:5], 2, v[4:5]
	v_add_co_u32_e64 v4, s[18:19], s38, v4
	v_addc_co_u32_e64 v5, s[18:19], v10, v5, s[18:19]
	v_add_co_u32_e64 v4, s[18:19], v4, v21
	v_addc_co_u32_e64 v5, s[18:19], 0, v5, s[18:19]
	global_store_dword v[4:5], v6, off offset:2048
.LBB139_49:
	s_or_b64 exec, exec, s[20:21]
	v_or_b32_e32 v29, 0x400, v8
	v_cmp_gt_u32_e64 s[18:19], s50, v29
	s_and_saveexec_b64 s[22:23], s[18:19]
	s_cbranch_execz .LBB139_51
; %bb.50:
	ds_read_b32 v6, v21 offset:6144
	s_brev_b32 s20, -2
	v_bfrev_b32_e32 v7, 1
	v_mov_b32_e32 v10, s39
	s_waitcnt lgkmcnt(0)
	v_cmp_ne_u32_e64 s[20:21], s20, v6
	v_cndmask_b32_e64 v4, v7, v6, s[20:21]
	v_lshrrev_b32_e32 v4, s48, v4
	v_and_b32_e32 v4, s33, v4
	v_lshlrev_b32_e32 v4, 3, v4
	ds_read_b64 v[4:5], v4
	v_cmp_lt_i32_e64 s[20:21], -1, v6
	v_cndmask_b32_e64 v7, v7, -1, s[20:21]
	v_xor_b32_e32 v6, v7, v6
	v_lshlrev_b32_e32 v7, 2, v29
	s_waitcnt lgkmcnt(0)
	v_lshlrev_b64 v[4:5], 2, v[4:5]
	v_add_co_u32_e64 v4, s[20:21], s38, v4
	v_addc_co_u32_e64 v5, s[20:21], v10, v5, s[20:21]
	v_add_co_u32_e64 v4, s[20:21], v4, v7
	v_addc_co_u32_e64 v5, s[20:21], 0, v5, s[20:21]
	global_store_dword v[4:5], v6, off
.LBB139_51:
	s_or_b64 exec, exec, s[22:23]
	v_add_u32_e32 v30, 0x600, v8
	v_cmp_gt_u32_e64 s[20:21], s50, v30
	s_and_saveexec_b64 s[24:25], s[20:21]
	s_cbranch_execz .LBB139_53
; %bb.52:
	ds_read_b32 v6, v21 offset:8192
	s_brev_b32 s22, -2
	v_bfrev_b32_e32 v7, 1
	v_mov_b32_e32 v10, s39
	s_waitcnt lgkmcnt(0)
	v_cmp_ne_u32_e64 s[22:23], s22, v6
	v_cndmask_b32_e64 v4, v7, v6, s[22:23]
	v_lshrrev_b32_e32 v4, s48, v4
	v_and_b32_e32 v4, s33, v4
	v_lshlrev_b32_e32 v4, 3, v4
	ds_read_b64 v[4:5], v4
	v_cmp_lt_i32_e64 s[22:23], -1, v6
	v_cndmask_b32_e64 v7, v7, -1, s[22:23]
	v_xor_b32_e32 v6, v7, v6
	v_lshlrev_b32_e32 v7, 2, v30
	s_waitcnt lgkmcnt(0)
	v_lshlrev_b64 v[4:5], 2, v[4:5]
	v_add_co_u32_e64 v4, s[22:23], s38, v4
	v_addc_co_u32_e64 v5, s[22:23], v10, v5, s[22:23]
	v_add_co_u32_e64 v4, s[22:23], v4, v7
	v_addc_co_u32_e64 v5, s[22:23], 0, v5, s[22:23]
	global_store_dword v[4:5], v6, off
.LBB139_53:
	s_or_b64 exec, exec, s[24:25]
	v_or_b32_e32 v31, 0x800, v8
	v_cmp_gt_u32_e64 s[22:23], s50, v31
	s_and_saveexec_b64 s[28:29], s[22:23]
	s_cbranch_execz .LBB139_55
; %bb.54:
	ds_read_b32 v6, v21 offset:10240
	s_brev_b32 s24, -2
	v_bfrev_b32_e32 v7, 1
	v_mov_b32_e32 v10, s39
	s_waitcnt lgkmcnt(0)
	v_cmp_ne_u32_e64 s[24:25], s24, v6
	v_cndmask_b32_e64 v4, v7, v6, s[24:25]
	v_lshrrev_b32_e32 v4, s48, v4
	v_and_b32_e32 v4, s33, v4
	v_lshlrev_b32_e32 v4, 3, v4
	ds_read_b64 v[4:5], v4
	v_cmp_lt_i32_e64 s[24:25], -1, v6
	v_cndmask_b32_e64 v7, v7, -1, s[24:25]
	v_xor_b32_e32 v6, v7, v6
	v_lshlrev_b32_e32 v7, 2, v31
	s_waitcnt lgkmcnt(0)
	v_lshlrev_b64 v[4:5], 2, v[4:5]
	v_add_co_u32_e64 v4, s[24:25], s38, v4
	v_addc_co_u32_e64 v5, s[24:25], v10, v5, s[24:25]
	v_add_co_u32_e64 v4, s[24:25], v4, v7
	v_addc_co_u32_e64 v5, s[24:25], 0, v5, s[24:25]
	global_store_dword v[4:5], v6, off
.LBB139_55:
	s_or_b64 exec, exec, s[28:29]
	v_add_u32_e32 v32, 0xa00, v8
	v_cmp_gt_u32_e64 s[24:25], s50, v32
	s_and_saveexec_b64 s[50:51], s[24:25]
	s_cbranch_execz .LBB139_57
; %bb.56:
	ds_read_b32 v6, v21 offset:12288
	s_brev_b32 s28, -2
	v_bfrev_b32_e32 v7, 1
	v_mov_b32_e32 v10, s39
	s_waitcnt lgkmcnt(0)
	v_cmp_ne_u32_e64 s[28:29], s28, v6
	v_cndmask_b32_e64 v4, v7, v6, s[28:29]
	v_lshrrev_b32_e32 v4, s48, v4
	v_and_b32_e32 v4, s33, v4
	v_lshlrev_b32_e32 v4, 3, v4
	ds_read_b64 v[4:5], v4
	v_cmp_lt_i32_e64 s[28:29], -1, v6
	v_cndmask_b32_e64 v7, v7, -1, s[28:29]
	v_xor_b32_e32 v6, v7, v6
	v_lshlrev_b32_e32 v7, 2, v32
	s_waitcnt lgkmcnt(0)
	v_lshlrev_b64 v[4:5], 2, v[4:5]
	v_add_co_u32_e64 v4, s[28:29], s38, v4
	v_addc_co_u32_e64 v5, s[28:29], v10, v5, s[28:29]
	v_add_co_u32_e64 v4, s[28:29], v4, v7
	v_addc_co_u32_e64 v5, s[28:29], 0, v5, s[28:29]
	global_store_dword v[4:5], v6, off
.LBB139_57:
	s_or_b64 exec, exec, s[50:51]
	s_lshl_b64 s[28:29], s[30:31], 3
	s_add_u32 s28, s40, s28
	s_addc_u32 s29, s41, s29
	v_lshlrev_b32_e32 v4, 3, v14
	v_mov_b32_e32 v5, s29
	v_add_co_u32_e64 v4, s[28:29], s28, v4
	v_addc_co_u32_e64 v5, s[28:29], 0, v5, s[28:29]
	v_lshlrev_b32_e32 v6, 3, v9
	v_add_co_u32_e64 v18, s[28:29], v4, v6
	v_addc_co_u32_e64 v19, s[28:29], 0, v5, s[28:29]
                                        ; implicit-def: $vgpr4_vgpr5
	s_and_saveexec_b64 s[28:29], vcc
	s_xor_b64 s[28:29], exec, s[28:29]
	s_cbranch_execnz .LBB139_127
; %bb.58:
	s_or_b64 exec, exec, s[28:29]
                                        ; implicit-def: $vgpr6_vgpr7
	s_and_saveexec_b64 s[28:29], s[0:1]
	s_cbranch_execnz .LBB139_128
.LBB139_59:
	s_or_b64 exec, exec, s[28:29]
                                        ; implicit-def: $vgpr10_vgpr11
	s_and_saveexec_b64 s[0:1], s[2:3]
	s_cbranch_execnz .LBB139_129
.LBB139_60:
	s_or_b64 exec, exec, s[0:1]
                                        ; implicit-def: $vgpr12_vgpr13
	s_and_saveexec_b64 s[0:1], s[26:27]
	s_cbranch_execnz .LBB139_130
.LBB139_61:
	s_or_b64 exec, exec, s[0:1]
                                        ; implicit-def: $vgpr14_vgpr15
	s_and_saveexec_b64 s[0:1], s[8:9]
	s_cbranch_execnz .LBB139_131
.LBB139_62:
	s_or_b64 exec, exec, s[0:1]
                                        ; implicit-def: $vgpr16_vgpr17
	s_and_saveexec_b64 s[0:1], s[10:11]
	s_cbranch_execz .LBB139_64
.LBB139_63:
	global_load_dwordx2 v[16:17], v[18:19], off offset:2560
.LBB139_64:
	s_or_b64 exec, exec, s[0:1]
	v_mov_b32_e32 v19, 0
	v_mov_b32_e32 v35, 0
	s_and_saveexec_b64 s[0:1], s[14:15]
	s_cbranch_execz .LBB139_66
; %bb.65:
	ds_read_b32 v9, v21 offset:2048
	s_brev_b32 s2, -2
	v_bfrev_b32_e32 v18, 1
	s_waitcnt lgkmcnt(0)
	v_cmp_ne_u32_e32 vcc, s2, v9
	v_cndmask_b32_e32 v9, v18, v9, vcc
	v_lshrrev_b32_e32 v9, s48, v9
	v_and_b32_e32 v35, s33, v9
.LBB139_66:
	s_or_b64 exec, exec, s[0:1]
	s_and_saveexec_b64 s[0:1], s[16:17]
	s_cbranch_execz .LBB139_68
; %bb.67:
	ds_read_b32 v9, v21 offset:4096
	s_brev_b32 s2, -2
	v_bfrev_b32_e32 v18, 1
	s_waitcnt lgkmcnt(0)
	v_cmp_ne_u32_e32 vcc, s2, v9
	v_cndmask_b32_e32 v9, v18, v9, vcc
	v_lshrrev_b32_e32 v9, s48, v9
	v_and_b32_e32 v19, s33, v9
.LBB139_68:
	s_or_b64 exec, exec, s[0:1]
	v_mov_b32_e32 v18, 0
	v_mov_b32_e32 v34, 0
	s_and_saveexec_b64 s[0:1], s[18:19]
	s_cbranch_execz .LBB139_70
; %bb.69:
	ds_read_b32 v9, v21 offset:6144
	s_brev_b32 s2, -2
	v_bfrev_b32_e32 v33, 1
	s_waitcnt lgkmcnt(0)
	v_cmp_ne_u32_e32 vcc, s2, v9
	v_cndmask_b32_e32 v9, v33, v9, vcc
	v_lshrrev_b32_e32 v9, s48, v9
	v_and_b32_e32 v34, s33, v9
.LBB139_70:
	s_or_b64 exec, exec, s[0:1]
	s_and_saveexec_b64 s[0:1], s[20:21]
	s_cbranch_execz .LBB139_72
; %bb.71:
	ds_read_b32 v9, v21 offset:8192
	s_brev_b32 s2, -2
	v_bfrev_b32_e32 v18, 1
	s_waitcnt lgkmcnt(0)
	v_cmp_ne_u32_e32 vcc, s2, v9
	v_cndmask_b32_e32 v9, v18, v9, vcc
	v_lshrrev_b32_e32 v9, s48, v9
	v_and_b32_e32 v18, s33, v9
.LBB139_72:
	;; [unrolled: 28-line block ×3, first 2 shown]
	s_or_b64 exec, exec, s[0:1]
	v_lshlrev_b32_e32 v21, 3, v28
	s_barrier
	s_waitcnt vmcnt(0)
	ds_write_b64 v21, v[4:5] offset:2048
	v_lshlrev_b32_e32 v4, 3, v27
	ds_write_b64 v4, v[6:7] offset:2048
	v_lshlrev_b32_e32 v4, 3, v26
	;; [unrolled: 2-line block ×6, first 2 shown]
	s_waitcnt lgkmcnt(0)
	s_barrier
	s_and_saveexec_b64 s[0:1], s[14:15]
	s_cbranch_execnz .LBB139_132
; %bb.77:
	s_or_b64 exec, exec, s[0:1]
	s_and_saveexec_b64 s[0:1], s[16:17]
	s_cbranch_execnz .LBB139_133
.LBB139_78:
	s_or_b64 exec, exec, s[0:1]
	s_and_saveexec_b64 s[0:1], s[18:19]
	s_cbranch_execnz .LBB139_134
.LBB139_79:
	s_or_b64 exec, exec, s[0:1]
	s_and_saveexec_b64 s[0:1], s[20:21]
	s_cbranch_execnz .LBB139_135
.LBB139_80:
	s_or_b64 exec, exec, s[0:1]
	s_and_saveexec_b64 s[0:1], s[22:23]
	s_cbranch_execnz .LBB139_136
.LBB139_81:
	s_or_b64 exec, exec, s[0:1]
	s_and_saveexec_b64 s[0:1], s[24:25]
	s_cbranch_execz .LBB139_83
.LBB139_82:
	v_lshlrev_b32_e32 v5, 3, v9
	ds_read_b64 v[6:7], v5
	ds_read_b64 v[4:5], v4 offset:22528
	v_mov_b32_e32 v9, s43
	s_waitcnt lgkmcnt(1)
	v_lshlrev_b64 v[6:7], 3, v[6:7]
	v_add_co_u32_e32 v6, vcc, s42, v6
	v_addc_co_u32_e32 v7, vcc, v9, v7, vcc
	v_lshlrev_b32_e32 v9, 3, v32
	v_add_co_u32_e32 v6, vcc, v6, v9
	v_addc_co_u32_e32 v7, vcc, 0, v7, vcc
	s_waitcnt lgkmcnt(0)
	global_store_dwordx2 v[6:7], v[4:5], off
.LBB139_83:
	s_or_b64 exec, exec, s[0:1]
	s_add_i32 s7, s7, -1
	s_cmp_eq_u32 s6, s7
	s_cselect_b64 s[0:1], -1, 0
	s_and_b64 s[2:3], s[12:13], s[0:1]
	s_mov_b64 s[0:1], 0
	s_mov_b64 s[8:9], 0
                                        ; implicit-def: $vgpr4_vgpr5
	s_and_saveexec_b64 s[10:11], s[2:3]
	s_xor_b64 s[2:3], exec, s[10:11]
; %bb.84:
	v_add_co_u32_e32 v4, vcc, v2, v20
	s_mov_b64 s[8:9], exec
	v_mov_b32_e32 v9, 0
	v_addc_co_u32_e32 v5, vcc, 0, v3, vcc
; %bb.85:
	s_or_b64 exec, exec, s[2:3]
	s_and_b64 vcc, exec, s[0:1]
	s_cbranch_vccnz .LBB139_87
	s_branch .LBB139_124
.LBB139_86:
	s_mov_b64 s[8:9], 0
                                        ; implicit-def: $vgpr4_vgpr5
                                        ; implicit-def: $vgpr8_vgpr9
	s_cbranch_execz .LBB139_124
.LBB139_87:
	s_mov_b32 s31, 0
	s_lshl_b64 s[0:1], s[30:31], 2
	v_mbcnt_hi_u32_b32 v11, -1, v1
	s_add_u32 s0, s36, s0
	v_lshlrev_b32_e32 v1, 2, v11
	v_and_b32_e32 v8, 0x3ff, v0
	v_add_co_u32_e32 v1, vcc, s0, v1
	s_load_dword s7, s[4:5], 0x50
	s_load_dword s0, s[4:5], 0x5c
	s_addc_u32 s1, s37, s1
	v_and_b32_e32 v6, 0x1c0, v8
	v_mul_u32_u24_e32 v10, 6, v6
	v_mov_b32_e32 v3, s1
	v_addc_co_u32_e32 v3, vcc, 0, v3, vcc
	v_lshlrev_b32_e32 v4, 2, v10
	v_add_co_u32_e32 v14, vcc, v1, v4
	s_add_u32 s1, s4, 0x50
	v_addc_co_u32_e32 v15, vcc, 0, v3, vcc
	s_addc_u32 s2, s5, 0
	s_waitcnt lgkmcnt(0)
	s_lshr_b32 s3, s0, 16
	global_load_dword v1, v[14:15], off
	s_cmp_lt_u32 s6, s7
	s_cselect_b32 s0, 12, 18
	s_add_u32 s0, s1, s0
	v_mov_b32_e32 v2, 0
	s_addc_u32 s1, s2, 0
	global_load_ushort v3, v2, s[0:1]
	v_mul_u32_u24_e32 v5, 5, v8
	v_lshlrev_b32_e32 v5, 2, v5
	ds_write2_b32 v5, v2, v2 offset0:8 offset1:9
	ds_write2_b32 v5, v2, v2 offset0:10 offset1:11
	ds_write_b32 v5, v2 offset:48
	global_load_dword v12, v[14:15], off offset:256
	global_load_dword v16, v[14:15], off offset:512
	;; [unrolled: 1-line block ×5, first 2 shown]
	v_bfrev_b32_e32 v13, 1
	v_bfe_u32 v4, v0, 10, 10
	v_bfe_u32 v0, v0, 20, 10
	v_mad_u32_u24 v0, v0, s3, v4
	s_brev_b32 s2, -2
	s_lshl_b32 s0, -1, s49
	s_not_b32 s14, s0
	s_waitcnt lgkmcnt(0)
	s_barrier
	s_waitcnt lgkmcnt(0)
	; wave barrier
	s_waitcnt vmcnt(6)
	v_cmp_lt_i32_e32 vcc, -1, v1
	v_cndmask_b32_e32 v4, -1, v13, vcc
	v_xor_b32_e32 v4, v4, v1
	v_cmp_ne_u32_e32 vcc, s2, v4
	v_cndmask_b32_e32 v7, v13, v4, vcc
	s_waitcnt vmcnt(5)
	v_mad_u64_u32 v[0:1], s[0:1], v0, v3, v[8:9]
	v_lshrrev_b32_e32 v1, s48, v7
	v_lshrrev_b32_e32 v19, 6, v0
	v_and_b32_e32 v0, s14, v1
	v_lshl_add_u32 v1, v0, 3, v0
	v_and_b32_e32 v9, 1, v0
	v_add_lshl_u32 v7, v19, v1, 2
	v_add_co_u32_e32 v1, vcc, -1, v9
	v_lshlrev_b32_e32 v3, 30, v0
	v_addc_co_u32_e64 v14, s[0:1], 0, -1, vcc
	v_cmp_ne_u32_e32 vcc, 0, v9
	v_cmp_gt_i64_e64 s[0:1], 0, v[2:3]
	v_not_b32_e32 v9, v3
	v_lshlrev_b32_e32 v3, 29, v0
	v_xor_b32_e32 v14, vcc_hi, v14
	v_xor_b32_e32 v1, vcc_lo, v1
	v_ashrrev_i32_e32 v9, 31, v9
	v_cmp_gt_i64_e32 vcc, 0, v[2:3]
	v_not_b32_e32 v15, v3
	v_lshlrev_b32_e32 v3, 28, v0
	v_and_b32_e32 v14, exec_hi, v14
	v_and_b32_e32 v1, exec_lo, v1
	v_xor_b32_e32 v17, s1, v9
	v_xor_b32_e32 v9, s0, v9
	v_ashrrev_i32_e32 v15, 31, v15
	v_cmp_gt_i64_e64 s[0:1], 0, v[2:3]
	v_not_b32_e32 v20, v3
	v_lshlrev_b32_e32 v3, 27, v0
	v_and_b32_e32 v14, v14, v17
	v_and_b32_e32 v1, v1, v9
	v_xor_b32_e32 v9, vcc_hi, v15
	v_xor_b32_e32 v15, vcc_lo, v15
	v_ashrrev_i32_e32 v17, 31, v20
	v_cmp_gt_i64_e32 vcc, 0, v[2:3]
	v_not_b32_e32 v3, v3
	v_and_b32_e32 v9, v14, v9
	v_and_b32_e32 v1, v1, v15
	v_xor_b32_e32 v14, s1, v17
	v_xor_b32_e32 v15, s0, v17
	v_ashrrev_i32_e32 v3, 31, v3
	v_and_b32_e32 v9, v9, v14
	v_and_b32_e32 v1, v1, v15
	v_xor_b32_e32 v14, vcc_hi, v3
	v_xor_b32_e32 v3, vcc_lo, v3
	v_and_b32_e32 v1, v1, v3
	v_lshlrev_b32_e32 v3, 26, v0
	v_cmp_gt_i64_e32 vcc, 0, v[2:3]
	v_not_b32_e32 v3, v3
	v_ashrrev_i32_e32 v3, 31, v3
	v_and_b32_e32 v9, v9, v14
	v_xor_b32_e32 v14, vcc_hi, v3
	v_xor_b32_e32 v3, vcc_lo, v3
	v_and_b32_e32 v1, v1, v3
	v_lshlrev_b32_e32 v3, 25, v0
	v_cmp_gt_i64_e32 vcc, 0, v[2:3]
	v_not_b32_e32 v3, v3
	v_ashrrev_i32_e32 v3, 31, v3
	v_and_b32_e32 v9, v9, v14
	v_xor_b32_e32 v14, vcc_hi, v3
	v_xor_b32_e32 v3, vcc_lo, v3
	v_and_b32_e32 v9, v9, v14
	v_and_b32_e32 v14, v1, v3
	v_lshlrev_b32_e32 v3, 24, v0
	v_not_b32_e32 v0, v3
	v_cmp_gt_i64_e32 vcc, 0, v[2:3]
	v_ashrrev_i32_e32 v0, 31, v0
	v_xor_b32_e32 v1, vcc_hi, v0
	v_xor_b32_e32 v0, vcc_lo, v0
	v_and_b32_e32 v0, v14, v0
	v_and_b32_e32 v1, v9, v1
	v_mbcnt_lo_u32_b32 v3, v0, 0
	v_mbcnt_hi_u32_b32 v9, v1, v3
	v_cmp_eq_u32_e32 vcc, 0, v9
	v_cmp_ne_u64_e64 s[0:1], 0, v[0:1]
	s_and_b64 s[4:5], s[0:1], vcc
	s_and_saveexec_b64 s[0:1], s[4:5]
	s_cbranch_execz .LBB139_89
; %bb.88:
	v_bcnt_u32_b32 v0, v0, 0
	v_bcnt_u32_b32 v0, v1, v0
	ds_write_b32 v7, v0 offset:32
.LBB139_89:
	s_or_b64 exec, exec, s[0:1]
	s_waitcnt vmcnt(4)
	v_cmp_lt_i32_e32 vcc, -1, v12
	v_cndmask_b32_e32 v0, -1, v13, vcc
	v_xor_b32_e32 v12, v0, v12
	v_cmp_ne_u32_e32 vcc, s2, v12
	v_cndmask_b32_e32 v0, v13, v12, vcc
	v_lshrrev_b32_e32 v0, s48, v0
	v_and_b32_e32 v0, s14, v0
	v_lshl_add_u32 v1, v0, 3, v0
	v_add_lshl_u32 v14, v19, v1, 2
	v_and_b32_e32 v1, 1, v0
	v_add_co_u32_e32 v3, vcc, -1, v1
	v_addc_co_u32_e64 v15, s[0:1], 0, -1, vcc
	v_cmp_ne_u32_e32 vcc, 0, v1
	v_xor_b32_e32 v3, vcc_lo, v3
	v_xor_b32_e32 v1, vcc_hi, v15
	v_and_b32_e32 v15, exec_lo, v3
	v_lshlrev_b32_e32 v3, 30, v0
	v_cmp_gt_i64_e32 vcc, 0, v[2:3]
	v_not_b32_e32 v3, v3
	v_ashrrev_i32_e32 v3, 31, v3
	v_xor_b32_e32 v17, vcc_hi, v3
	v_xor_b32_e32 v3, vcc_lo, v3
	v_and_b32_e32 v15, v15, v3
	v_lshlrev_b32_e32 v3, 29, v0
	v_cmp_gt_i64_e32 vcc, 0, v[2:3]
	v_not_b32_e32 v3, v3
	v_and_b32_e32 v1, exec_hi, v1
	v_ashrrev_i32_e32 v3, 31, v3
	v_and_b32_e32 v1, v1, v17
	v_xor_b32_e32 v17, vcc_hi, v3
	v_xor_b32_e32 v3, vcc_lo, v3
	v_and_b32_e32 v15, v15, v3
	v_lshlrev_b32_e32 v3, 28, v0
	v_cmp_gt_i64_e32 vcc, 0, v[2:3]
	v_not_b32_e32 v3, v3
	v_ashrrev_i32_e32 v3, 31, v3
	v_and_b32_e32 v1, v1, v17
	v_xor_b32_e32 v17, vcc_hi, v3
	v_xor_b32_e32 v3, vcc_lo, v3
	v_and_b32_e32 v15, v15, v3
	v_lshlrev_b32_e32 v3, 27, v0
	v_cmp_gt_i64_e32 vcc, 0, v[2:3]
	v_not_b32_e32 v3, v3
	;; [unrolled: 8-line block ×4, first 2 shown]
	v_ashrrev_i32_e32 v3, 31, v3
	v_and_b32_e32 v1, v1, v17
	v_xor_b32_e32 v17, vcc_hi, v3
	v_xor_b32_e32 v3, vcc_lo, v3
	v_and_b32_e32 v15, v15, v3
	v_lshlrev_b32_e32 v3, 24, v0
	v_not_b32_e32 v0, v3
	v_cmp_gt_i64_e32 vcc, 0, v[2:3]
	v_ashrrev_i32_e32 v0, 31, v0
	v_xor_b32_e32 v2, vcc_hi, v0
	v_xor_b32_e32 v0, vcc_lo, v0
	; wave barrier
	ds_read_b32 v13, v14 offset:32
	v_and_b32_e32 v1, v1, v17
	v_and_b32_e32 v0, v15, v0
	;; [unrolled: 1-line block ×3, first 2 shown]
	v_mbcnt_lo_u32_b32 v2, v0, 0
	v_mbcnt_hi_u32_b32 v15, v1, v2
	v_cmp_eq_u32_e32 vcc, 0, v15
	v_cmp_ne_u64_e64 s[0:1], 0, v[0:1]
	s_and_b64 s[2:3], s[0:1], vcc
	; wave barrier
	s_and_saveexec_b64 s[0:1], s[2:3]
	s_cbranch_execz .LBB139_91
; %bb.90:
	v_bcnt_u32_b32 v0, v0, 0
	v_bcnt_u32_b32 v0, v1, v0
	s_waitcnt lgkmcnt(0)
	v_add_u32_e32 v0, v13, v0
	ds_write_b32 v14, v0 offset:32
.LBB139_91:
	s_or_b64 exec, exec, s[0:1]
	v_bfrev_b32_e32 v23, 1
	s_waitcnt vmcnt(3)
	v_cmp_lt_i32_e32 vcc, -1, v16
	v_cndmask_b32_e32 v0, -1, v23, vcc
	v_xor_b32_e32 v16, v0, v16
	s_brev_b32 s2, -2
	v_cmp_ne_u32_e32 vcc, s2, v16
	v_cndmask_b32_e32 v0, v23, v16, vcc
	v_lshrrev_b32_e32 v0, s48, v0
	v_and_b32_e32 v2, s14, v0
	v_and_b32_e32 v1, 1, v2
	v_add_co_u32_e32 v3, vcc, -1, v1
	v_addc_co_u32_e64 v21, s[0:1], 0, -1, vcc
	v_cmp_ne_u32_e32 vcc, 0, v1
	v_lshl_add_u32 v0, v2, 3, v2
	v_xor_b32_e32 v1, vcc_hi, v21
	v_add_lshl_u32 v20, v19, v0, 2
	v_mov_b32_e32 v0, 0
	v_and_b32_e32 v21, exec_hi, v1
	v_lshlrev_b32_e32 v1, 30, v2
	v_xor_b32_e32 v3, vcc_lo, v3
	v_cmp_gt_i64_e32 vcc, 0, v[0:1]
	v_not_b32_e32 v1, v1
	v_ashrrev_i32_e32 v1, 31, v1
	v_and_b32_e32 v3, exec_lo, v3
	v_xor_b32_e32 v25, vcc_hi, v1
	v_xor_b32_e32 v1, vcc_lo, v1
	v_and_b32_e32 v3, v3, v1
	v_lshlrev_b32_e32 v1, 29, v2
	v_cmp_gt_i64_e32 vcc, 0, v[0:1]
	v_not_b32_e32 v1, v1
	v_ashrrev_i32_e32 v1, 31, v1
	v_and_b32_e32 v21, v21, v25
	v_xor_b32_e32 v25, vcc_hi, v1
	v_xor_b32_e32 v1, vcc_lo, v1
	v_and_b32_e32 v3, v3, v1
	v_lshlrev_b32_e32 v1, 28, v2
	v_cmp_gt_i64_e32 vcc, 0, v[0:1]
	v_not_b32_e32 v1, v1
	v_ashrrev_i32_e32 v1, 31, v1
	v_and_b32_e32 v21, v21, v25
	;; [unrolled: 8-line block ×5, first 2 shown]
	v_xor_b32_e32 v25, vcc_hi, v1
	v_xor_b32_e32 v1, vcc_lo, v1
	v_and_b32_e32 v21, v21, v25
	v_and_b32_e32 v25, v3, v1
	v_lshlrev_b32_e32 v1, 24, v2
	v_cmp_gt_i64_e32 vcc, 0, v[0:1]
	v_not_b32_e32 v1, v1
	v_ashrrev_i32_e32 v1, 31, v1
	v_xor_b32_e32 v2, vcc_hi, v1
	v_xor_b32_e32 v1, vcc_lo, v1
	; wave barrier
	ds_read_b32 v17, v20 offset:32
	v_and_b32_e32 v3, v21, v2
	v_and_b32_e32 v2, v25, v1
	v_mbcnt_lo_u32_b32 v1, v2, 0
	v_mbcnt_hi_u32_b32 v21, v3, v1
	v_cmp_eq_u32_e32 vcc, 0, v21
	v_cmp_ne_u64_e64 s[0:1], 0, v[2:3]
	s_and_b64 s[4:5], s[0:1], vcc
	; wave barrier
	s_and_saveexec_b64 s[0:1], s[4:5]
	s_cbranch_execz .LBB139_93
; %bb.92:
	v_bcnt_u32_b32 v1, v2, 0
	v_bcnt_u32_b32 v1, v3, v1
	s_waitcnt lgkmcnt(0)
	v_add_u32_e32 v1, v17, v1
	ds_write_b32 v20, v1 offset:32
.LBB139_93:
	s_or_b64 exec, exec, s[0:1]
	s_waitcnt vmcnt(2)
	v_cmp_lt_i32_e32 vcc, -1, v22
	v_cndmask_b32_e32 v1, -1, v23, vcc
	v_xor_b32_e32 v22, v1, v22
	v_cmp_ne_u32_e32 vcc, s2, v22
	v_cndmask_b32_e32 v1, v23, v22, vcc
	v_lshrrev_b32_e32 v1, s48, v1
	v_and_b32_e32 v2, s14, v1
	v_lshl_add_u32 v1, v2, 3, v2
	v_add_lshl_u32 v25, v19, v1, 2
	v_and_b32_e32 v1, 1, v2
	v_add_co_u32_e32 v3, vcc, -1, v1
	v_addc_co_u32_e64 v26, s[0:1], 0, -1, vcc
	v_cmp_ne_u32_e32 vcc, 0, v1
	v_xor_b32_e32 v1, vcc_hi, v26
	v_and_b32_e32 v26, exec_hi, v1
	v_lshlrev_b32_e32 v1, 30, v2
	v_xor_b32_e32 v3, vcc_lo, v3
	v_cmp_gt_i64_e32 vcc, 0, v[0:1]
	v_not_b32_e32 v1, v1
	v_ashrrev_i32_e32 v1, 31, v1
	v_and_b32_e32 v3, exec_lo, v3
	v_xor_b32_e32 v27, vcc_hi, v1
	v_xor_b32_e32 v1, vcc_lo, v1
	v_and_b32_e32 v3, v3, v1
	v_lshlrev_b32_e32 v1, 29, v2
	v_cmp_gt_i64_e32 vcc, 0, v[0:1]
	v_not_b32_e32 v1, v1
	v_ashrrev_i32_e32 v1, 31, v1
	v_and_b32_e32 v26, v26, v27
	v_xor_b32_e32 v27, vcc_hi, v1
	v_xor_b32_e32 v1, vcc_lo, v1
	v_and_b32_e32 v3, v3, v1
	v_lshlrev_b32_e32 v1, 28, v2
	v_cmp_gt_i64_e32 vcc, 0, v[0:1]
	v_not_b32_e32 v1, v1
	v_ashrrev_i32_e32 v1, 31, v1
	v_and_b32_e32 v26, v26, v27
	;; [unrolled: 8-line block ×5, first 2 shown]
	v_xor_b32_e32 v27, vcc_hi, v1
	v_xor_b32_e32 v1, vcc_lo, v1
	v_and_b32_e32 v3, v3, v1
	v_lshlrev_b32_e32 v1, 24, v2
	v_cmp_gt_i64_e32 vcc, 0, v[0:1]
	v_not_b32_e32 v0, v1
	v_ashrrev_i32_e32 v0, 31, v0
	v_xor_b32_e32 v1, vcc_hi, v0
	v_xor_b32_e32 v0, vcc_lo, v0
	; wave barrier
	ds_read_b32 v23, v25 offset:32
	v_and_b32_e32 v26, v26, v27
	v_and_b32_e32 v0, v3, v0
	;; [unrolled: 1-line block ×3, first 2 shown]
	v_mbcnt_lo_u32_b32 v2, v0, 0
	v_mbcnt_hi_u32_b32 v26, v1, v2
	v_cmp_eq_u32_e32 vcc, 0, v26
	v_cmp_ne_u64_e64 s[0:1], 0, v[0:1]
	s_and_b64 s[2:3], s[0:1], vcc
	; wave barrier
	s_and_saveexec_b64 s[0:1], s[2:3]
	s_cbranch_execz .LBB139_95
; %bb.94:
	v_bcnt_u32_b32 v0, v0, 0
	v_bcnt_u32_b32 v0, v1, v0
	s_waitcnt lgkmcnt(0)
	v_add_u32_e32 v0, v23, v0
	ds_write_b32 v25, v0 offset:32
.LBB139_95:
	s_or_b64 exec, exec, s[0:1]
	v_bfrev_b32_e32 v31, 1
	s_waitcnt vmcnt(1)
	v_cmp_lt_i32_e32 vcc, -1, v24
	v_cndmask_b32_e32 v0, -1, v31, vcc
	v_xor_b32_e32 v27, v0, v24
	s_brev_b32 s2, -2
	v_cmp_ne_u32_e32 vcc, s2, v27
	v_cndmask_b32_e32 v0, v31, v27, vcc
	v_lshrrev_b32_e32 v0, s48, v0
	v_and_b32_e32 v2, s14, v0
	v_and_b32_e32 v1, 1, v2
	v_add_co_u32_e32 v3, vcc, -1, v1
	v_addc_co_u32_e64 v29, s[0:1], 0, -1, vcc
	v_cmp_ne_u32_e32 vcc, 0, v1
	v_lshl_add_u32 v0, v2, 3, v2
	v_xor_b32_e32 v1, vcc_hi, v29
	v_add_lshl_u32 v24, v19, v0, 2
	v_mov_b32_e32 v0, 0
	v_and_b32_e32 v29, exec_hi, v1
	v_lshlrev_b32_e32 v1, 30, v2
	v_xor_b32_e32 v3, vcc_lo, v3
	v_cmp_gt_i64_e32 vcc, 0, v[0:1]
	v_not_b32_e32 v1, v1
	v_ashrrev_i32_e32 v1, 31, v1
	v_and_b32_e32 v3, exec_lo, v3
	v_xor_b32_e32 v30, vcc_hi, v1
	v_xor_b32_e32 v1, vcc_lo, v1
	v_and_b32_e32 v3, v3, v1
	v_lshlrev_b32_e32 v1, 29, v2
	v_cmp_gt_i64_e32 vcc, 0, v[0:1]
	v_not_b32_e32 v1, v1
	v_ashrrev_i32_e32 v1, 31, v1
	v_and_b32_e32 v29, v29, v30
	v_xor_b32_e32 v30, vcc_hi, v1
	v_xor_b32_e32 v1, vcc_lo, v1
	v_and_b32_e32 v3, v3, v1
	v_lshlrev_b32_e32 v1, 28, v2
	v_cmp_gt_i64_e32 vcc, 0, v[0:1]
	v_not_b32_e32 v1, v1
	v_ashrrev_i32_e32 v1, 31, v1
	v_and_b32_e32 v29, v29, v30
	;; [unrolled: 8-line block ×5, first 2 shown]
	v_xor_b32_e32 v30, vcc_hi, v1
	v_xor_b32_e32 v1, vcc_lo, v1
	v_and_b32_e32 v29, v29, v30
	v_and_b32_e32 v30, v3, v1
	v_lshlrev_b32_e32 v1, 24, v2
	v_cmp_gt_i64_e32 vcc, 0, v[0:1]
	v_not_b32_e32 v1, v1
	v_ashrrev_i32_e32 v1, 31, v1
	v_xor_b32_e32 v2, vcc_hi, v1
	v_xor_b32_e32 v1, vcc_lo, v1
	; wave barrier
	ds_read_b32 v28, v24 offset:32
	v_and_b32_e32 v3, v29, v2
	v_and_b32_e32 v2, v30, v1
	v_mbcnt_lo_u32_b32 v1, v2, 0
	v_mbcnt_hi_u32_b32 v29, v3, v1
	v_cmp_eq_u32_e32 vcc, 0, v29
	v_cmp_ne_u64_e64 s[0:1], 0, v[2:3]
	s_and_b64 s[4:5], s[0:1], vcc
	; wave barrier
	s_and_saveexec_b64 s[0:1], s[4:5]
	s_cbranch_execz .LBB139_97
; %bb.96:
	v_bcnt_u32_b32 v1, v2, 0
	v_bcnt_u32_b32 v1, v3, v1
	s_waitcnt lgkmcnt(0)
	v_add_u32_e32 v1, v28, v1
	ds_write_b32 v24, v1 offset:32
.LBB139_97:
	s_or_b64 exec, exec, s[0:1]
	s_waitcnt vmcnt(0)
	v_cmp_lt_i32_e32 vcc, -1, v18
	v_cndmask_b32_e32 v1, -1, v31, vcc
	v_xor_b32_e32 v30, v1, v18
	v_cmp_ne_u32_e32 vcc, s2, v30
	v_cndmask_b32_e32 v1, v31, v30, vcc
	v_lshrrev_b32_e32 v1, s48, v1
	v_and_b32_e32 v2, s14, v1
	v_lshl_add_u32 v1, v2, 3, v2
	v_add_lshl_u32 v19, v1, v19, 2
	v_and_b32_e32 v1, 1, v2
	v_add_co_u32_e32 v3, vcc, -1, v1
	v_addc_co_u32_e64 v18, s[0:1], 0, -1, vcc
	v_cmp_ne_u32_e32 vcc, 0, v1
	v_xor_b32_e32 v1, vcc_hi, v18
	v_and_b32_e32 v18, exec_hi, v1
	v_lshlrev_b32_e32 v1, 30, v2
	v_xor_b32_e32 v3, vcc_lo, v3
	v_cmp_gt_i64_e32 vcc, 0, v[0:1]
	v_not_b32_e32 v1, v1
	v_ashrrev_i32_e32 v1, 31, v1
	v_and_b32_e32 v3, exec_lo, v3
	v_xor_b32_e32 v33, vcc_hi, v1
	v_xor_b32_e32 v1, vcc_lo, v1
	v_and_b32_e32 v3, v3, v1
	v_lshlrev_b32_e32 v1, 29, v2
	v_cmp_gt_i64_e32 vcc, 0, v[0:1]
	v_not_b32_e32 v1, v1
	v_ashrrev_i32_e32 v1, 31, v1
	v_and_b32_e32 v18, v18, v33
	v_xor_b32_e32 v33, vcc_hi, v1
	v_xor_b32_e32 v1, vcc_lo, v1
	v_and_b32_e32 v3, v3, v1
	v_lshlrev_b32_e32 v1, 28, v2
	v_cmp_gt_i64_e32 vcc, 0, v[0:1]
	v_not_b32_e32 v1, v1
	v_ashrrev_i32_e32 v1, 31, v1
	v_and_b32_e32 v18, v18, v33
	;; [unrolled: 8-line block ×5, first 2 shown]
	v_xor_b32_e32 v33, vcc_hi, v1
	v_xor_b32_e32 v1, vcc_lo, v1
	v_and_b32_e32 v3, v3, v1
	v_lshlrev_b32_e32 v1, 24, v2
	v_cmp_gt_i64_e32 vcc, 0, v[0:1]
	v_not_b32_e32 v0, v1
	v_ashrrev_i32_e32 v0, 31, v0
	v_xor_b32_e32 v1, vcc_hi, v0
	v_xor_b32_e32 v0, vcc_lo, v0
	; wave barrier
	ds_read_b32 v31, v19 offset:32
	v_and_b32_e32 v18, v18, v33
	v_and_b32_e32 v0, v3, v0
	;; [unrolled: 1-line block ×3, first 2 shown]
	v_mbcnt_lo_u32_b32 v2, v0, 0
	v_mbcnt_hi_u32_b32 v33, v1, v2
	v_cmp_eq_u32_e32 vcc, 0, v33
	v_cmp_ne_u64_e64 s[0:1], 0, v[0:1]
	v_add_u32_e32 v32, 32, v5
	s_and_b64 s[2:3], s[0:1], vcc
	; wave barrier
	s_and_saveexec_b64 s[0:1], s[2:3]
	s_cbranch_execz .LBB139_99
; %bb.98:
	v_bcnt_u32_b32 v0, v0, 0
	v_bcnt_u32_b32 v0, v1, v0
	s_waitcnt lgkmcnt(0)
	v_add_u32_e32 v0, v31, v0
	ds_write_b32 v19, v0 offset:32
.LBB139_99:
	s_or_b64 exec, exec, s[0:1]
	; wave barrier
	s_waitcnt lgkmcnt(0)
	s_barrier
	ds_read2_b32 v[2:3], v5 offset0:8 offset1:9
	ds_read2_b32 v[0:1], v32 offset0:2 offset1:3
	ds_read_b32 v18, v32 offset:16
	v_min_u32_e32 v6, 0x1c0, v6
	v_or_b32_e32 v6, 63, v6
	s_waitcnt lgkmcnt(1)
	v_add3_u32 v34, v3, v2, v0
	s_waitcnt lgkmcnt(0)
	v_add3_u32 v18, v34, v1, v18
	v_and_b32_e32 v34, 15, v11
	v_cmp_ne_u32_e32 vcc, 0, v34
	v_mov_b32_dpp v35, v18 row_shr:1 row_mask:0xf bank_mask:0xf
	v_cndmask_b32_e32 v35, 0, v35, vcc
	v_add_u32_e32 v18, v35, v18
	v_cmp_lt_u32_e32 vcc, 1, v34
	s_nop 0
	v_mov_b32_dpp v35, v18 row_shr:2 row_mask:0xf bank_mask:0xf
	v_cndmask_b32_e32 v35, 0, v35, vcc
	v_add_u32_e32 v18, v18, v35
	v_cmp_lt_u32_e32 vcc, 3, v34
	s_nop 0
	;; [unrolled: 5-line block ×3, first 2 shown]
	v_mov_b32_dpp v35, v18 row_shr:8 row_mask:0xf bank_mask:0xf
	v_cndmask_b32_e32 v34, 0, v35, vcc
	v_add_u32_e32 v18, v18, v34
	v_bfe_i32 v35, v11, 4, 1
	v_cmp_lt_u32_e32 vcc, 31, v11
	v_mov_b32_dpp v34, v18 row_bcast:15 row_mask:0xf bank_mask:0xf
	v_and_b32_e32 v34, v35, v34
	v_add_u32_e32 v18, v18, v34
	v_lshrrev_b32_e32 v35, 6, v8
	s_nop 0
	v_mov_b32_dpp v34, v18 row_bcast:31 row_mask:0xf bank_mask:0xf
	v_cndmask_b32_e32 v34, 0, v34, vcc
	v_add_u32_e32 v34, v18, v34
	v_cmp_eq_u32_e32 vcc, v6, v8
	s_and_saveexec_b64 s[0:1], vcc
	s_cbranch_execz .LBB139_101
; %bb.100:
	v_lshlrev_b32_e32 v6, 2, v35
	ds_write_b32 v6, v34
.LBB139_101:
	s_or_b64 exec, exec, s[0:1]
	v_cmp_gt_u32_e32 vcc, 8, v8
	v_lshlrev_b32_e32 v18, 2, v8
	s_waitcnt lgkmcnt(0)
	s_barrier
	s_and_saveexec_b64 s[0:1], vcc
	s_cbranch_execz .LBB139_103
; %bb.102:
	ds_read_b32 v6, v18
	v_and_b32_e32 v36, 7, v11
	v_cmp_ne_u32_e32 vcc, 0, v36
	s_waitcnt lgkmcnt(0)
	v_mov_b32_dpp v37, v6 row_shr:1 row_mask:0xf bank_mask:0xf
	v_cndmask_b32_e32 v37, 0, v37, vcc
	v_add_u32_e32 v6, v37, v6
	v_cmp_lt_u32_e32 vcc, 1, v36
	s_nop 0
	v_mov_b32_dpp v37, v6 row_shr:2 row_mask:0xf bank_mask:0xf
	v_cndmask_b32_e32 v37, 0, v37, vcc
	v_add_u32_e32 v6, v6, v37
	v_cmp_lt_u32_e32 vcc, 3, v36
	s_nop 0
	v_mov_b32_dpp v37, v6 row_shr:4 row_mask:0xf bank_mask:0xf
	v_cndmask_b32_e32 v36, 0, v37, vcc
	v_add_u32_e32 v6, v6, v36
	ds_write_b32 v18, v6
.LBB139_103:
	s_or_b64 exec, exec, s[0:1]
	v_cmp_lt_u32_e32 vcc, 63, v8
	v_mov_b32_e32 v6, 0
	s_waitcnt lgkmcnt(0)
	s_barrier
	s_and_saveexec_b64 s[0:1], vcc
	s_cbranch_execz .LBB139_105
; %bb.104:
	v_lshl_add_u32 v6, v35, 2, -4
	ds_read_b32 v6, v6
.LBB139_105:
	s_or_b64 exec, exec, s[0:1]
	v_add_u32_e32 v35, -1, v11
	v_and_b32_e32 v36, 64, v11
	v_cmp_lt_i32_e32 vcc, v35, v36
	v_cndmask_b32_e32 v35, v35, v11, vcc
	s_waitcnt lgkmcnt(0)
	v_add_u32_e32 v34, v6, v34
	v_lshlrev_b32_e32 v35, 2, v35
	ds_bpermute_b32 v34, v35, v34
	v_cmp_eq_u32_e32 vcc, 0, v11
	s_movk_i32 s2, 0xff
	s_movk_i32 s3, 0x100
	v_cmp_lt_u32_e64 s[0:1], s2, v8
	s_waitcnt lgkmcnt(0)
	v_cndmask_b32_e32 v6, v34, v6, vcc
	v_cmp_ne_u32_e32 vcc, 0, v8
	v_cndmask_b32_e32 v6, 0, v6, vcc
	v_add_u32_e32 v2, v6, v2
	v_add_u32_e32 v3, v2, v3
	v_add_u32_e32 v0, v3, v0
	v_add_u32_e32 v1, v0, v1
	ds_write2_b32 v5, v6, v2 offset0:8 offset1:9
	ds_write2_b32 v32, v3, v0 offset0:2 offset1:3
	ds_write_b32 v32, v1 offset:16
	s_waitcnt lgkmcnt(0)
	s_barrier
	ds_read_b32 v2, v7 offset:32
	ds_read_b32 v3, v14 offset:32
	;; [unrolled: 1-line block ×6, first 2 shown]
	v_cmp_gt_u32_e32 vcc, s3, v8
	v_pk_mov_b32 v[0:1], 0, 0
                                        ; implicit-def: $vgpr14
	s_and_saveexec_b64 s[4:5], vcc
	s_cbranch_execz .LBB139_109
; %bb.106:
	v_mul_u32_u24_e32 v0, 9, v8
	v_lshlrev_b32_e32 v14, 2, v0
	ds_read_b32 v0, v14 offset:32
	v_cmp_ne_u32_e64 s[2:3], s2, v8
	v_mov_b32_e32 v1, 0xc00
	s_and_saveexec_b64 s[10:11], s[2:3]
	s_cbranch_execz .LBB139_108
; %bb.107:
	ds_read_b32 v1, v14 offset:68
.LBB139_108:
	s_or_b64 exec, exec, s[10:11]
	s_waitcnt lgkmcnt(0)
	v_sub_u32_e32 v14, v1, v0
	v_mov_b32_e32 v1, 0
.LBB139_109:
	s_or_b64 exec, exec, s[4:5]
	s_waitcnt lgkmcnt(5)
	v_add_u32_e32 v24, v2, v9
	s_waitcnt lgkmcnt(4)
	v_add3_u32 v20, v15, v13, v3
	v_lshlrev_b32_e32 v2, 2, v24
	s_waitcnt lgkmcnt(3)
	v_add3_u32 v19, v21, v17, v5
	s_waitcnt lgkmcnt(0)
	s_barrier
	ds_write_b32 v2, v4 offset:2048
	v_lshlrev_b32_e32 v2, 2, v20
	v_add3_u32 v17, v26, v23, v6
	ds_write_b32 v2, v12 offset:2048
	v_lshlrev_b32_e32 v2, 2, v19
	v_add3_u32 v15, v29, v28, v7
	;; [unrolled: 3-line block ×3, first 2 shown]
	ds_write_b32 v2, v22 offset:2048
	v_lshlrev_b32_e32 v2, 2, v15
	ds_write_b32 v2, v27 offset:2048
	v_lshlrev_b32_e32 v2, 2, v13
	ds_write_b32 v2, v30 offset:2048
	s_waitcnt lgkmcnt(0)
	s_barrier
	s_and_saveexec_b64 s[2:3], s[0:1]
	s_xor_b64 s[0:1], exec, s[2:3]
; %bb.110:
	v_mov_b32_e32 v9, 0
; %bb.111:
	s_andn2_saveexec_b64 s[2:3], s[0:1]
	s_cbranch_execz .LBB139_121
; %bb.112:
	v_lshl_or_b32 v2, s6, 8, v8
	v_mov_b32_e32 v3, 0
	v_lshlrev_b64 v[4:5], 2, v[2:3]
	v_mov_b32_e32 v9, s35
	v_add_co_u32_e64 v4, s[0:1], s34, v4
	v_addc_co_u32_e64 v5, s[0:1], v9, v5, s[0:1]
	v_or_b32_e32 v2, 2.0, v14
	s_mov_b64 s[4:5], 0
	s_brev_b32 s15, 1
	s_mov_b32 s16, s6
	v_mov_b32_e32 v12, 0
	global_store_dword v[4:5], v2, off
                                        ; implicit-def: $sgpr0_sgpr1
	s_branch .LBB139_115
.LBB139_113:                            ;   in Loop: Header=BB139_115 Depth=1
	s_or_b64 exec, exec, s[12:13]
.LBB139_114:                            ;   in Loop: Header=BB139_115 Depth=1
	s_or_b64 exec, exec, s[10:11]
	v_and_b32_e32 v6, 0x3fffffff, v16
	v_add_u32_e32 v12, v6, v12
	v_cmp_eq_u32_e64 s[0:1], s15, v2
	s_and_b64 s[10:11], exec, s[0:1]
	s_or_b64 s[4:5], s[10:11], s[4:5]
	s_andn2_b64 exec, exec, s[4:5]
	s_cbranch_execz .LBB139_120
.LBB139_115:                            ; =>This Loop Header: Depth=1
                                        ;     Child Loop BB139_118 Depth 2
	s_or_b64 s[0:1], s[0:1], exec
	s_cmp_eq_u32 s16, 0
	s_cbranch_scc1 .LBB139_119
; %bb.116:                              ;   in Loop: Header=BB139_115 Depth=1
	s_add_i32 s16, s16, -1
	v_lshl_or_b32 v2, s16, 8, v8
	v_lshlrev_b64 v[6:7], 2, v[2:3]
	v_add_co_u32_e64 v6, s[0:1], s34, v6
	v_addc_co_u32_e64 v7, s[0:1], v9, v7, s[0:1]
	global_load_dword v16, v[6:7], off glc
	s_waitcnt vmcnt(0)
	v_and_b32_e32 v2, -2.0, v16
	v_cmp_eq_u32_e64 s[0:1], 0, v2
	s_and_saveexec_b64 s[10:11], s[0:1]
	s_cbranch_execz .LBB139_114
; %bb.117:                              ;   in Loop: Header=BB139_115 Depth=1
	s_mov_b64 s[12:13], 0
.LBB139_118:                            ;   Parent Loop BB139_115 Depth=1
                                        ; =>  This Inner Loop Header: Depth=2
	global_load_dword v16, v[6:7], off glc
	s_waitcnt vmcnt(0)
	v_and_b32_e32 v2, -2.0, v16
	v_cmp_ne_u32_e64 s[0:1], 0, v2
	s_or_b64 s[12:13], s[0:1], s[12:13]
	s_andn2_b64 exec, exec, s[12:13]
	s_cbranch_execnz .LBB139_118
	s_branch .LBB139_113
.LBB139_119:                            ;   in Loop: Header=BB139_115 Depth=1
                                        ; implicit-def: $sgpr16
	s_and_b64 s[10:11], exec, s[0:1]
	s_or_b64 s[4:5], s[10:11], s[4:5]
	s_andn2_b64 exec, exec, s[4:5]
	s_cbranch_execnz .LBB139_115
.LBB139_120:
	s_or_b64 exec, exec, s[4:5]
	v_add_u32_e32 v2, v12, v14
	v_or_b32_e32 v2, 0x80000000, v2
	global_store_dword v[4:5], v2, off
	v_lshlrev_b32_e32 v4, 3, v8
	global_load_dwordx2 v[2:3], v4, s[44:45]
	v_sub_co_u32_e64 v5, s[0:1], v12, v0
	v_subb_co_u32_e64 v6, s[0:1], 0, v1, s[0:1]
	v_mov_b32_e32 v9, 0
	s_waitcnt vmcnt(0)
	v_add_co_u32_e64 v2, s[0:1], v5, v2
	v_addc_co_u32_e64 v3, s[0:1], v6, v3, s[0:1]
	ds_write_b64 v4, v[2:3]
.LBB139_121:
	s_or_b64 exec, exec, s[2:3]
	s_waitcnt lgkmcnt(0)
	s_barrier
	ds_read2st64_b32 v[2:3], v18 offset0:16 offset1:24
	ds_read2st64_b32 v[4:5], v18 offset0:32 offset1:40
	s_brev_b32 s2, -2
	v_bfrev_b32_e32 v12, 1
	v_lshlrev_b32_e32 v6, 2, v8
	s_waitcnt lgkmcnt(1)
	v_cmp_ne_u32_e64 s[0:1], s2, v2
	v_cndmask_b32_e64 v7, v12, v2, s[0:1]
	ds_read_b32 v21, v18 offset:12288
	ds_read_b32 v28, v6 offset:2048
	v_lshrrev_b32_e32 v7, s48, v7
	v_and_b32_e32 v7, s14, v7
	s_waitcnt lgkmcnt(2)
	v_cmp_ne_u32_e64 s[0:1], s2, v4
	v_lshlrev_b32_e32 v16, 3, v7
	v_cndmask_b32_e64 v7, v12, v4, s[0:1]
	v_lshrrev_b32_e32 v7, s48, v7
	v_and_b32_e32 v7, s14, v7
	s_waitcnt lgkmcnt(1)
	v_cmp_ne_u32_e64 s[0:1], s2, v21
	v_lshlrev_b32_e32 v25, 3, v7
	v_cndmask_b32_e64 v7, v12, v21, s[0:1]
	s_waitcnt lgkmcnt(0)
	v_cmp_ne_u32_e64 s[0:1], s2, v28
	v_cndmask_b32_e64 v29, v12, v28, s[0:1]
	v_cmp_lt_i32_e64 s[0:1], -1, v28
	v_cndmask_b32_e64 v30, v12, -1, s[0:1]
	v_cmp_ne_u32_e64 s[0:1], s2, v3
	v_xor_b32_e32 v36, v30, v28
	v_cndmask_b32_e64 v28, v12, v3, s[0:1]
	v_lshrrev_b32_e32 v29, s48, v29
	v_lshrrev_b32_e32 v28, s48, v28
	;; [unrolled: 1-line block ×3, first 2 shown]
	v_and_b32_e32 v29, s14, v29
	v_and_b32_e32 v28, s14, v28
	v_cmp_ne_u32_e64 s[0:1], s2, v5
	v_and_b32_e32 v7, s14, v7
	v_lshlrev_b32_e32 v43, 3, v29
	v_lshlrev_b32_e32 v44, 3, v28
	v_cndmask_b32_e64 v28, v12, v5, s[0:1]
	v_lshlrev_b32_e32 v42, 3, v7
	ds_read_b64 v[6:7], v16
	ds_read_b64 v[22:23], v25
	;; [unrolled: 1-line block ×3, first 2 shown]
	v_lshrrev_b32_e32 v30, s48, v28
	ds_read_b64 v[28:29], v43
	v_mov_b32_e32 v34, s39
	v_and_b32_e32 v30, s14, v30
	v_lshlrev_b32_e32 v45, 3, v30
	ds_read_b64 v[30:31], v44
	ds_read_b64 v[32:33], v45
	s_waitcnt lgkmcnt(2)
	v_lshlrev_b64 v[28:29], 2, v[28:29]
	v_add_co_u32_e64 v35, s[0:1], s38, v28
	v_addc_co_u32_e64 v37, s[0:1], v34, v29, s[0:1]
	v_lshlrev_b64 v[28:29], 2, v[8:9]
	v_add_co_u32_e64 v34, s[0:1], v35, v28
	v_addc_co_u32_e64 v35, s[0:1], v37, v29, s[0:1]
	v_cmp_lt_i32_e64 s[0:1], -1, v2
	global_store_dword v[34:35], v36, off
	v_cndmask_b32_e64 v34, v12, -1, s[0:1]
	v_lshlrev_b64 v[6:7], 2, v[6:7]
	v_xor_b32_e32 v2, v34, v2
	v_mov_b32_e32 v34, s39
	v_add_co_u32_e64 v40, s[0:1], s38, v6
	v_addc_co_u32_e64 v41, s[0:1], v34, v7, s[0:1]
	s_lshl_b64 s[0:1], s[30:31], 3
	s_add_u32 s0, s40, s0
	s_addc_u32 s1, s41, s1
	v_lshlrev_b32_e32 v6, 3, v11
	v_mov_b32_e32 v7, s1
	v_add_co_u32_e64 v6, s[0:1], s0, v6
	v_addc_co_u32_e64 v7, s[0:1], 0, v7, s[0:1]
	v_lshlrev_b32_e32 v10, 3, v10
	v_add_co_u32_e64 v6, s[0:1], v6, v10
	v_addc_co_u32_e64 v7, s[0:1], 0, v7, s[0:1]
	global_load_dwordx2 v[10:11], v[6:7], off
	global_load_dwordx2 v[34:35], v[6:7], off offset:512
	global_load_dwordx2 v[36:37], v[6:7], off offset:1024
	;; [unrolled: 1-line block ×3, first 2 shown]
	v_add_co_u32_e64 v28, s[0:1], v40, v28
	v_addc_co_u32_e64 v29, s[0:1], v41, v29, s[0:1]
	global_load_dwordx2 v[40:41], v[6:7], off offset:2048
	v_cmp_lt_i32_e64 s[0:1], -1, v3
	global_load_dwordx2 v[6:7], v[6:7], off offset:2560
	s_movk_i32 s2, 0x800
	global_store_dword v[28:29], v2, off offset:2048
	v_cndmask_b32_e64 v2, v12, -1, s[0:1]
	v_xor_b32_e32 v29, v2, v3
	s_waitcnt lgkmcnt(1)
	v_lshlrev_b64 v[2:3], 2, v[30:31]
	v_or_b32_e32 v28, 0x400, v8
	v_mov_b32_e32 v30, s39
	v_add_co_u32_e64 v2, s[0:1], s38, v2
	v_addc_co_u32_e64 v3, s[0:1], v30, v3, s[0:1]
	v_lshlrev_b32_e32 v30, 2, v28
	v_add_co_u32_e64 v2, s[0:1], v2, v30
	v_addc_co_u32_e64 v3, s[0:1], 0, v3, s[0:1]
	v_cmp_lt_i32_e64 s[0:1], -1, v4
	global_store_dword v[2:3], v29, off
	v_cndmask_b32_e64 v2, v12, -1, s[0:1]
	v_xor_b32_e32 v4, v2, v4
	v_lshlrev_b64 v[2:3], 2, v[22:23]
	v_add_u32_e32 v29, 0x600, v8
	v_mov_b32_e32 v22, s39
	v_add_co_u32_e64 v2, s[0:1], s38, v2
	v_addc_co_u32_e64 v3, s[0:1], v22, v3, s[0:1]
	v_lshlrev_b32_e32 v22, 2, v29
	v_add_co_u32_e64 v2, s[0:1], v2, v22
	v_addc_co_u32_e64 v3, s[0:1], 0, v3, s[0:1]
	v_cmp_lt_i32_e64 s[0:1], -1, v5
	global_store_dword v[2:3], v4, off
	v_cndmask_b32_e64 v2, v12, -1, s[0:1]
	v_xor_b32_e32 v4, v2, v5
	s_waitcnt lgkmcnt(0)
	v_lshlrev_b64 v[2:3], 2, v[32:33]
	v_or_b32_e32 v22, 0x800, v8
	v_mov_b32_e32 v5, s39
	v_add_co_u32_e64 v2, s[0:1], s38, v2
	v_addc_co_u32_e64 v3, s[0:1], v5, v3, s[0:1]
	v_lshlrev_b32_e32 v5, 2, v22
	v_add_co_u32_e64 v2, s[0:1], v2, v5
	v_addc_co_u32_e64 v3, s[0:1], 0, v3, s[0:1]
	v_cmp_lt_i32_e64 s[0:1], -1, v21
	global_store_dword v[2:3], v4, off
	v_cndmask_b32_e64 v2, v12, -1, s[0:1]
	v_xor_b32_e32 v4, v2, v21
	v_lshlrev_b64 v[2:3], 2, v[26:27]
	v_add_u32_e32 v23, 0xa00, v8
	v_mov_b32_e32 v5, s39
	v_add_co_u32_e64 v2, s[0:1], s38, v2
	v_addc_co_u32_e64 v3, s[0:1], v5, v3, s[0:1]
	v_lshlrev_b32_e32 v5, 2, v23
	v_add_co_u32_e64 v2, s[0:1], v2, v5
	v_addc_co_u32_e64 v3, s[0:1], 0, v3, s[0:1]
	global_store_dword v[2:3], v4, off
	v_lshlrev_b32_e32 v2, 3, v24
	s_barrier
	s_waitcnt vmcnt(10)
	ds_write_b64 v2, v[10:11] offset:2048
	v_lshlrev_b32_e32 v2, 3, v20
	s_waitcnt vmcnt(9)
	ds_write_b64 v2, v[34:35] offset:2048
	v_lshlrev_b32_e32 v2, 3, v19
	;; [unrolled: 3-line block ×5, first 2 shown]
	s_waitcnt vmcnt(5)
	ds_write_b64 v2, v[6:7] offset:2048
	s_waitcnt lgkmcnt(0)
	s_barrier
	ds_read_b64 v[2:3], v43
	v_mov_b32_e32 v5, s43
	v_lshlrev_b32_e32 v4, 3, v8
	ds_read_b64 v[6:7], v16
	ds_read_b64 v[10:11], v44
	;; [unrolled: 1-line block ×3, first 2 shown]
	v_mov_b32_e32 v24, s43
	s_waitcnt lgkmcnt(3)
	v_lshlrev_b64 v[2:3], 3, v[2:3]
	v_add_co_u32_e64 v15, s[0:1], s42, v2
	v_addc_co_u32_e64 v5, s[0:1], v5, v3, s[0:1]
	v_lshlrev_b64 v[2:3], 3, v[8:9]
	v_add_co_u32_e64 v2, s[0:1], v15, v2
	v_addc_co_u32_e64 v3, s[0:1], v5, v3, s[0:1]
	ds_read_b64 v[4:5], v4 offset:2048
	v_add3_u32 v15, v18, s2, v18
	s_waitcnt lgkmcnt(3)
	v_lshlrev_b64 v[6:7], 3, v[6:7]
	ds_read_b64 v[16:17], v45
	ds_read_b64 v[18:19], v15 offset:20480
	ds_read_b64 v[20:21], v42
	v_add_co_u32_e64 v6, s[0:1], s42, v6
	s_waitcnt lgkmcnt(3)
	global_store_dwordx2 v[2:3], v[4:5], off
	ds_read2st64_b64 v[2:5], v15 offset0:8 offset1:16
	v_addc_co_u32_e64 v7, s[0:1], v24, v7, s[0:1]
	v_mov_b32_e32 v24, 0x1000
	v_lshl_add_u32 v24, v8, 3, v24
	v_add_co_u32_e64 v6, s[0:1], v6, v24
	v_addc_co_u32_e64 v7, s[0:1], 0, v7, s[0:1]
	s_waitcnt lgkmcnt(0)
	global_store_dwordx2 v[6:7], v[2:3], off
	v_lshlrev_b64 v[2:3], 3, v[10:11]
	v_mov_b32_e32 v6, s43
	v_add_co_u32_e64 v2, s[0:1], s42, v2
	v_addc_co_u32_e64 v3, s[0:1], v6, v3, s[0:1]
	v_lshlrev_b32_e32 v6, 3, v28
	v_add_co_u32_e64 v2, s[0:1], v2, v6
	v_addc_co_u32_e64 v3, s[0:1], 0, v3, s[0:1]
	global_store_dwordx2 v[2:3], v[4:5], off
	ds_read2st64_b64 v[2:5], v15 offset0:24 offset1:32
	v_lshlrev_b64 v[6:7], 3, v[12:13]
	v_mov_b32_e32 v10, s43
	v_add_co_u32_e64 v6, s[0:1], s42, v6
	v_addc_co_u32_e64 v7, s[0:1], v10, v7, s[0:1]
	v_lshlrev_b32_e32 v10, 3, v29
	v_add_co_u32_e64 v6, s[0:1], v6, v10
	v_addc_co_u32_e64 v7, s[0:1], 0, v7, s[0:1]
	s_waitcnt lgkmcnt(0)
	global_store_dwordx2 v[6:7], v[2:3], off
	v_lshlrev_b64 v[2:3], 3, v[16:17]
	v_mov_b32_e32 v6, s43
	v_add_co_u32_e64 v2, s[0:1], s42, v2
	v_addc_co_u32_e64 v3, s[0:1], v6, v3, s[0:1]
	v_lshlrev_b32_e32 v6, 3, v22
	v_add_co_u32_e64 v2, s[0:1], v2, v6
	v_addc_co_u32_e64 v3, s[0:1], 0, v3, s[0:1]
	global_store_dwordx2 v[2:3], v[4:5], off
	v_lshlrev_b64 v[2:3], 3, v[20:21]
	v_mov_b32_e32 v4, s43
	v_add_co_u32_e64 v2, s[0:1], s42, v2
	v_addc_co_u32_e64 v3, s[0:1], v4, v3, s[0:1]
	v_lshlrev_b32_e32 v4, 3, v23
	v_add_co_u32_e64 v2, s[0:1], v2, v4
	s_add_i32 s7, s7, -1
	v_addc_co_u32_e64 v3, s[0:1], 0, v3, s[0:1]
	s_cmp_eq_u32 s6, s7
	s_cselect_b64 s[0:1], -1, 0
	s_and_b64 s[2:3], vcc, s[0:1]
	global_store_dwordx2 v[2:3], v[18:19], off
                                        ; implicit-def: $vgpr4_vgpr5
	s_and_saveexec_b64 s[0:1], s[2:3]
; %bb.122:
	v_add_co_u32_e32 v4, vcc, v0, v14
	v_addc_co_u32_e32 v5, vcc, 0, v1, vcc
	s_or_b64 s[8:9], s[8:9], exec
; %bb.123:
	s_or_b64 exec, exec, s[0:1]
.LBB139_124:
	s_and_saveexec_b64 s[0:1], s[8:9]
	s_cbranch_execnz .LBB139_126
; %bb.125:
	s_endpgm
.LBB139_126:
	v_lshlrev_b32_e32 v2, 3, v8
	ds_read_b64 v[2:3], v2
	v_lshlrev_b64 v[0:1], 3, v[8:9]
	v_mov_b32_e32 v6, s47
	v_add_co_u32_e32 v0, vcc, s46, v0
	v_addc_co_u32_e32 v1, vcc, v6, v1, vcc
	s_waitcnt lgkmcnt(0)
	v_add_co_u32_e32 v2, vcc, v2, v4
	v_addc_co_u32_e32 v3, vcc, v3, v5, vcc
	global_store_dwordx2 v[0:1], v[2:3], off
	s_endpgm
.LBB139_127:
	global_load_dwordx2 v[4:5], v[18:19], off
	s_or_b64 exec, exec, s[28:29]
                                        ; implicit-def: $vgpr6_vgpr7
	s_and_saveexec_b64 s[28:29], s[0:1]
	s_cbranch_execz .LBB139_59
.LBB139_128:
	global_load_dwordx2 v[6:7], v[18:19], off offset:512
	s_or_b64 exec, exec, s[28:29]
                                        ; implicit-def: $vgpr10_vgpr11
	s_and_saveexec_b64 s[0:1], s[2:3]
	s_cbranch_execz .LBB139_60
.LBB139_129:
	global_load_dwordx2 v[10:11], v[18:19], off offset:1024
	s_or_b64 exec, exec, s[0:1]
                                        ; implicit-def: $vgpr12_vgpr13
	s_and_saveexec_b64 s[0:1], s[26:27]
	s_cbranch_execz .LBB139_61
.LBB139_130:
	global_load_dwordx2 v[12:13], v[18:19], off offset:1536
	s_or_b64 exec, exec, s[0:1]
                                        ; implicit-def: $vgpr14_vgpr15
	s_and_saveexec_b64 s[0:1], s[8:9]
	s_cbranch_execz .LBB139_62
.LBB139_131:
	global_load_dwordx2 v[14:15], v[18:19], off offset:2048
	s_or_b64 exec, exec, s[0:1]
                                        ; implicit-def: $vgpr16_vgpr17
	s_and_saveexec_b64 s[0:1], s[10:11]
	s_cbranch_execnz .LBB139_63
	s_branch .LBB139_64
.LBB139_132:
	v_lshlrev_b32_e32 v5, 3, v35
	ds_read_b64 v[6:7], v5
	ds_read_b64 v[10:11], v4 offset:2048
	v_mov_b32_e32 v5, s43
	s_waitcnt lgkmcnt(1)
	v_lshlrev_b64 v[6:7], 3, v[6:7]
	v_add_co_u32_e32 v6, vcc, s42, v6
	v_addc_co_u32_e32 v5, vcc, v5, v7, vcc
	v_add_co_u32_e32 v6, vcc, v6, v4
	v_addc_co_u32_e32 v7, vcc, 0, v5, vcc
	s_waitcnt lgkmcnt(0)
	global_store_dwordx2 v[6:7], v[10:11], off
	s_or_b64 exec, exec, s[0:1]
	s_and_saveexec_b64 s[0:1], s[16:17]
	s_cbranch_execz .LBB139_78
.LBB139_133:
	v_lshlrev_b32_e32 v5, 3, v19
	ds_read_b64 v[6:7], v5
	ds_read_b64 v[10:11], v4 offset:6144
	v_mov_b32_e32 v5, s43
	s_waitcnt lgkmcnt(1)
	v_lshlrev_b64 v[6:7], 3, v[6:7]
	v_add_co_u32_e32 v6, vcc, s42, v6
	v_addc_co_u32_e32 v5, vcc, v5, v7, vcc
	v_lshlrev_b32_e32 v7, 3, v23
	v_add_co_u32_e32 v6, vcc, v6, v7
	v_addc_co_u32_e32 v7, vcc, 0, v5, vcc
	s_waitcnt lgkmcnt(0)
	global_store_dwordx2 v[6:7], v[10:11], off
	s_or_b64 exec, exec, s[0:1]
	s_and_saveexec_b64 s[0:1], s[18:19]
	s_cbranch_execz .LBB139_79
.LBB139_134:
	v_lshlrev_b32_e32 v5, 3, v34
	ds_read_b64 v[6:7], v5
	ds_read_b64 v[10:11], v4 offset:10240
	v_mov_b32_e32 v5, s43
	s_waitcnt lgkmcnt(1)
	v_lshlrev_b64 v[6:7], 3, v[6:7]
	v_add_co_u32_e32 v6, vcc, s42, v6
	v_addc_co_u32_e32 v5, vcc, v5, v7, vcc
	v_lshlrev_b32_e32 v7, 3, v29
	v_add_co_u32_e32 v6, vcc, v6, v7
	v_addc_co_u32_e32 v7, vcc, 0, v5, vcc
	s_waitcnt lgkmcnt(0)
	global_store_dwordx2 v[6:7], v[10:11], off
	s_or_b64 exec, exec, s[0:1]
	s_and_saveexec_b64 s[0:1], s[20:21]
	s_cbranch_execz .LBB139_80
.LBB139_135:
	v_lshlrev_b32_e32 v5, 3, v18
	ds_read_b64 v[6:7], v5
	ds_read_b64 v[10:11], v4 offset:14336
	v_mov_b32_e32 v5, s43
	s_waitcnt lgkmcnt(1)
	v_lshlrev_b64 v[6:7], 3, v[6:7]
	v_add_co_u32_e32 v6, vcc, s42, v6
	v_addc_co_u32_e32 v5, vcc, v5, v7, vcc
	v_lshlrev_b32_e32 v7, 3, v30
	v_add_co_u32_e32 v6, vcc, v6, v7
	v_addc_co_u32_e32 v7, vcc, 0, v5, vcc
	s_waitcnt lgkmcnt(0)
	global_store_dwordx2 v[6:7], v[10:11], off
	s_or_b64 exec, exec, s[0:1]
	s_and_saveexec_b64 s[0:1], s[22:23]
	s_cbranch_execz .LBB139_81
.LBB139_136:
	v_lshlrev_b32_e32 v5, 3, v33
	ds_read_b64 v[6:7], v5
	ds_read_b64 v[10:11], v4 offset:18432
	v_mov_b32_e32 v5, s43
	s_waitcnt lgkmcnt(1)
	v_lshlrev_b64 v[6:7], 3, v[6:7]
	v_add_co_u32_e32 v6, vcc, s42, v6
	v_addc_co_u32_e32 v5, vcc, v5, v7, vcc
	v_lshlrev_b32_e32 v7, 3, v31
	v_add_co_u32_e32 v6, vcc, v6, v7
	v_addc_co_u32_e32 v7, vcc, 0, v5, vcc
	s_waitcnt lgkmcnt(0)
	global_store_dwordx2 v[6:7], v[10:11], off
	s_or_b64 exec, exec, s[0:1]
	s_and_saveexec_b64 s[0:1], s[24:25]
	s_cbranch_execnz .LBB139_82
	s_branch .LBB139_83
	.section	.rodata,"a",@progbits
	.p2align	6, 0x0
	.amdhsa_kernel _ZN7rocprim17ROCPRIM_304000_NS6detail25onesweep_iteration_kernelINS1_34wrapped_radix_sort_onesweep_configINS0_14default_configEfN2at4cuda3cub6detail10OpaqueTypeILi8EEEEELb0EPfSC_PSA_SD_mNS0_19identity_decomposerEEEvT1_T2_T3_T4_jPT5_SK_PNS1_23onesweep_lookback_stateET6_jjj
		.amdhsa_group_segment_fixed_size 26624
		.amdhsa_private_segment_fixed_size 0
		.amdhsa_kernarg_size 336
		.amdhsa_user_sgpr_count 6
		.amdhsa_user_sgpr_private_segment_buffer 1
		.amdhsa_user_sgpr_dispatch_ptr 0
		.amdhsa_user_sgpr_queue_ptr 0
		.amdhsa_user_sgpr_kernarg_segment_ptr 1
		.amdhsa_user_sgpr_dispatch_id 0
		.amdhsa_user_sgpr_flat_scratch_init 0
		.amdhsa_user_sgpr_kernarg_preload_length 0
		.amdhsa_user_sgpr_kernarg_preload_offset 0
		.amdhsa_user_sgpr_private_segment_size 0
		.amdhsa_uses_dynamic_stack 0
		.amdhsa_system_sgpr_private_segment_wavefront_offset 0
		.amdhsa_system_sgpr_workgroup_id_x 1
		.amdhsa_system_sgpr_workgroup_id_y 0
		.amdhsa_system_sgpr_workgroup_id_z 0
		.amdhsa_system_sgpr_workgroup_info 0
		.amdhsa_system_vgpr_workitem_id 2
		.amdhsa_next_free_vgpr 46
		.amdhsa_next_free_sgpr 52
		.amdhsa_accum_offset 48
		.amdhsa_reserve_vcc 1
		.amdhsa_reserve_flat_scratch 0
		.amdhsa_float_round_mode_32 0
		.amdhsa_float_round_mode_16_64 0
		.amdhsa_float_denorm_mode_32 3
		.amdhsa_float_denorm_mode_16_64 3
		.amdhsa_dx10_clamp 1
		.amdhsa_ieee_mode 1
		.amdhsa_fp16_overflow 0
		.amdhsa_tg_split 0
		.amdhsa_exception_fp_ieee_invalid_op 0
		.amdhsa_exception_fp_denorm_src 0
		.amdhsa_exception_fp_ieee_div_zero 0
		.amdhsa_exception_fp_ieee_overflow 0
		.amdhsa_exception_fp_ieee_underflow 0
		.amdhsa_exception_fp_ieee_inexact 0
		.amdhsa_exception_int_div_zero 0
	.end_amdhsa_kernel
	.section	.text._ZN7rocprim17ROCPRIM_304000_NS6detail25onesweep_iteration_kernelINS1_34wrapped_radix_sort_onesweep_configINS0_14default_configEfN2at4cuda3cub6detail10OpaqueTypeILi8EEEEELb0EPfSC_PSA_SD_mNS0_19identity_decomposerEEEvT1_T2_T3_T4_jPT5_SK_PNS1_23onesweep_lookback_stateET6_jjj,"axG",@progbits,_ZN7rocprim17ROCPRIM_304000_NS6detail25onesweep_iteration_kernelINS1_34wrapped_radix_sort_onesweep_configINS0_14default_configEfN2at4cuda3cub6detail10OpaqueTypeILi8EEEEELb0EPfSC_PSA_SD_mNS0_19identity_decomposerEEEvT1_T2_T3_T4_jPT5_SK_PNS1_23onesweep_lookback_stateET6_jjj,comdat
.Lfunc_end139:
	.size	_ZN7rocprim17ROCPRIM_304000_NS6detail25onesweep_iteration_kernelINS1_34wrapped_radix_sort_onesweep_configINS0_14default_configEfN2at4cuda3cub6detail10OpaqueTypeILi8EEEEELb0EPfSC_PSA_SD_mNS0_19identity_decomposerEEEvT1_T2_T3_T4_jPT5_SK_PNS1_23onesweep_lookback_stateET6_jjj, .Lfunc_end139-_ZN7rocprim17ROCPRIM_304000_NS6detail25onesweep_iteration_kernelINS1_34wrapped_radix_sort_onesweep_configINS0_14default_configEfN2at4cuda3cub6detail10OpaqueTypeILi8EEEEELb0EPfSC_PSA_SD_mNS0_19identity_decomposerEEEvT1_T2_T3_T4_jPT5_SK_PNS1_23onesweep_lookback_stateET6_jjj
                                        ; -- End function
	.section	.AMDGPU.csdata,"",@progbits
; Kernel info:
; codeLenInByte = 12144
; NumSgprs: 56
; NumVgprs: 46
; NumAgprs: 0
; TotalNumVgprs: 46
; ScratchSize: 0
; MemoryBound: 0
; FloatMode: 240
; IeeeMode: 1
; LDSByteSize: 26624 bytes/workgroup (compile time only)
; SGPRBlocks: 6
; VGPRBlocks: 5
; NumSGPRsForWavesPerEU: 56
; NumVGPRsForWavesPerEU: 46
; AccumOffset: 48
; Occupancy: 4
; WaveLimiterHint : 1
; COMPUTE_PGM_RSRC2:SCRATCH_EN: 0
; COMPUTE_PGM_RSRC2:USER_SGPR: 6
; COMPUTE_PGM_RSRC2:TRAP_HANDLER: 0
; COMPUTE_PGM_RSRC2:TGID_X_EN: 1
; COMPUTE_PGM_RSRC2:TGID_Y_EN: 0
; COMPUTE_PGM_RSRC2:TGID_Z_EN: 0
; COMPUTE_PGM_RSRC2:TIDIG_COMP_CNT: 2
; COMPUTE_PGM_RSRC3_GFX90A:ACCUM_OFFSET: 11
; COMPUTE_PGM_RSRC3_GFX90A:TG_SPLIT: 0
	.section	.text._ZN7rocprim17ROCPRIM_304000_NS6detail28radix_sort_block_sort_kernelINS1_36wrapped_radix_sort_block_sort_configINS0_13kernel_configILj256ELj4ELj4294967295EEEdN2at4cuda3cub6detail10OpaqueTypeILi8EEEEELb1EPKdPdPKSB_PSB_NS0_19identity_decomposerEEEvT1_T2_T3_T4_jT5_jj,"axG",@progbits,_ZN7rocprim17ROCPRIM_304000_NS6detail28radix_sort_block_sort_kernelINS1_36wrapped_radix_sort_block_sort_configINS0_13kernel_configILj256ELj4ELj4294967295EEEdN2at4cuda3cub6detail10OpaqueTypeILi8EEEEELb1EPKdPdPKSB_PSB_NS0_19identity_decomposerEEEvT1_T2_T3_T4_jT5_jj,comdat
	.protected	_ZN7rocprim17ROCPRIM_304000_NS6detail28radix_sort_block_sort_kernelINS1_36wrapped_radix_sort_block_sort_configINS0_13kernel_configILj256ELj4ELj4294967295EEEdN2at4cuda3cub6detail10OpaqueTypeILi8EEEEELb1EPKdPdPKSB_PSB_NS0_19identity_decomposerEEEvT1_T2_T3_T4_jT5_jj ; -- Begin function _ZN7rocprim17ROCPRIM_304000_NS6detail28radix_sort_block_sort_kernelINS1_36wrapped_radix_sort_block_sort_configINS0_13kernel_configILj256ELj4ELj4294967295EEEdN2at4cuda3cub6detail10OpaqueTypeILi8EEEEELb1EPKdPdPKSB_PSB_NS0_19identity_decomposerEEEvT1_T2_T3_T4_jT5_jj
	.globl	_ZN7rocprim17ROCPRIM_304000_NS6detail28radix_sort_block_sort_kernelINS1_36wrapped_radix_sort_block_sort_configINS0_13kernel_configILj256ELj4ELj4294967295EEEdN2at4cuda3cub6detail10OpaqueTypeILi8EEEEELb1EPKdPdPKSB_PSB_NS0_19identity_decomposerEEEvT1_T2_T3_T4_jT5_jj
	.p2align	8
	.type	_ZN7rocprim17ROCPRIM_304000_NS6detail28radix_sort_block_sort_kernelINS1_36wrapped_radix_sort_block_sort_configINS0_13kernel_configILj256ELj4ELj4294967295EEEdN2at4cuda3cub6detail10OpaqueTypeILi8EEEEELb1EPKdPdPKSB_PSB_NS0_19identity_decomposerEEEvT1_T2_T3_T4_jT5_jj,@function
_ZN7rocprim17ROCPRIM_304000_NS6detail28radix_sort_block_sort_kernelINS1_36wrapped_radix_sort_block_sort_configINS0_13kernel_configILj256ELj4ELj4294967295EEEdN2at4cuda3cub6detail10OpaqueTypeILi8EEEEELb1EPKdPdPKSB_PSB_NS0_19identity_decomposerEEEvT1_T2_T3_T4_jT5_jj: ; @_ZN7rocprim17ROCPRIM_304000_NS6detail28radix_sort_block_sort_kernelINS1_36wrapped_radix_sort_block_sort_configINS0_13kernel_configILj256ELj4ELj4294967295EEEdN2at4cuda3cub6detail10OpaqueTypeILi8EEEEELb1EPKdPdPKSB_PSB_NS0_19identity_decomposerEEEvT1_T2_T3_T4_jT5_jj
; %bb.0:
	s_load_dword s7, s[4:5], 0x20
	s_load_dwordx8 s[36:43], s[4:5], 0x0
	s_lshl_b32 s0, s6, 10
	s_mov_b32 s1, 0
	v_mbcnt_lo_u32_b32 v1, -1, 0
	s_waitcnt lgkmcnt(0)
	s_lshr_b32 s2, s7, 10
	s_cmp_lg_u32 s6, s2
	s_cselect_b64 s[30:31], -1, 0
	s_lshl_b64 s[28:29], s[0:1], 3
	v_and_b32_e32 v10, 0x3ff, v0
	s_add_u32 s1, s36, s28
	v_mbcnt_hi_u32_b32 v1, -1, v1
	s_addc_u32 s3, s37, s29
	v_lshlrev_b32_e32 v14, 2, v10
	v_lshlrev_b32_e32 v18, 3, v1
	v_and_b32_e32 v15, 0x300, v14
	v_mov_b32_e32 v2, s3
	v_add_co_u32_e32 v3, vcc, s1, v18
	v_addc_co_u32_e32 v2, vcc, 0, v2, vcc
	v_lshlrev_b32_e32 v19, 3, v15
	v_add_co_u32_e32 v12, vcc, v3, v19
	s_cmp_eq_u32 s6, s2
	v_addc_co_u32_e32 v13, vcc, 0, v2, vcc
	v_add_u32_e32 v11, v1, v15
	s_cbranch_scc1 .LBB140_2
; %bb.1:
	s_add_u32 s1, s40, s28
	s_addc_u32 s2, s41, s29
	v_mov_b32_e32 v16, s2
	v_add_co_u32_e32 v17, vcc, s1, v18
	v_addc_co_u32_e32 v20, vcc, 0, v16, vcc
	v_add_co_u32_e32 v16, vcc, v17, v19
	v_addc_co_u32_e32 v17, vcc, 0, v20, vcc
	global_load_dwordx2 v[2:3], v[12:13], off
	global_load_dwordx2 v[4:5], v[12:13], off offset:512
	global_load_dwordx2 v[6:7], v[12:13], off offset:1024
	;; [unrolled: 1-line block ×3, first 2 shown]
	global_load_dwordx2 v[28:29], v[16:17], off
	global_load_dwordx2 v[30:31], v[16:17], off offset:512
	global_load_dwordx2 v[32:33], v[16:17], off offset:1024
	global_load_dwordx2 v[34:35], v[16:17], off offset:1536
	v_add_u32_e32 v20, v1, v15
	v_add_u32_e32 v15, 64, v20
	;; [unrolled: 1-line block ×4, first 2 shown]
	s_sub_i32 s33, s7, s0
	s_cbranch_execz .LBB140_3
	s_branch .LBB140_17
.LBB140_2:
                                        ; implicit-def: $vgpr2_vgpr3_vgpr4_vgpr5_vgpr6_vgpr7_vgpr8_vgpr9
                                        ; implicit-def: $vgpr28_vgpr29
                                        ; implicit-def: $vgpr30_vgpr31
                                        ; implicit-def: $vgpr32_vgpr33
                                        ; implicit-def: $vgpr34_vgpr35
                                        ; implicit-def: $vgpr20
                                        ; implicit-def: $vgpr15
                                        ; implicit-def: $vgpr16
                                        ; implicit-def: $vgpr17
	s_sub_i32 s33, s7, s0
.LBB140_3:
	s_mov_b32 s8, -1
	s_mov_b32 s9, s8
	s_mov_b32 s10, s8
	;; [unrolled: 1-line block ×7, first 2 shown]
	s_waitcnt vmcnt(4)
	v_pk_mov_b32 v[2:3], s[8:9], s[8:9] op_sel:[0,1]
	v_cmp_gt_u32_e32 vcc, s33, v11
	v_pk_mov_b32 v[4:5], s[10:11], s[10:11] op_sel:[0,1]
	v_pk_mov_b32 v[6:7], s[12:13], s[12:13] op_sel:[0,1]
	v_pk_mov_b32 v[8:9], s[14:15], s[14:15] op_sel:[0,1]
	s_and_saveexec_b64 s[0:1], vcc
	s_cbranch_execz .LBB140_5
; %bb.4:
	global_load_dwordx2 v[2:3], v[12:13], off
	v_mov_b32_e32 v4, -1
	v_mov_b32_e32 v5, v4
	v_mov_b32_e32 v6, v4
	;; [unrolled: 1-line block ×5, first 2 shown]
.LBB140_5:
	s_or_b64 exec, exec, s[0:1]
	v_add_u32_e32 v15, 64, v11
	v_cmp_gt_u32_e64 s[0:1], s33, v15
	s_and_saveexec_b64 s[2:3], s[0:1]
	s_cbranch_execz .LBB140_7
; %bb.6:
	global_load_dwordx2 v[4:5], v[12:13], off offset:512
.LBB140_7:
	s_or_b64 exec, exec, s[2:3]
	v_add_u32_e32 v16, 0x80, v11
	v_cmp_gt_u32_e64 s[2:3], s33, v16
	s_and_saveexec_b64 s[6:7], s[2:3]
	s_cbranch_execz .LBB140_9
; %bb.8:
	global_load_dwordx2 v[6:7], v[12:13], off offset:1024
.LBB140_9:
	;; [unrolled: 8-line block ×3, first 2 shown]
	s_or_b64 exec, exec, s[8:9]
	s_add_u32 s8, s40, s28
	s_addc_u32 s9, s41, s29
	v_mov_b32_e32 v12, s9
	v_add_co_u32_e64 v13, s[8:9], s8, v18
	v_addc_co_u32_e64 v18, s[8:9], 0, v12, s[8:9]
	v_add_co_u32_e64 v12, s[8:9], v13, v19
	v_addc_co_u32_e64 v13, s[8:9], 0, v18, s[8:9]
                                        ; implicit-def: $vgpr28_vgpr29
	s_and_saveexec_b64 s[8:9], vcc
	s_cbranch_execnz .LBB140_54
; %bb.12:
	s_or_b64 exec, exec, s[8:9]
                                        ; implicit-def: $vgpr30_vgpr31
	s_and_saveexec_b64 s[8:9], s[0:1]
	s_cbranch_execnz .LBB140_55
.LBB140_13:
	s_or_b64 exec, exec, s[8:9]
                                        ; implicit-def: $vgpr32_vgpr33
	s_and_saveexec_b64 s[0:1], s[2:3]
	s_cbranch_execnz .LBB140_56
.LBB140_14:
	s_or_b64 exec, exec, s[0:1]
                                        ; implicit-def: $vgpr34_vgpr35
	s_and_saveexec_b64 s[0:1], s[6:7]
	s_cbranch_execz .LBB140_16
.LBB140_15:
	global_load_dwordx2 v[34:35], v[12:13], off offset:1536
.LBB140_16:
	s_or_b64 exec, exec, s[0:1]
	v_mov_b32_e32 v20, v11
.LBB140_17:
	s_waitcnt vmcnt(0)
	v_ashrrev_i32_e32 v13, 31, v3
	s_load_dwordx2 s[34:35], s[4:5], 0x28
	s_load_dword s0, s[4:5], 0x3c
	v_bfrev_b32_e32 v11, -2
	v_cmp_gt_i64_e32 vcc, 0, v[2:3]
	v_not_b32_e32 v13, v13
	v_cndmask_b32_e64 v12, v11, 0, vcc
	v_xor_b32_e32 v2, v13, v2
	v_cmp_gt_i64_e32 vcc, 0, v[4:5]
	v_ashrrev_i32_e32 v13, 31, v5
	v_xor_b32_e32 v3, v12, v3
	v_cndmask_b32_e64 v12, v11, 0, vcc
	v_not_b32_e32 v13, v13
	v_cmp_gt_i64_e32 vcc, 0, v[6:7]
	v_xor_b32_e32 v37, v12, v5
	v_xor_b32_e32 v36, v13, v4
	v_cndmask_b32_e64 v4, v11, 0, vcc
	v_ashrrev_i32_e32 v5, 31, v7
	v_cmp_gt_i64_e32 vcc, 0, v[8:9]
	v_not_b32_e32 v5, v5
	v_xor_b32_e32 v39, v4, v7
	v_cndmask_b32_e64 v4, v11, 0, vcc
	v_xor_b32_e32 v38, v5, v6
	v_ashrrev_i32_e32 v5, 31, v9
	v_xor_b32_e32 v41, v4, v9
	s_waitcnt lgkmcnt(0)
	s_lshr_b32 s1, s0, 16
	v_bfe_u32 v4, v0, 10, 10
	v_bfe_u32 v0, v0, 20, 10
	v_not_b32_e32 v5, v5
	s_and_b32 s0, s0, 0xffff
	v_mad_u32_u24 v0, v0, s1, v4
	v_xor_b32_e32 v40, v5, v8
	v_mad_u64_u32 v[4:5], s[0:1], v0, s0, v[10:11]
	v_and_b32_e32 v0, 15, v1
	v_cmp_eq_u32_e64 s[0:1], 0, v0
	v_cmp_lt_u32_e64 s[2:3], 1, v0
	v_cmp_lt_u32_e64 s[4:5], 3, v0
	;; [unrolled: 1-line block ×3, first 2 shown]
	v_and_b32_e32 v0, 16, v1
	v_cmp_eq_u32_e64 s[8:9], 0, v0
	v_and_b32_e32 v0, 0x3c0, v10
	v_min_u32_e32 v0, 0xc0, v0
	v_or_b32_e32 v0, 63, v0
	v_lshrrev_b32_e32 v43, 6, v4
	v_cmp_eq_u32_e64 s[12:13], v0, v10
	v_add_u32_e32 v0, -1, v1
	v_and_b32_e32 v4, 64, v1
	v_cmp_lt_i32_e32 vcc, v0, v4
	v_cndmask_b32_e32 v0, v0, v1, vcc
	s_mov_b32 s36, 0
	v_lshlrev_b32_e32 v44, 2, v0
	v_lshrrev_b32_e32 v0, 4, v10
	s_brev_b32 s37, 1
	v_lshlrev_b32_e32 v42, 2, v14
	v_cmp_lt_u32_e64 s[10:11], 31, v1
	v_cmp_eq_u32_e64 s[18:19], 0, v1
	v_and_b32_e32 v45, 60, v0
	v_mul_i32_i24_e32 v0, -12, v10
	v_and_b32_e32 v1, 3, v1
	s_mov_b32 s26, 0
	s_mov_b32 s27, s36
	;; [unrolled: 1-line block ×4, first 2 shown]
	s_add_i32 s40, s35, s34
	v_cmp_gt_u32_e64 s[14:15], 4, v10
	v_cmp_lt_u32_e64 s[16:17], 63, v10
	v_cmp_eq_u32_e64 s[20:21], 0, v10
	v_cmp_eq_u32_e64 s[22:23], 0, v1
	v_cmp_lt_u32_e64 s[24:25], 1, v1
	v_add_u32_e32 v46, -4, v45
	v_lshlrev_b32_e32 v47, 3, v20
	v_lshlrev_b32_e32 v48, 3, v15
	v_lshlrev_b32_e32 v49, 3, v16
	v_lshlrev_b32_e32 v50, 3, v17
	v_add_u32_e32 v51, v42, v0
	v_pk_mov_b32 v[14:15], s[26:27], s[26:27] op_sel:[0,1]
	v_pk_mov_b32 v[16:17], s[44:45], s[44:45] op_sel:[0,1]
	v_mov_b32_e32 v18, 0
	s_branch .LBB140_19
.LBB140_18:                             ;   in Loop: Header=BB140_19 Depth=1
	s_barrier
	ds_write_b64 v0, v[26:27]
	ds_write_b64 v1, v[24:25]
	;; [unrolled: 1-line block ×4, first 2 shown]
	s_waitcnt lgkmcnt(0)
	s_barrier
	ds_read_b64 v[2:3], v47
	ds_read_b64 v[36:37], v48
	;; [unrolled: 1-line block ×4, first 2 shown]
	s_waitcnt lgkmcnt(0)
	s_barrier
	ds_write_b64 v0, v[12:13]
	ds_write_b64 v1, v[8:9]
	;; [unrolled: 1-line block ×4, first 2 shown]
	s_waitcnt lgkmcnt(0)
	s_barrier
	ds_read_b64 v[28:29], v47
	ds_read_b64 v[30:31], v48
	;; [unrolled: 1-line block ×4, first 2 shown]
	s_add_i32 s35, s35, -8
	s_waitcnt lgkmcnt(0)
	s_barrier
	s_cbranch_execz .LBB140_35
.LBB140_19:                             ; =>This Inner Loop Header: Depth=1
	v_pk_mov_b32 v[26:27], v[2:3], v[2:3] op_sel:[0,1]
	s_min_u32 s26, s35, 8
	v_cmp_ne_u64_e32 vcc, s[36:37], v[26:27]
	s_lshl_b32 s26, -1, s26
	v_cndmask_b32_e32 v1, v11, v27, vcc
	v_cndmask_b32_e32 v0, -1, v26, vcc
	s_not_b32 s41, s26
	v_lshrrev_b64 v[0:1], s34, v[0:1]
	v_and_b32_e32 v0, s41, v0
	v_lshl_add_u32 v1, v0, 2, v43
	v_pk_mov_b32 v[12:13], v[28:29], v[28:29] op_sel:[0,1]
	v_lshl_add_u32 v28, v1, 2, 16
	v_and_b32_e32 v1, 1, v0
	v_add_co_u32_e32 v2, vcc, -1, v1
	v_addc_co_u32_e64 v3, s[26:27], 0, -1, vcc
	v_cmp_ne_u32_e32 vcc, 0, v1
	v_lshlrev_b32_e32 v19, 30, v0
	v_xor_b32_e32 v1, vcc_hi, v3
	v_not_b32_e32 v3, v19
	v_xor_b32_e32 v2, vcc_lo, v2
	v_cmp_gt_i64_e32 vcc, 0, v[18:19]
	v_ashrrev_i32_e32 v3, 31, v3
	v_and_b32_e32 v1, exec_hi, v1
	v_xor_b32_e32 v19, vcc_hi, v3
	v_and_b32_e32 v2, exec_lo, v2
	v_xor_b32_e32 v3, vcc_lo, v3
	v_and_b32_e32 v1, v1, v19
	v_lshlrev_b32_e32 v19, 29, v0
	v_and_b32_e32 v2, v2, v3
	v_not_b32_e32 v3, v19
	v_cmp_gt_i64_e32 vcc, 0, v[18:19]
	v_ashrrev_i32_e32 v3, 31, v3
	v_xor_b32_e32 v19, vcc_hi, v3
	v_xor_b32_e32 v3, vcc_lo, v3
	v_and_b32_e32 v1, v1, v19
	v_lshlrev_b32_e32 v19, 28, v0
	v_and_b32_e32 v2, v2, v3
	v_not_b32_e32 v3, v19
	v_cmp_gt_i64_e32 vcc, 0, v[18:19]
	v_ashrrev_i32_e32 v3, 31, v3
	v_xor_b32_e32 v19, vcc_hi, v3
	;; [unrolled: 8-line block ×5, first 2 shown]
	v_and_b32_e32 v1, v1, v19
	v_lshlrev_b32_e32 v19, 24, v0
	v_not_b32_e32 v0, v19
	v_xor_b32_e32 v3, vcc_lo, v3
	v_cmp_gt_i64_e32 vcc, 0, v[18:19]
	v_ashrrev_i32_e32 v0, 31, v0
	v_and_b32_e32 v2, v2, v3
	v_xor_b32_e32 v3, vcc_hi, v0
	v_xor_b32_e32 v0, vcc_lo, v0
	v_and_b32_e32 v0, v2, v0
	v_and_b32_e32 v1, v1, v3
	v_mbcnt_lo_u32_b32 v2, v0, 0
	v_mbcnt_hi_u32_b32 v29, v1, v2
	v_cmp_eq_u32_e32 vcc, 0, v29
	v_cmp_ne_u64_e64 s[26:27], 0, v[0:1]
	v_pk_mov_b32 v[20:21], v[40:41], v[40:41] op_sel:[0,1]
	v_pk_mov_b32 v[22:23], v[38:39], v[38:39] op_sel:[0,1]
	;; [unrolled: 1-line block ×6, first 2 shown]
	s_and_b64 s[44:45], s[26:27], vcc
	ds_write2_b64 v42, v[14:15], v[16:17] offset0:2 offset1:3
	s_waitcnt lgkmcnt(0)
	s_barrier
	s_waitcnt lgkmcnt(0)
	; wave barrier
	s_and_saveexec_b64 s[26:27], s[44:45]
	s_cbranch_execz .LBB140_21
; %bb.20:                               ;   in Loop: Header=BB140_19 Depth=1
	v_bcnt_u32_b32 v0, v0, 0
	v_bcnt_u32_b32 v0, v1, v0
	ds_write_b32 v28, v0
.LBB140_21:                             ;   in Loop: Header=BB140_19 Depth=1
	s_or_b64 exec, exec, s[26:27]
	v_cmp_ne_u64_e32 vcc, s[36:37], v[24:25]
	v_cndmask_b32_e32 v1, v11, v25, vcc
	v_cndmask_b32_e32 v0, -1, v24, vcc
	v_lshrrev_b64 v[0:1], s34, v[0:1]
	v_and_b32_e32 v0, s41, v0
	v_lshlrev_b32_e32 v1, 2, v0
	v_add_lshl_u32 v1, v1, v43, 2
	; wave barrier
	v_add_u32_e32 v31, 16, v1
	ds_read_b32 v30, v1 offset:16
	v_and_b32_e32 v1, 1, v0
	v_add_co_u32_e32 v2, vcc, -1, v1
	v_addc_co_u32_e64 v3, s[26:27], 0, -1, vcc
	v_cmp_ne_u32_e32 vcc, 0, v1
	v_lshlrev_b32_e32 v19, 30, v0
	v_xor_b32_e32 v1, vcc_hi, v3
	v_not_b32_e32 v3, v19
	v_xor_b32_e32 v2, vcc_lo, v2
	v_cmp_gt_i64_e32 vcc, 0, v[18:19]
	v_ashrrev_i32_e32 v3, 31, v3
	v_and_b32_e32 v1, exec_hi, v1
	v_xor_b32_e32 v19, vcc_hi, v3
	v_and_b32_e32 v2, exec_lo, v2
	v_xor_b32_e32 v3, vcc_lo, v3
	v_and_b32_e32 v1, v1, v19
	v_lshlrev_b32_e32 v19, 29, v0
	v_and_b32_e32 v2, v2, v3
	v_not_b32_e32 v3, v19
	v_cmp_gt_i64_e32 vcc, 0, v[18:19]
	v_ashrrev_i32_e32 v3, 31, v3
	v_xor_b32_e32 v19, vcc_hi, v3
	v_xor_b32_e32 v3, vcc_lo, v3
	v_and_b32_e32 v1, v1, v19
	v_lshlrev_b32_e32 v19, 28, v0
	v_and_b32_e32 v2, v2, v3
	v_not_b32_e32 v3, v19
	v_cmp_gt_i64_e32 vcc, 0, v[18:19]
	v_ashrrev_i32_e32 v3, 31, v3
	v_xor_b32_e32 v19, vcc_hi, v3
	;; [unrolled: 8-line block ×5, first 2 shown]
	v_and_b32_e32 v1, v1, v19
	v_lshlrev_b32_e32 v19, 24, v0
	v_not_b32_e32 v0, v19
	v_xor_b32_e32 v3, vcc_lo, v3
	v_cmp_gt_i64_e32 vcc, 0, v[18:19]
	v_ashrrev_i32_e32 v0, 31, v0
	v_and_b32_e32 v2, v2, v3
	v_xor_b32_e32 v3, vcc_hi, v0
	v_xor_b32_e32 v0, vcc_lo, v0
	v_and_b32_e32 v0, v2, v0
	v_and_b32_e32 v1, v1, v3
	v_mbcnt_lo_u32_b32 v2, v0, 0
	v_mbcnt_hi_u32_b32 v32, v1, v2
	v_cmp_eq_u32_e32 vcc, 0, v32
	v_cmp_ne_u64_e64 s[26:27], 0, v[0:1]
	s_and_b64 s[44:45], s[26:27], vcc
	; wave barrier
	s_and_saveexec_b64 s[26:27], s[44:45]
	s_cbranch_execz .LBB140_23
; %bb.22:                               ;   in Loop: Header=BB140_19 Depth=1
	v_bcnt_u32_b32 v0, v0, 0
	v_bcnt_u32_b32 v0, v1, v0
	s_waitcnt lgkmcnt(0)
	v_add_u32_e32 v0, v30, v0
	ds_write_b32 v31, v0
.LBB140_23:                             ;   in Loop: Header=BB140_19 Depth=1
	s_or_b64 exec, exec, s[26:27]
	v_cmp_ne_u64_e32 vcc, s[36:37], v[22:23]
	v_cndmask_b32_e32 v1, v11, v23, vcc
	v_cndmask_b32_e32 v0, -1, v22, vcc
	v_lshrrev_b64 v[0:1], s34, v[0:1]
	v_and_b32_e32 v0, s41, v0
	v_lshlrev_b32_e32 v1, 2, v0
	v_add_lshl_u32 v1, v1, v43, 2
	; wave barrier
	v_add_u32_e32 v34, 16, v1
	ds_read_b32 v33, v1 offset:16
	v_and_b32_e32 v1, 1, v0
	v_add_co_u32_e32 v2, vcc, -1, v1
	v_addc_co_u32_e64 v3, s[26:27], 0, -1, vcc
	v_cmp_ne_u32_e32 vcc, 0, v1
	v_lshlrev_b32_e32 v19, 30, v0
	v_xor_b32_e32 v1, vcc_hi, v3
	v_not_b32_e32 v3, v19
	v_xor_b32_e32 v2, vcc_lo, v2
	v_cmp_gt_i64_e32 vcc, 0, v[18:19]
	v_ashrrev_i32_e32 v3, 31, v3
	v_and_b32_e32 v1, exec_hi, v1
	v_xor_b32_e32 v19, vcc_hi, v3
	v_and_b32_e32 v2, exec_lo, v2
	v_xor_b32_e32 v3, vcc_lo, v3
	v_and_b32_e32 v1, v1, v19
	v_lshlrev_b32_e32 v19, 29, v0
	v_and_b32_e32 v2, v2, v3
	v_not_b32_e32 v3, v19
	v_cmp_gt_i64_e32 vcc, 0, v[18:19]
	v_ashrrev_i32_e32 v3, 31, v3
	v_xor_b32_e32 v19, vcc_hi, v3
	v_xor_b32_e32 v3, vcc_lo, v3
	v_and_b32_e32 v1, v1, v19
	v_lshlrev_b32_e32 v19, 28, v0
	v_and_b32_e32 v2, v2, v3
	v_not_b32_e32 v3, v19
	v_cmp_gt_i64_e32 vcc, 0, v[18:19]
	v_ashrrev_i32_e32 v3, 31, v3
	v_xor_b32_e32 v19, vcc_hi, v3
	;; [unrolled: 8-line block ×5, first 2 shown]
	v_and_b32_e32 v1, v1, v19
	v_lshlrev_b32_e32 v19, 24, v0
	v_not_b32_e32 v0, v19
	v_xor_b32_e32 v3, vcc_lo, v3
	v_cmp_gt_i64_e32 vcc, 0, v[18:19]
	v_ashrrev_i32_e32 v0, 31, v0
	v_and_b32_e32 v2, v2, v3
	v_xor_b32_e32 v3, vcc_hi, v0
	v_xor_b32_e32 v0, vcc_lo, v0
	v_and_b32_e32 v0, v2, v0
	v_and_b32_e32 v1, v1, v3
	v_mbcnt_lo_u32_b32 v2, v0, 0
	v_mbcnt_hi_u32_b32 v35, v1, v2
	v_cmp_eq_u32_e32 vcc, 0, v35
	v_cmp_ne_u64_e64 s[26:27], 0, v[0:1]
	s_and_b64 s[44:45], s[26:27], vcc
	; wave barrier
	s_and_saveexec_b64 s[26:27], s[44:45]
	s_cbranch_execz .LBB140_25
; %bb.24:                               ;   in Loop: Header=BB140_19 Depth=1
	v_bcnt_u32_b32 v0, v0, 0
	v_bcnt_u32_b32 v0, v1, v0
	s_waitcnt lgkmcnt(0)
	v_add_u32_e32 v0, v33, v0
	ds_write_b32 v34, v0
.LBB140_25:                             ;   in Loop: Header=BB140_19 Depth=1
	s_or_b64 exec, exec, s[26:27]
	v_cmp_ne_u64_e32 vcc, s[36:37], v[20:21]
	v_cndmask_b32_e32 v1, v11, v21, vcc
	v_cndmask_b32_e32 v0, -1, v20, vcc
	v_lshrrev_b64 v[0:1], s34, v[0:1]
	v_and_b32_e32 v0, s41, v0
	v_lshlrev_b32_e32 v1, 2, v0
	v_add_lshl_u32 v1, v1, v43, 2
	; wave barrier
	v_add_u32_e32 v37, 16, v1
	ds_read_b32 v36, v1 offset:16
	v_and_b32_e32 v1, 1, v0
	v_add_co_u32_e32 v2, vcc, -1, v1
	v_addc_co_u32_e64 v3, s[26:27], 0, -1, vcc
	v_cmp_ne_u32_e32 vcc, 0, v1
	v_lshlrev_b32_e32 v19, 30, v0
	v_xor_b32_e32 v1, vcc_hi, v3
	v_not_b32_e32 v3, v19
	v_xor_b32_e32 v2, vcc_lo, v2
	v_cmp_gt_i64_e32 vcc, 0, v[18:19]
	v_ashrrev_i32_e32 v3, 31, v3
	v_and_b32_e32 v1, exec_hi, v1
	v_xor_b32_e32 v19, vcc_hi, v3
	v_and_b32_e32 v2, exec_lo, v2
	v_xor_b32_e32 v3, vcc_lo, v3
	v_and_b32_e32 v1, v1, v19
	v_lshlrev_b32_e32 v19, 29, v0
	v_and_b32_e32 v2, v2, v3
	v_not_b32_e32 v3, v19
	v_cmp_gt_i64_e32 vcc, 0, v[18:19]
	v_ashrrev_i32_e32 v3, 31, v3
	v_xor_b32_e32 v19, vcc_hi, v3
	v_xor_b32_e32 v3, vcc_lo, v3
	v_and_b32_e32 v1, v1, v19
	v_lshlrev_b32_e32 v19, 28, v0
	v_and_b32_e32 v2, v2, v3
	v_not_b32_e32 v3, v19
	v_cmp_gt_i64_e32 vcc, 0, v[18:19]
	v_ashrrev_i32_e32 v3, 31, v3
	v_xor_b32_e32 v19, vcc_hi, v3
	;; [unrolled: 8-line block ×5, first 2 shown]
	v_and_b32_e32 v1, v1, v19
	v_lshlrev_b32_e32 v19, 24, v0
	v_not_b32_e32 v0, v19
	v_xor_b32_e32 v3, vcc_lo, v3
	v_cmp_gt_i64_e32 vcc, 0, v[18:19]
	v_ashrrev_i32_e32 v0, 31, v0
	v_and_b32_e32 v2, v2, v3
	v_xor_b32_e32 v3, vcc_hi, v0
	v_xor_b32_e32 v0, vcc_lo, v0
	v_and_b32_e32 v0, v2, v0
	v_and_b32_e32 v1, v1, v3
	v_mbcnt_lo_u32_b32 v2, v0, 0
	v_mbcnt_hi_u32_b32 v19, v1, v2
	v_cmp_eq_u32_e32 vcc, 0, v19
	v_cmp_ne_u64_e64 s[26:27], 0, v[0:1]
	s_and_b64 s[44:45], s[26:27], vcc
	; wave barrier
	s_and_saveexec_b64 s[26:27], s[44:45]
	s_cbranch_execz .LBB140_27
; %bb.26:                               ;   in Loop: Header=BB140_19 Depth=1
	v_bcnt_u32_b32 v0, v0, 0
	v_bcnt_u32_b32 v0, v1, v0
	s_waitcnt lgkmcnt(0)
	v_add_u32_e32 v0, v36, v0
	ds_write_b32 v37, v0
.LBB140_27:                             ;   in Loop: Header=BB140_19 Depth=1
	s_or_b64 exec, exec, s[26:27]
	; wave barrier
	s_waitcnt lgkmcnt(0)
	s_barrier
	ds_read2_b64 v[0:3], v42 offset0:2 offset1:3
	s_waitcnt lgkmcnt(0)
	v_add_u32_e32 v38, v1, v0
	v_add3_u32 v3, v38, v2, v3
	s_nop 1
	v_mov_b32_dpp v38, v3 row_shr:1 row_mask:0xf bank_mask:0xf
	v_cndmask_b32_e64 v38, v38, 0, s[0:1]
	v_add_u32_e32 v3, v38, v3
	s_nop 1
	v_mov_b32_dpp v38, v3 row_shr:2 row_mask:0xf bank_mask:0xf
	v_cndmask_b32_e64 v38, 0, v38, s[2:3]
	v_add_u32_e32 v3, v3, v38
	s_nop 1
	v_mov_b32_dpp v38, v3 row_shr:4 row_mask:0xf bank_mask:0xf
	v_cndmask_b32_e64 v38, 0, v38, s[4:5]
	v_add_u32_e32 v3, v3, v38
	s_nop 1
	v_mov_b32_dpp v38, v3 row_shr:8 row_mask:0xf bank_mask:0xf
	v_cndmask_b32_e64 v38, 0, v38, s[6:7]
	v_add_u32_e32 v3, v3, v38
	s_nop 1
	v_mov_b32_dpp v38, v3 row_bcast:15 row_mask:0xf bank_mask:0xf
	v_cndmask_b32_e64 v38, v38, 0, s[8:9]
	v_add_u32_e32 v3, v3, v38
	s_nop 1
	v_mov_b32_dpp v38, v3 row_bcast:31 row_mask:0xf bank_mask:0xf
	v_cndmask_b32_e64 v38, 0, v38, s[10:11]
	v_add_u32_e32 v3, v3, v38
	s_and_saveexec_b64 s[26:27], s[12:13]
	s_cbranch_execz .LBB140_29
; %bb.28:                               ;   in Loop: Header=BB140_19 Depth=1
	ds_write_b32 v45, v3
.LBB140_29:                             ;   in Loop: Header=BB140_19 Depth=1
	s_or_b64 exec, exec, s[26:27]
	s_waitcnt lgkmcnt(0)
	s_barrier
	s_and_saveexec_b64 s[26:27], s[14:15]
	s_cbranch_execz .LBB140_31
; %bb.30:                               ;   in Loop: Header=BB140_19 Depth=1
	ds_read_b32 v38, v51
	s_waitcnt lgkmcnt(0)
	s_nop 0
	v_mov_b32_dpp v39, v38 row_shr:1 row_mask:0xf bank_mask:0xf
	v_cndmask_b32_e64 v39, v39, 0, s[22:23]
	v_add_u32_e32 v38, v39, v38
	s_nop 1
	v_mov_b32_dpp v39, v38 row_shr:2 row_mask:0xf bank_mask:0xf
	v_cndmask_b32_e64 v39, 0, v39, s[24:25]
	v_add_u32_e32 v38, v38, v39
	ds_write_b32 v51, v38
.LBB140_31:                             ;   in Loop: Header=BB140_19 Depth=1
	s_or_b64 exec, exec, s[26:27]
	v_mov_b32_e32 v38, 0
	s_waitcnt lgkmcnt(0)
	s_barrier
	s_and_saveexec_b64 s[26:27], s[16:17]
	s_cbranch_execz .LBB140_33
; %bb.32:                               ;   in Loop: Header=BB140_19 Depth=1
	ds_read_b32 v38, v46
.LBB140_33:                             ;   in Loop: Header=BB140_19 Depth=1
	s_or_b64 exec, exec, s[26:27]
	s_waitcnt lgkmcnt(0)
	v_add_u32_e32 v3, v38, v3
	ds_bpermute_b32 v3, v44, v3
	s_add_i32 s34, s34, 8
	s_cmp_ge_u32 s34, s40
	s_waitcnt lgkmcnt(0)
	v_cndmask_b32_e64 v3, v3, v38, s[18:19]
	v_cndmask_b32_e64 v38, v3, 0, s[20:21]
	v_add_u32_e32 v39, v38, v0
	v_add_u32_e32 v0, v39, v1
	;; [unrolled: 1-line block ×3, first 2 shown]
	ds_write2_b64 v42, v[38:39], v[0:1] offset0:2 offset1:3
	s_waitcnt lgkmcnt(0)
	s_barrier
	ds_read_b32 v0, v28
	ds_read_b32 v1, v31
	;; [unrolled: 1-line block ×4, first 2 shown]
	v_lshlrev_b32_e32 v28, 3, v29
	s_waitcnt lgkmcnt(3)
	v_lshl_add_u32 v0, v0, 3, v28
	v_lshlrev_b32_e32 v28, 3, v32
	v_lshlrev_b32_e32 v29, 3, v30
	s_waitcnt lgkmcnt(2)
	v_lshlrev_b32_e32 v1, 3, v1
	v_add3_u32 v1, v28, v29, v1
	v_lshlrev_b32_e32 v28, 3, v35
	v_lshlrev_b32_e32 v29, 3, v33
	s_waitcnt lgkmcnt(1)
	v_lshlrev_b32_e32 v2, 3, v2
	v_add3_u32 v52, v28, v29, v2
	;; [unrolled: 5-line block ×3, first 2 shown]
	s_cbranch_scc0 .LBB140_18
; %bb.34:
                                        ; implicit-def: $vgpr40_vgpr41
                                        ; implicit-def: $vgpr38_vgpr39
                                        ; implicit-def: $vgpr36_vgpr37
                                        ; implicit-def: $vgpr2_vgpr3
                                        ; implicit-def: $sgpr34
                                        ; implicit-def: $vgpr28_vgpr29
                                        ; implicit-def: $vgpr30_vgpr31
                                        ; implicit-def: $vgpr32_vgpr33
                                        ; implicit-def: $vgpr34_vgpr35
.LBB140_35:
	v_lshlrev_b32_e32 v11, 3, v10
	s_barrier
	ds_write_b64 v0, v[26:27]
	ds_write_b64 v1, v[24:25]
	;; [unrolled: 1-line block ×4, first 2 shown]
	s_waitcnt lgkmcnt(0)
	s_barrier
	ds_read2st64_b64 v[14:17], v11 offset1:4
	ds_read2st64_b64 v[20:23], v11 offset0:8 offset1:12
	s_waitcnt lgkmcnt(0)
	s_barrier
	ds_write_b64 v0, v[12:13]
	ds_write_b64 v1, v[8:9]
	;; [unrolled: 1-line block ×4, first 2 shown]
	v_bfrev_b32_e32 v8, -2
	v_cmp_gt_i64_e32 vcc, 0, v[14:15]
	v_cndmask_b32_e64 v9, v8, 0, vcc
	v_ashrrev_i32_e32 v12, 31, v15
	v_cmp_gt_i64_e32 vcc, 0, v[16:17]
	v_not_b32_e32 v12, v12
	v_xor_b32_e32 v19, v9, v15
	v_cndmask_b32_e64 v9, v8, 0, vcc
	v_cmp_gt_i64_e32 vcc, 0, v[20:21]
	v_xor_b32_e32 v18, v12, v14
	v_ashrrev_i32_e32 v12, 31, v17
	v_xor_b32_e32 v17, v9, v17
	v_cndmask_b32_e64 v9, v8, 0, vcc
	s_waitcnt lgkmcnt(0)
	s_barrier
	ds_read2st64_b64 v[4:7], v11 offset1:4
	ds_read2st64_b64 v[0:3], v11 offset0:8 offset1:12
	v_xor_b32_e32 v13, v9, v21
	v_cmp_gt_i64_e32 vcc, 0, v[22:23]
	v_ashrrev_i32_e32 v9, 31, v23
	s_add_u32 s0, s38, s28
	v_not_b32_e32 v12, v12
	v_cndmask_b32_e64 v8, v8, 0, vcc
	v_not_b32_e32 v14, v9
	s_addc_u32 s1, s39, s29
	v_xor_b32_e32 v16, v12, v16
	v_ashrrev_i32_e32 v12, 31, v21
	v_xor_b32_e32 v9, v8, v23
	v_xor_b32_e32 v8, v14, v22
	v_mov_b32_e32 v15, s1
	v_add_co_u32_e32 v14, vcc, s0, v11
	v_not_b32_e32 v12, v12
	v_addc_co_u32_e32 v15, vcc, 0, v15, vcc
	s_mov_b64 s[6:7], 0
	v_xor_b32_e32 v12, v12, v20
	s_andn2_b64 vcc, exec, s[30:31]
	s_mov_b64 s[0:1], -1
	s_cbranch_vccz .LBB140_39
; %bb.36:
	s_andn2_b64 vcc, exec, s[0:1]
	s_cbranch_vccz .LBB140_40
.LBB140_37:
	s_and_saveexec_b64 s[0:1], s[6:7]
	s_cbranch_execnz .LBB140_53
.LBB140_38:
	s_endpgm
.LBB140_39:
	v_add_co_u32_e32 v20, vcc, 0x1000, v14
	s_add_u32 s0, s42, s28
	v_addc_co_u32_e32 v21, vcc, 0, v15, vcc
	s_addc_u32 s1, s43, s29
	global_store_dwordx2 v[14:15], v[18:19], off
	global_store_dwordx2 v[14:15], v[16:17], off offset:2048
	global_store_dwordx2 v[20:21], v[12:13], off
	global_store_dwordx2 v[20:21], v[8:9], off offset:2048
	v_mov_b32_e32 v20, s1
	v_add_co_u32_e32 v21, vcc, s0, v11
	v_addc_co_u32_e32 v22, vcc, 0, v20, vcc
	v_add_co_u32_e32 v20, vcc, 0x1000, v21
	s_waitcnt lgkmcnt(1)
	global_store_dwordx2 v11, v[4:5], s[0:1]
	global_store_dwordx2 v11, v[6:7], s[0:1] offset:2048
	v_addc_co_u32_e32 v21, vcc, 0, v22, vcc
	s_mov_b64 s[6:7], -1
	s_waitcnt lgkmcnt(0)
	global_store_dwordx2 v[20:21], v[0:1], off
	s_cbranch_execnz .LBB140_37
.LBB140_40:
	v_cmp_gt_u32_e64 s[0:1], s33, v10
	s_and_saveexec_b64 s[2:3], s[0:1]
	s_cbranch_execz .LBB140_42
; %bb.41:
	global_store_dwordx2 v[14:15], v[18:19], off
.LBB140_42:
	s_or_b64 exec, exec, s[2:3]
	v_add_u32_e32 v18, 0x100, v10
	v_cmp_gt_u32_e64 s[2:3], s33, v18
	s_and_saveexec_b64 s[4:5], s[2:3]
	s_cbranch_execz .LBB140_44
; %bb.43:
	global_store_dwordx2 v[14:15], v[16:17], off offset:2048
.LBB140_44:
	s_or_b64 exec, exec, s[4:5]
	v_add_u32_e32 v16, 0x200, v10
	v_cmp_gt_u32_e64 s[4:5], s33, v16
	s_and_saveexec_b64 s[6:7], s[4:5]
	s_cbranch_execz .LBB140_46
; %bb.45:
	v_add_co_u32_e32 v16, vcc, 0x1000, v14
	v_addc_co_u32_e32 v17, vcc, 0, v15, vcc
	global_store_dwordx2 v[16:17], v[12:13], off
.LBB140_46:
	s_or_b64 exec, exec, s[6:7]
	v_add_u32_e32 v10, 0x300, v10
	v_cmp_gt_u32_e64 s[6:7], s33, v10
	s_and_saveexec_b64 s[8:9], s[6:7]
	s_cbranch_execz .LBB140_48
; %bb.47:
	v_add_co_u32_e32 v12, vcc, 0x1000, v14
	v_addc_co_u32_e32 v13, vcc, 0, v15, vcc
	global_store_dwordx2 v[12:13], v[8:9], off offset:2048
.LBB140_48:
	s_or_b64 exec, exec, s[8:9]
	s_add_u32 s8, s42, s28
	s_addc_u32 s9, s43, s29
	v_mov_b32_e32 v9, s9
	v_add_co_u32_e32 v8, vcc, s8, v11
	v_addc_co_u32_e32 v9, vcc, 0, v9, vcc
	s_and_saveexec_b64 s[8:9], s[0:1]
	s_cbranch_execnz .LBB140_57
; %bb.49:
	s_or_b64 exec, exec, s[8:9]
	s_and_saveexec_b64 s[0:1], s[2:3]
	s_cbranch_execnz .LBB140_58
.LBB140_50:
	s_or_b64 exec, exec, s[0:1]
	s_and_saveexec_b64 s[0:1], s[4:5]
	s_cbranch_execz .LBB140_52
.LBB140_51:
	s_waitcnt lgkmcnt(1)
	v_add_co_u32_e32 v4, vcc, 0x1000, v8
	v_addc_co_u32_e32 v5, vcc, 0, v9, vcc
	s_waitcnt lgkmcnt(0)
	global_store_dwordx2 v[4:5], v[0:1], off
.LBB140_52:
	s_or_b64 exec, exec, s[0:1]
	s_and_saveexec_b64 s[0:1], s[6:7]
	s_cbranch_execz .LBB140_38
.LBB140_53:
	s_add_u32 s0, s42, s28
	s_addc_u32 s1, s43, s29
	s_waitcnt lgkmcnt(0)
	v_mov_b32_e32 v0, s1
	v_add_co_u32_e32 v1, vcc, s0, v11
	v_addc_co_u32_e32 v4, vcc, 0, v0, vcc
	v_add_co_u32_e32 v0, vcc, 0x1000, v1
	v_addc_co_u32_e32 v1, vcc, 0, v4, vcc
	global_store_dwordx2 v[0:1], v[2:3], off offset:2048
	s_endpgm
.LBB140_54:
	global_load_dwordx2 v[28:29], v[12:13], off
	s_or_b64 exec, exec, s[8:9]
                                        ; implicit-def: $vgpr30_vgpr31
	s_and_saveexec_b64 s[8:9], s[0:1]
	s_cbranch_execz .LBB140_13
.LBB140_55:
	global_load_dwordx2 v[30:31], v[12:13], off offset:512
	s_or_b64 exec, exec, s[8:9]
                                        ; implicit-def: $vgpr32_vgpr33
	s_and_saveexec_b64 s[0:1], s[2:3]
	s_cbranch_execz .LBB140_14
.LBB140_56:
	global_load_dwordx2 v[32:33], v[12:13], off offset:1024
	s_or_b64 exec, exec, s[0:1]
                                        ; implicit-def: $vgpr34_vgpr35
	s_and_saveexec_b64 s[0:1], s[6:7]
	s_cbranch_execnz .LBB140_15
	s_branch .LBB140_16
.LBB140_57:
	s_waitcnt lgkmcnt(1)
	global_store_dwordx2 v[8:9], v[4:5], off
	s_or_b64 exec, exec, s[8:9]
	s_and_saveexec_b64 s[0:1], s[2:3]
	s_cbranch_execz .LBB140_50
.LBB140_58:
	s_waitcnt lgkmcnt(1)
	global_store_dwordx2 v[8:9], v[6:7], off offset:2048
	s_or_b64 exec, exec, s[0:1]
	s_and_saveexec_b64 s[0:1], s[4:5]
	s_cbranch_execnz .LBB140_51
	s_branch .LBB140_52
	.section	.rodata,"a",@progbits
	.p2align	6, 0x0
	.amdhsa_kernel _ZN7rocprim17ROCPRIM_304000_NS6detail28radix_sort_block_sort_kernelINS1_36wrapped_radix_sort_block_sort_configINS0_13kernel_configILj256ELj4ELj4294967295EEEdN2at4cuda3cub6detail10OpaqueTypeILi8EEEEELb1EPKdPdPKSB_PSB_NS0_19identity_decomposerEEEvT1_T2_T3_T4_jT5_jj
		.amdhsa_group_segment_fixed_size 8192
		.amdhsa_private_segment_fixed_size 0
		.amdhsa_kernarg_size 304
		.amdhsa_user_sgpr_count 6
		.amdhsa_user_sgpr_private_segment_buffer 1
		.amdhsa_user_sgpr_dispatch_ptr 0
		.amdhsa_user_sgpr_queue_ptr 0
		.amdhsa_user_sgpr_kernarg_segment_ptr 1
		.amdhsa_user_sgpr_dispatch_id 0
		.amdhsa_user_sgpr_flat_scratch_init 0
		.amdhsa_user_sgpr_kernarg_preload_length 0
		.amdhsa_user_sgpr_kernarg_preload_offset 0
		.amdhsa_user_sgpr_private_segment_size 0
		.amdhsa_uses_dynamic_stack 0
		.amdhsa_system_sgpr_private_segment_wavefront_offset 0
		.amdhsa_system_sgpr_workgroup_id_x 1
		.amdhsa_system_sgpr_workgroup_id_y 0
		.amdhsa_system_sgpr_workgroup_id_z 0
		.amdhsa_system_sgpr_workgroup_info 0
		.amdhsa_system_vgpr_workitem_id 2
		.amdhsa_next_free_vgpr 53
		.amdhsa_next_free_sgpr 46
		.amdhsa_accum_offset 56
		.amdhsa_reserve_vcc 1
		.amdhsa_reserve_flat_scratch 0
		.amdhsa_float_round_mode_32 0
		.amdhsa_float_round_mode_16_64 0
		.amdhsa_float_denorm_mode_32 3
		.amdhsa_float_denorm_mode_16_64 3
		.amdhsa_dx10_clamp 1
		.amdhsa_ieee_mode 1
		.amdhsa_fp16_overflow 0
		.amdhsa_tg_split 0
		.amdhsa_exception_fp_ieee_invalid_op 0
		.amdhsa_exception_fp_denorm_src 0
		.amdhsa_exception_fp_ieee_div_zero 0
		.amdhsa_exception_fp_ieee_overflow 0
		.amdhsa_exception_fp_ieee_underflow 0
		.amdhsa_exception_fp_ieee_inexact 0
		.amdhsa_exception_int_div_zero 0
	.end_amdhsa_kernel
	.section	.text._ZN7rocprim17ROCPRIM_304000_NS6detail28radix_sort_block_sort_kernelINS1_36wrapped_radix_sort_block_sort_configINS0_13kernel_configILj256ELj4ELj4294967295EEEdN2at4cuda3cub6detail10OpaqueTypeILi8EEEEELb1EPKdPdPKSB_PSB_NS0_19identity_decomposerEEEvT1_T2_T3_T4_jT5_jj,"axG",@progbits,_ZN7rocprim17ROCPRIM_304000_NS6detail28radix_sort_block_sort_kernelINS1_36wrapped_radix_sort_block_sort_configINS0_13kernel_configILj256ELj4ELj4294967295EEEdN2at4cuda3cub6detail10OpaqueTypeILi8EEEEELb1EPKdPdPKSB_PSB_NS0_19identity_decomposerEEEvT1_T2_T3_T4_jT5_jj,comdat
.Lfunc_end140:
	.size	_ZN7rocprim17ROCPRIM_304000_NS6detail28radix_sort_block_sort_kernelINS1_36wrapped_radix_sort_block_sort_configINS0_13kernel_configILj256ELj4ELj4294967295EEEdN2at4cuda3cub6detail10OpaqueTypeILi8EEEEELb1EPKdPdPKSB_PSB_NS0_19identity_decomposerEEEvT1_T2_T3_T4_jT5_jj, .Lfunc_end140-_ZN7rocprim17ROCPRIM_304000_NS6detail28radix_sort_block_sort_kernelINS1_36wrapped_radix_sort_block_sort_configINS0_13kernel_configILj256ELj4ELj4294967295EEEdN2at4cuda3cub6detail10OpaqueTypeILi8EEEEELb1EPKdPdPKSB_PSB_NS0_19identity_decomposerEEEvT1_T2_T3_T4_jT5_jj
                                        ; -- End function
	.section	.AMDGPU.csdata,"",@progbits
; Kernel info:
; codeLenInByte = 4152
; NumSgprs: 50
; NumVgprs: 53
; NumAgprs: 0
; TotalNumVgprs: 53
; ScratchSize: 0
; MemoryBound: 1
; FloatMode: 240
; IeeeMode: 1
; LDSByteSize: 8192 bytes/workgroup (compile time only)
; SGPRBlocks: 6
; VGPRBlocks: 6
; NumSGPRsForWavesPerEU: 50
; NumVGPRsForWavesPerEU: 53
; AccumOffset: 56
; Occupancy: 8
; WaveLimiterHint : 1
; COMPUTE_PGM_RSRC2:SCRATCH_EN: 0
; COMPUTE_PGM_RSRC2:USER_SGPR: 6
; COMPUTE_PGM_RSRC2:TRAP_HANDLER: 0
; COMPUTE_PGM_RSRC2:TGID_X_EN: 1
; COMPUTE_PGM_RSRC2:TGID_Y_EN: 0
; COMPUTE_PGM_RSRC2:TGID_Z_EN: 0
; COMPUTE_PGM_RSRC2:TIDIG_COMP_CNT: 2
; COMPUTE_PGM_RSRC3_GFX90A:ACCUM_OFFSET: 13
; COMPUTE_PGM_RSRC3_GFX90A:TG_SPLIT: 0
	.section	.text._ZN7rocprim17ROCPRIM_304000_NS6detail39device_merge_sort_compile_time_verifierINS1_36wrapped_merge_sort_block_sort_configINS1_28merge_sort_block_sort_configILj256ELj4ELNS0_20block_sort_algorithmE0EEEdN2at4cuda3cub6detail10OpaqueTypeILi8EEEEENS1_37wrapped_merge_sort_block_merge_configINS0_14default_configEdSC_EEEEvv,"axG",@progbits,_ZN7rocprim17ROCPRIM_304000_NS6detail39device_merge_sort_compile_time_verifierINS1_36wrapped_merge_sort_block_sort_configINS1_28merge_sort_block_sort_configILj256ELj4ELNS0_20block_sort_algorithmE0EEEdN2at4cuda3cub6detail10OpaqueTypeILi8EEEEENS1_37wrapped_merge_sort_block_merge_configINS0_14default_configEdSC_EEEEvv,comdat
	.protected	_ZN7rocprim17ROCPRIM_304000_NS6detail39device_merge_sort_compile_time_verifierINS1_36wrapped_merge_sort_block_sort_configINS1_28merge_sort_block_sort_configILj256ELj4ELNS0_20block_sort_algorithmE0EEEdN2at4cuda3cub6detail10OpaqueTypeILi8EEEEENS1_37wrapped_merge_sort_block_merge_configINS0_14default_configEdSC_EEEEvv ; -- Begin function _ZN7rocprim17ROCPRIM_304000_NS6detail39device_merge_sort_compile_time_verifierINS1_36wrapped_merge_sort_block_sort_configINS1_28merge_sort_block_sort_configILj256ELj4ELNS0_20block_sort_algorithmE0EEEdN2at4cuda3cub6detail10OpaqueTypeILi8EEEEENS1_37wrapped_merge_sort_block_merge_configINS0_14default_configEdSC_EEEEvv
	.globl	_ZN7rocprim17ROCPRIM_304000_NS6detail39device_merge_sort_compile_time_verifierINS1_36wrapped_merge_sort_block_sort_configINS1_28merge_sort_block_sort_configILj256ELj4ELNS0_20block_sort_algorithmE0EEEdN2at4cuda3cub6detail10OpaqueTypeILi8EEEEENS1_37wrapped_merge_sort_block_merge_configINS0_14default_configEdSC_EEEEvv
	.p2align	8
	.type	_ZN7rocprim17ROCPRIM_304000_NS6detail39device_merge_sort_compile_time_verifierINS1_36wrapped_merge_sort_block_sort_configINS1_28merge_sort_block_sort_configILj256ELj4ELNS0_20block_sort_algorithmE0EEEdN2at4cuda3cub6detail10OpaqueTypeILi8EEEEENS1_37wrapped_merge_sort_block_merge_configINS0_14default_configEdSC_EEEEvv,@function
_ZN7rocprim17ROCPRIM_304000_NS6detail39device_merge_sort_compile_time_verifierINS1_36wrapped_merge_sort_block_sort_configINS1_28merge_sort_block_sort_configILj256ELj4ELNS0_20block_sort_algorithmE0EEEdN2at4cuda3cub6detail10OpaqueTypeILi8EEEEENS1_37wrapped_merge_sort_block_merge_configINS0_14default_configEdSC_EEEEvv: ; @_ZN7rocprim17ROCPRIM_304000_NS6detail39device_merge_sort_compile_time_verifierINS1_36wrapped_merge_sort_block_sort_configINS1_28merge_sort_block_sort_configILj256ELj4ELNS0_20block_sort_algorithmE0EEEdN2at4cuda3cub6detail10OpaqueTypeILi8EEEEENS1_37wrapped_merge_sort_block_merge_configINS0_14default_configEdSC_EEEEvv
; %bb.0:
	s_endpgm
	.section	.rodata,"a",@progbits
	.p2align	6, 0x0
	.amdhsa_kernel _ZN7rocprim17ROCPRIM_304000_NS6detail39device_merge_sort_compile_time_verifierINS1_36wrapped_merge_sort_block_sort_configINS1_28merge_sort_block_sort_configILj256ELj4ELNS0_20block_sort_algorithmE0EEEdN2at4cuda3cub6detail10OpaqueTypeILi8EEEEENS1_37wrapped_merge_sort_block_merge_configINS0_14default_configEdSC_EEEEvv
		.amdhsa_group_segment_fixed_size 0
		.amdhsa_private_segment_fixed_size 0
		.amdhsa_kernarg_size 0
		.amdhsa_user_sgpr_count 4
		.amdhsa_user_sgpr_private_segment_buffer 1
		.amdhsa_user_sgpr_dispatch_ptr 0
		.amdhsa_user_sgpr_queue_ptr 0
		.amdhsa_user_sgpr_kernarg_segment_ptr 0
		.amdhsa_user_sgpr_dispatch_id 0
		.amdhsa_user_sgpr_flat_scratch_init 0
		.amdhsa_user_sgpr_kernarg_preload_length 0
		.amdhsa_user_sgpr_kernarg_preload_offset 0
		.amdhsa_user_sgpr_private_segment_size 0
		.amdhsa_uses_dynamic_stack 0
		.amdhsa_system_sgpr_private_segment_wavefront_offset 0
		.amdhsa_system_sgpr_workgroup_id_x 1
		.amdhsa_system_sgpr_workgroup_id_y 0
		.amdhsa_system_sgpr_workgroup_id_z 0
		.amdhsa_system_sgpr_workgroup_info 0
		.amdhsa_system_vgpr_workitem_id 0
		.amdhsa_next_free_vgpr 1
		.amdhsa_next_free_sgpr 0
		.amdhsa_accum_offset 4
		.amdhsa_reserve_vcc 0
		.amdhsa_reserve_flat_scratch 0
		.amdhsa_float_round_mode_32 0
		.amdhsa_float_round_mode_16_64 0
		.amdhsa_float_denorm_mode_32 3
		.amdhsa_float_denorm_mode_16_64 3
		.amdhsa_dx10_clamp 1
		.amdhsa_ieee_mode 1
		.amdhsa_fp16_overflow 0
		.amdhsa_tg_split 0
		.amdhsa_exception_fp_ieee_invalid_op 0
		.amdhsa_exception_fp_denorm_src 0
		.amdhsa_exception_fp_ieee_div_zero 0
		.amdhsa_exception_fp_ieee_overflow 0
		.amdhsa_exception_fp_ieee_underflow 0
		.amdhsa_exception_fp_ieee_inexact 0
		.amdhsa_exception_int_div_zero 0
	.end_amdhsa_kernel
	.section	.text._ZN7rocprim17ROCPRIM_304000_NS6detail39device_merge_sort_compile_time_verifierINS1_36wrapped_merge_sort_block_sort_configINS1_28merge_sort_block_sort_configILj256ELj4ELNS0_20block_sort_algorithmE0EEEdN2at4cuda3cub6detail10OpaqueTypeILi8EEEEENS1_37wrapped_merge_sort_block_merge_configINS0_14default_configEdSC_EEEEvv,"axG",@progbits,_ZN7rocprim17ROCPRIM_304000_NS6detail39device_merge_sort_compile_time_verifierINS1_36wrapped_merge_sort_block_sort_configINS1_28merge_sort_block_sort_configILj256ELj4ELNS0_20block_sort_algorithmE0EEEdN2at4cuda3cub6detail10OpaqueTypeILi8EEEEENS1_37wrapped_merge_sort_block_merge_configINS0_14default_configEdSC_EEEEvv,comdat
.Lfunc_end141:
	.size	_ZN7rocprim17ROCPRIM_304000_NS6detail39device_merge_sort_compile_time_verifierINS1_36wrapped_merge_sort_block_sort_configINS1_28merge_sort_block_sort_configILj256ELj4ELNS0_20block_sort_algorithmE0EEEdN2at4cuda3cub6detail10OpaqueTypeILi8EEEEENS1_37wrapped_merge_sort_block_merge_configINS0_14default_configEdSC_EEEEvv, .Lfunc_end141-_ZN7rocprim17ROCPRIM_304000_NS6detail39device_merge_sort_compile_time_verifierINS1_36wrapped_merge_sort_block_sort_configINS1_28merge_sort_block_sort_configILj256ELj4ELNS0_20block_sort_algorithmE0EEEdN2at4cuda3cub6detail10OpaqueTypeILi8EEEEENS1_37wrapped_merge_sort_block_merge_configINS0_14default_configEdSC_EEEEvv
                                        ; -- End function
	.section	.AMDGPU.csdata,"",@progbits
; Kernel info:
; codeLenInByte = 4
; NumSgprs: 4
; NumVgprs: 0
; NumAgprs: 0
; TotalNumVgprs: 0
; ScratchSize: 0
; MemoryBound: 0
; FloatMode: 240
; IeeeMode: 1
; LDSByteSize: 0 bytes/workgroup (compile time only)
; SGPRBlocks: 0
; VGPRBlocks: 0
; NumSGPRsForWavesPerEU: 4
; NumVGPRsForWavesPerEU: 1
; AccumOffset: 4
; Occupancy: 8
; WaveLimiterHint : 0
; COMPUTE_PGM_RSRC2:SCRATCH_EN: 0
; COMPUTE_PGM_RSRC2:USER_SGPR: 4
; COMPUTE_PGM_RSRC2:TRAP_HANDLER: 0
; COMPUTE_PGM_RSRC2:TGID_X_EN: 1
; COMPUTE_PGM_RSRC2:TGID_Y_EN: 0
; COMPUTE_PGM_RSRC2:TGID_Z_EN: 0
; COMPUTE_PGM_RSRC2:TIDIG_COMP_CNT: 0
; COMPUTE_PGM_RSRC3_GFX90A:ACCUM_OFFSET: 0
; COMPUTE_PGM_RSRC3_GFX90A:TG_SPLIT: 0
	.section	.text._ZN7rocprim17ROCPRIM_304000_NS6detail45device_block_merge_mergepath_partition_kernelINS1_37wrapped_merge_sort_block_merge_configINS0_14default_configEdN2at4cuda3cub6detail10OpaqueTypeILi8EEEEEPdjNS1_19radix_merge_compareILb1ELb0EdNS0_19identity_decomposerEEEEEvT0_T1_jPSH_T2_SH_,"axG",@progbits,_ZN7rocprim17ROCPRIM_304000_NS6detail45device_block_merge_mergepath_partition_kernelINS1_37wrapped_merge_sort_block_merge_configINS0_14default_configEdN2at4cuda3cub6detail10OpaqueTypeILi8EEEEEPdjNS1_19radix_merge_compareILb1ELb0EdNS0_19identity_decomposerEEEEEvT0_T1_jPSH_T2_SH_,comdat
	.protected	_ZN7rocprim17ROCPRIM_304000_NS6detail45device_block_merge_mergepath_partition_kernelINS1_37wrapped_merge_sort_block_merge_configINS0_14default_configEdN2at4cuda3cub6detail10OpaqueTypeILi8EEEEEPdjNS1_19radix_merge_compareILb1ELb0EdNS0_19identity_decomposerEEEEEvT0_T1_jPSH_T2_SH_ ; -- Begin function _ZN7rocprim17ROCPRIM_304000_NS6detail45device_block_merge_mergepath_partition_kernelINS1_37wrapped_merge_sort_block_merge_configINS0_14default_configEdN2at4cuda3cub6detail10OpaqueTypeILi8EEEEEPdjNS1_19radix_merge_compareILb1ELb0EdNS0_19identity_decomposerEEEEEvT0_T1_jPSH_T2_SH_
	.globl	_ZN7rocprim17ROCPRIM_304000_NS6detail45device_block_merge_mergepath_partition_kernelINS1_37wrapped_merge_sort_block_merge_configINS0_14default_configEdN2at4cuda3cub6detail10OpaqueTypeILi8EEEEEPdjNS1_19radix_merge_compareILb1ELb0EdNS0_19identity_decomposerEEEEEvT0_T1_jPSH_T2_SH_
	.p2align	8
	.type	_ZN7rocprim17ROCPRIM_304000_NS6detail45device_block_merge_mergepath_partition_kernelINS1_37wrapped_merge_sort_block_merge_configINS0_14default_configEdN2at4cuda3cub6detail10OpaqueTypeILi8EEEEEPdjNS1_19radix_merge_compareILb1ELb0EdNS0_19identity_decomposerEEEEEvT0_T1_jPSH_T2_SH_,@function
_ZN7rocprim17ROCPRIM_304000_NS6detail45device_block_merge_mergepath_partition_kernelINS1_37wrapped_merge_sort_block_merge_configINS0_14default_configEdN2at4cuda3cub6detail10OpaqueTypeILi8EEEEEPdjNS1_19radix_merge_compareILb1ELb0EdNS0_19identity_decomposerEEEEEvT0_T1_jPSH_T2_SH_: ; @_ZN7rocprim17ROCPRIM_304000_NS6detail45device_block_merge_mergepath_partition_kernelINS1_37wrapped_merge_sort_block_merge_configINS0_14default_configEdN2at4cuda3cub6detail10OpaqueTypeILi8EEEEEPdjNS1_19radix_merge_compareILb1ELb0EdNS0_19identity_decomposerEEEEEvT0_T1_jPSH_T2_SH_
; %bb.0:
	s_load_dwordx2 s[0:1], s[4:5], 0x8
	v_lshl_or_b32 v0, s6, 7, v0
	s_waitcnt lgkmcnt(0)
	v_cmp_gt_u32_e32 vcc, s1, v0
	s_and_saveexec_b64 s[2:3], vcc
	s_cbranch_execz .LBB142_6
; %bb.1:
	s_load_dword s1, s[4:5], 0x1c
	s_mov_b32 s2, 0
	s_waitcnt lgkmcnt(0)
	s_lshr_b32 s3, s1, 9
	s_and_b32 s3, s3, 0x7ffffe
	s_add_i32 s6, s3, -1
	s_sub_i32 s3, 0, s3
	v_and_b32_e32 v1, s3, v0
	v_lshlrev_b32_e32 v1, 10, v1
	v_min_u32_e32 v2, s0, v1
	v_add_u32_e32 v1, s1, v1
	v_min_u32_e32 v4, s0, v1
	v_add_u32_e32 v1, s1, v4
	v_and_b32_e32 v3, s6, v0
	v_min_u32_e32 v1, s0, v1
	v_sub_u32_e32 v5, v1, v2
	v_lshlrev_b32_e32 v3, 10, v3
	v_min_u32_e32 v6, v5, v3
	v_sub_u32_e32 v3, v4, v2
	v_sub_u32_e32 v1, v1, v4
	v_sub_u32_e64 v1, v6, v1 clamp
	v_min_u32_e32 v7, v6, v3
	v_cmp_lt_u32_e32 vcc, v1, v7
	s_and_saveexec_b64 s[6:7], vcc
	s_cbranch_execz .LBB142_5
; %bb.2:
	s_load_dwordx2 s[0:1], s[4:5], 0x0
	v_mov_b32_e32 v5, 0
	v_mov_b32_e32 v3, v5
	v_lshlrev_b64 v[8:9], 3, v[2:3]
	v_lshlrev_b64 v[10:11], 3, v[4:5]
	s_waitcnt lgkmcnt(0)
	v_mov_b32_e32 v12, s1
	v_add_co_u32_e32 v3, vcc, s0, v8
	v_addc_co_u32_e32 v8, vcc, v12, v9, vcc
	v_add_co_u32_e32 v9, vcc, s0, v10
	v_addc_co_u32_e32 v10, vcc, v12, v11, vcc
	s_mov_b64 s[8:9], 0
	s_brev_b32 s3, 1
	v_bfrev_b32_e32 v11, 1
.LBB142_3:                              ; =>This Inner Loop Header: Depth=1
	v_add_u32_e32 v4, v7, v1
	v_lshrrev_b32_e32 v4, 1, v4
	v_lshlrev_b64 v[14:15], 3, v[4:5]
	v_mov_b32_e32 v13, v5
	v_xad_u32 v12, v4, -1, v6
	v_add_co_u32_e32 v14, vcc, v3, v14
	v_addc_co_u32_e32 v15, vcc, v8, v15, vcc
	v_lshlrev_b64 v[12:13], 3, v[12:13]
	v_add_co_u32_e32 v12, vcc, v9, v12
	global_load_dwordx2 v[14:15], v[14:15], off
	v_addc_co_u32_e32 v13, vcc, v10, v13, vcc
	global_load_dwordx2 v[12:13], v[12:13], off
	v_add_u32_e32 v16, 1, v4
	s_waitcnt vmcnt(1)
	v_cmp_ne_u64_e32 vcc, s[2:3], v[14:15]
	v_cndmask_b32_e32 v15, 0, v15, vcc
	v_cndmask_b32_e32 v14, 0, v14, vcc
	s_waitcnt vmcnt(0)
	v_cmp_ne_u64_e64 s[0:1], s[2:3], v[12:13]
	v_cndmask_b32_e64 v13, 0, v13, s[0:1]
	v_cndmask_b32_e64 v12, 0, v12, s[0:1]
	v_cmp_lt_i64_e32 vcc, -1, v[14:15]
	v_ashrrev_i32_e32 v17, 31, v15
	v_cndmask_b32_e32 v19, -1, v11, vcc
	v_cmp_lt_i64_e32 vcc, -1, v[12:13]
	v_ashrrev_i32_e32 v18, 31, v13
	v_xor_b32_e32 v14, v17, v14
	v_cndmask_b32_e32 v17, -1, v11, vcc
	v_xor_b32_e32 v12, v18, v12
	v_xor_b32_e32 v15, v19, v15
	;; [unrolled: 1-line block ×3, first 2 shown]
	v_cmp_gt_u64_e32 vcc, v[12:13], v[14:15]
	v_cndmask_b32_e32 v7, v7, v4, vcc
	v_cndmask_b32_e32 v1, v16, v1, vcc
	v_cmp_ge_u32_e32 vcc, v1, v7
	s_or_b64 s[8:9], vcc, s[8:9]
	s_andn2_b64 exec, exec, s[8:9]
	s_cbranch_execnz .LBB142_3
; %bb.4:
	s_or_b64 exec, exec, s[8:9]
.LBB142_5:
	s_or_b64 exec, exec, s[6:7]
	s_load_dwordx2 s[0:1], s[4:5], 0x10
	v_add_u32_e32 v2, v1, v2
	v_mov_b32_e32 v1, 0
	v_lshlrev_b64 v[0:1], 2, v[0:1]
	s_waitcnt lgkmcnt(0)
	v_mov_b32_e32 v3, s1
	v_add_co_u32_e32 v0, vcc, s0, v0
	v_addc_co_u32_e32 v1, vcc, v3, v1, vcc
	global_store_dword v[0:1], v2, off
.LBB142_6:
	s_endpgm
	.section	.rodata,"a",@progbits
	.p2align	6, 0x0
	.amdhsa_kernel _ZN7rocprim17ROCPRIM_304000_NS6detail45device_block_merge_mergepath_partition_kernelINS1_37wrapped_merge_sort_block_merge_configINS0_14default_configEdN2at4cuda3cub6detail10OpaqueTypeILi8EEEEEPdjNS1_19radix_merge_compareILb1ELb0EdNS0_19identity_decomposerEEEEEvT0_T1_jPSH_T2_SH_
		.amdhsa_group_segment_fixed_size 0
		.amdhsa_private_segment_fixed_size 0
		.amdhsa_kernarg_size 32
		.amdhsa_user_sgpr_count 6
		.amdhsa_user_sgpr_private_segment_buffer 1
		.amdhsa_user_sgpr_dispatch_ptr 0
		.amdhsa_user_sgpr_queue_ptr 0
		.amdhsa_user_sgpr_kernarg_segment_ptr 1
		.amdhsa_user_sgpr_dispatch_id 0
		.amdhsa_user_sgpr_flat_scratch_init 0
		.amdhsa_user_sgpr_kernarg_preload_length 0
		.amdhsa_user_sgpr_kernarg_preload_offset 0
		.amdhsa_user_sgpr_private_segment_size 0
		.amdhsa_uses_dynamic_stack 0
		.amdhsa_system_sgpr_private_segment_wavefront_offset 0
		.amdhsa_system_sgpr_workgroup_id_x 1
		.amdhsa_system_sgpr_workgroup_id_y 0
		.amdhsa_system_sgpr_workgroup_id_z 0
		.amdhsa_system_sgpr_workgroup_info 0
		.amdhsa_system_vgpr_workitem_id 0
		.amdhsa_next_free_vgpr 20
		.amdhsa_next_free_sgpr 10
		.amdhsa_accum_offset 20
		.amdhsa_reserve_vcc 1
		.amdhsa_reserve_flat_scratch 0
		.amdhsa_float_round_mode_32 0
		.amdhsa_float_round_mode_16_64 0
		.amdhsa_float_denorm_mode_32 3
		.amdhsa_float_denorm_mode_16_64 3
		.amdhsa_dx10_clamp 1
		.amdhsa_ieee_mode 1
		.amdhsa_fp16_overflow 0
		.amdhsa_tg_split 0
		.amdhsa_exception_fp_ieee_invalid_op 0
		.amdhsa_exception_fp_denorm_src 0
		.amdhsa_exception_fp_ieee_div_zero 0
		.amdhsa_exception_fp_ieee_overflow 0
		.amdhsa_exception_fp_ieee_underflow 0
		.amdhsa_exception_fp_ieee_inexact 0
		.amdhsa_exception_int_div_zero 0
	.end_amdhsa_kernel
	.section	.text._ZN7rocprim17ROCPRIM_304000_NS6detail45device_block_merge_mergepath_partition_kernelINS1_37wrapped_merge_sort_block_merge_configINS0_14default_configEdN2at4cuda3cub6detail10OpaqueTypeILi8EEEEEPdjNS1_19radix_merge_compareILb1ELb0EdNS0_19identity_decomposerEEEEEvT0_T1_jPSH_T2_SH_,"axG",@progbits,_ZN7rocprim17ROCPRIM_304000_NS6detail45device_block_merge_mergepath_partition_kernelINS1_37wrapped_merge_sort_block_merge_configINS0_14default_configEdN2at4cuda3cub6detail10OpaqueTypeILi8EEEEEPdjNS1_19radix_merge_compareILb1ELb0EdNS0_19identity_decomposerEEEEEvT0_T1_jPSH_T2_SH_,comdat
.Lfunc_end142:
	.size	_ZN7rocprim17ROCPRIM_304000_NS6detail45device_block_merge_mergepath_partition_kernelINS1_37wrapped_merge_sort_block_merge_configINS0_14default_configEdN2at4cuda3cub6detail10OpaqueTypeILi8EEEEEPdjNS1_19radix_merge_compareILb1ELb0EdNS0_19identity_decomposerEEEEEvT0_T1_jPSH_T2_SH_, .Lfunc_end142-_ZN7rocprim17ROCPRIM_304000_NS6detail45device_block_merge_mergepath_partition_kernelINS1_37wrapped_merge_sort_block_merge_configINS0_14default_configEdN2at4cuda3cub6detail10OpaqueTypeILi8EEEEEPdjNS1_19radix_merge_compareILb1ELb0EdNS0_19identity_decomposerEEEEEvT0_T1_jPSH_T2_SH_
                                        ; -- End function
	.section	.AMDGPU.csdata,"",@progbits
; Kernel info:
; codeLenInByte = 456
; NumSgprs: 14
; NumVgprs: 20
; NumAgprs: 0
; TotalNumVgprs: 20
; ScratchSize: 0
; MemoryBound: 0
; FloatMode: 240
; IeeeMode: 1
; LDSByteSize: 0 bytes/workgroup (compile time only)
; SGPRBlocks: 1
; VGPRBlocks: 2
; NumSGPRsForWavesPerEU: 14
; NumVGPRsForWavesPerEU: 20
; AccumOffset: 20
; Occupancy: 8
; WaveLimiterHint : 0
; COMPUTE_PGM_RSRC2:SCRATCH_EN: 0
; COMPUTE_PGM_RSRC2:USER_SGPR: 6
; COMPUTE_PGM_RSRC2:TRAP_HANDLER: 0
; COMPUTE_PGM_RSRC2:TGID_X_EN: 1
; COMPUTE_PGM_RSRC2:TGID_Y_EN: 0
; COMPUTE_PGM_RSRC2:TGID_Z_EN: 0
; COMPUTE_PGM_RSRC2:TIDIG_COMP_CNT: 0
; COMPUTE_PGM_RSRC3_GFX90A:ACCUM_OFFSET: 4
; COMPUTE_PGM_RSRC3_GFX90A:TG_SPLIT: 0
	.section	.text._ZN7rocprim17ROCPRIM_304000_NS6detail35device_block_merge_mergepath_kernelINS1_37wrapped_merge_sort_block_merge_configINS0_14default_configEdN2at4cuda3cub6detail10OpaqueTypeILi8EEEEEPdSC_PSA_SD_jNS1_19radix_merge_compareILb1ELb0EdNS0_19identity_decomposerEEEEEvT0_T1_T2_T3_T4_SL_jT5_PKSL_NS1_7vsmem_tE,"axG",@progbits,_ZN7rocprim17ROCPRIM_304000_NS6detail35device_block_merge_mergepath_kernelINS1_37wrapped_merge_sort_block_merge_configINS0_14default_configEdN2at4cuda3cub6detail10OpaqueTypeILi8EEEEEPdSC_PSA_SD_jNS1_19radix_merge_compareILb1ELb0EdNS0_19identity_decomposerEEEEEvT0_T1_T2_T3_T4_SL_jT5_PKSL_NS1_7vsmem_tE,comdat
	.protected	_ZN7rocprim17ROCPRIM_304000_NS6detail35device_block_merge_mergepath_kernelINS1_37wrapped_merge_sort_block_merge_configINS0_14default_configEdN2at4cuda3cub6detail10OpaqueTypeILi8EEEEEPdSC_PSA_SD_jNS1_19radix_merge_compareILb1ELb0EdNS0_19identity_decomposerEEEEEvT0_T1_T2_T3_T4_SL_jT5_PKSL_NS1_7vsmem_tE ; -- Begin function _ZN7rocprim17ROCPRIM_304000_NS6detail35device_block_merge_mergepath_kernelINS1_37wrapped_merge_sort_block_merge_configINS0_14default_configEdN2at4cuda3cub6detail10OpaqueTypeILi8EEEEEPdSC_PSA_SD_jNS1_19radix_merge_compareILb1ELb0EdNS0_19identity_decomposerEEEEEvT0_T1_T2_T3_T4_SL_jT5_PKSL_NS1_7vsmem_tE
	.globl	_ZN7rocprim17ROCPRIM_304000_NS6detail35device_block_merge_mergepath_kernelINS1_37wrapped_merge_sort_block_merge_configINS0_14default_configEdN2at4cuda3cub6detail10OpaqueTypeILi8EEEEEPdSC_PSA_SD_jNS1_19radix_merge_compareILb1ELb0EdNS0_19identity_decomposerEEEEEvT0_T1_T2_T3_T4_SL_jT5_PKSL_NS1_7vsmem_tE
	.p2align	8
	.type	_ZN7rocprim17ROCPRIM_304000_NS6detail35device_block_merge_mergepath_kernelINS1_37wrapped_merge_sort_block_merge_configINS0_14default_configEdN2at4cuda3cub6detail10OpaqueTypeILi8EEEEEPdSC_PSA_SD_jNS1_19radix_merge_compareILb1ELb0EdNS0_19identity_decomposerEEEEEvT0_T1_T2_T3_T4_SL_jT5_PKSL_NS1_7vsmem_tE,@function
_ZN7rocprim17ROCPRIM_304000_NS6detail35device_block_merge_mergepath_kernelINS1_37wrapped_merge_sort_block_merge_configINS0_14default_configEdN2at4cuda3cub6detail10OpaqueTypeILi8EEEEEPdSC_PSA_SD_jNS1_19radix_merge_compareILb1ELb0EdNS0_19identity_decomposerEEEEEvT0_T1_T2_T3_T4_SL_jT5_PKSL_NS1_7vsmem_tE: ; @_ZN7rocprim17ROCPRIM_304000_NS6detail35device_block_merge_mergepath_kernelINS1_37wrapped_merge_sort_block_merge_configINS0_14default_configEdN2at4cuda3cub6detail10OpaqueTypeILi8EEEEEPdSC_PSA_SD_jNS1_19radix_merge_compareILb1ELb0EdNS0_19identity_decomposerEEEEEvT0_T1_T2_T3_T4_SL_jT5_PKSL_NS1_7vsmem_tE
; %bb.0:
	s_load_dwordx2 s[24:25], s[4:5], 0x40
	s_load_dwordx4 s[16:19], s[4:5], 0x20
	s_add_u32 s22, s4, 64
	s_addc_u32 s23, s5, 0
	s_waitcnt lgkmcnt(0)
	s_mul_i32 s0, s25, s8
	s_add_i32 s0, s0, s7
	s_mul_i32 s0, s0, s24
	s_add_i32 s0, s0, s6
	s_cmp_ge_u32 s0, s18
	s_cbranch_scc1 .LBB143_59
; %bb.1:
	s_load_dwordx8 s[8:15], s[4:5], 0x0
	s_load_dwordx2 s[2:3], s[4:5], 0x30
	s_lshr_b32 s28, s16, 10
	s_cmp_lg_u32 s0, s28
	s_mov_b32 s1, 0
	s_cselect_b64 s[20:21], -1, 0
	s_lshl_b64 s[4:5], s[0:1], 2
	s_waitcnt lgkmcnt(0)
	s_add_u32 s2, s2, s4
	s_addc_u32 s3, s3, s5
	s_lshr_b32 s4, s17, 9
	s_and_b32 s4, s4, 0x7ffffe
	s_load_dwordx2 s[2:3], s[2:3], 0x0
	s_sub_i32 s5, 0, s4
	s_and_b32 s4, s0, s5
	s_lshl_b32 s7, s4, 10
	s_lshl_b32 s18, s0, 10
	;; [unrolled: 1-line block ×3, first 2 shown]
	s_sub_i32 s19, s18, s7
	s_add_i32 s25, s4, s17
	s_add_i32 s19, s25, s19
	s_waitcnt lgkmcnt(0)
	s_sub_i32 s4, s19, s2
	s_sub_i32 s19, s19, s3
	;; [unrolled: 1-line block ×3, first 2 shown]
	s_min_u32 s4, s16, s4
	s_addk_i32 s19, 0x400
	s_or_b32 s5, s0, s5
	s_min_u32 s25, s16, s7
	s_add_i32 s7, s7, s17
	s_cmp_eq_u32 s5, -1
	s_cselect_b32 s5, s7, s19
	s_cselect_b32 s3, s25, s3
	s_min_u32 s5, s5, s16
	s_sub_i32 s19, s3, s2
	s_mov_b32 s3, s1
	s_sub_i32 s26, s5, s4
	s_lshl_b64 s[2:3], s[2:3], 3
	s_add_u32 s25, s8, s2
	s_mov_b32 s5, s1
	s_addc_u32 s27, s9, s3
	s_lshl_b64 s[4:5], s[4:5], 3
	s_add_u32 s8, s8, s4
	s_addc_u32 s9, s9, s5
	s_cmp_lt_u32 s6, s24
	v_mov_b32_e32 v5, 0
	s_cselect_b32 s1, 12, 18
	global_load_dword v1, v5, s[22:23] offset:14
	s_add_u32 s6, s22, s1
	s_addc_u32 s7, s23, 0
	global_load_ushort v2, v5, s[6:7]
	v_cmp_gt_u32_e32 vcc, s19, v0
	s_cmp_eq_u32 s0, s28
	s_waitcnt vmcnt(1)
	v_lshrrev_b32_e32 v3, 16, v1
	v_and_b32_e32 v1, 0xffff, v1
	v_mul_lo_u32 v1, v1, v3
	s_waitcnt vmcnt(0)
	v_mul_lo_u32 v1, v1, v2
	v_add_u32_e32 v8, v1, v0
	v_lshlrev_b32_e32 v1, 3, v0
	s_cbranch_scc1 .LBB143_3
; %bb.2:
	v_mov_b32_e32 v2, s27
	v_add_co_u32_e64 v6, s[0:1], s25, v1
	v_subrev_u32_e32 v4, s19, v0
	v_addc_co_u32_e64 v7, s[0:1], 0, v2, s[0:1]
	v_lshlrev_b64 v[2:3], 3, v[4:5]
	v_mov_b32_e32 v4, s9
	v_add_co_u32_e64 v2, s[0:1], s8, v2
	v_addc_co_u32_e64 v3, s[0:1], v4, v3, s[0:1]
	v_mov_b32_e32 v9, v5
	v_cndmask_b32_e32 v3, v3, v7, vcc
	v_cndmask_b32_e32 v2, v2, v6, vcc
	v_lshlrev_b64 v[6:7], 3, v[8:9]
	v_mov_b32_e32 v4, s27
	v_add_co_u32_e32 v6, vcc, s25, v6
	v_addc_co_u32_e32 v7, vcc, v4, v7, vcc
	v_subrev_u32_e32 v4, s19, v8
	v_lshlrev_b64 v[4:5], 3, v[4:5]
	v_mov_b32_e32 v9, s9
	v_add_co_u32_e32 v4, vcc, s8, v4
	v_addc_co_u32_e32 v5, vcc, v9, v5, vcc
	v_cmp_gt_u32_e32 vcc, s19, v8
	v_cndmask_b32_e32 v5, v5, v7, vcc
	v_cndmask_b32_e32 v4, v4, v6, vcc
	global_load_dwordx2 v[2:3], v[2:3], off
	s_add_i32 s17, s26, s19
	global_load_dwordx2 v[6:7], v[4:5], off
	s_cbranch_execz .LBB143_4
	s_branch .LBB143_9
.LBB143_3:
                                        ; implicit-def: $vgpr6_vgpr7
                                        ; implicit-def: $sgpr17
                                        ; implicit-def: $vgpr2_vgpr3_vgpr4_vgpr5
.LBB143_4:
	s_add_i32 s17, s26, s19
	v_cmp_gt_u32_e32 vcc, s17, v0
                                        ; implicit-def: $vgpr2_vgpr3
	s_and_saveexec_b64 s[0:1], vcc
	s_cbranch_execz .LBB143_6
; %bb.5:
	s_waitcnt vmcnt(1)
	v_mov_b32_e32 v2, s27
	v_add_co_u32_e32 v4, vcc, s25, v1
	v_mov_b32_e32 v3, 0
	v_addc_co_u32_e32 v5, vcc, 0, v2, vcc
	v_subrev_u32_e32 v2, s19, v0
	v_lshlrev_b64 v[2:3], 3, v[2:3]
	s_waitcnt vmcnt(0)
	v_mov_b32_e32 v6, s9
	v_add_co_u32_e32 v2, vcc, s8, v2
	v_addc_co_u32_e32 v3, vcc, v6, v3, vcc
	v_cmp_gt_u32_e32 vcc, s19, v0
	v_cndmask_b32_e32 v3, v3, v5, vcc
	v_cndmask_b32_e32 v2, v2, v4, vcc
	global_load_dwordx2 v[2:3], v[2:3], off
.LBB143_6:
	s_or_b64 exec, exec, s[0:1]
	v_cmp_gt_u32_e32 vcc, s17, v8
	s_and_saveexec_b64 s[6:7], vcc
                                        ; implicit-def: $vgpr4_vgpr5_vgpr6_vgpr7
	s_cbranch_execz .LBB143_8
; %bb.7:
	v_mov_b32_e32 v9, 0
	v_lshlrev_b64 v[4:5], 3, v[8:9]
	s_waitcnt vmcnt(0)
	v_mov_b32_e32 v6, s27
	v_add_co_u32_e32 v7, vcc, s25, v4
	v_addc_co_u32_e32 v6, vcc, v6, v5, vcc
	v_cmp_gt_u32_e32 vcc, s19, v8
	v_subrev_u32_e32 v8, s19, v8
	v_lshlrev_b64 v[4:5], 3, v[8:9]
	v_mov_b32_e32 v8, s9
	v_add_co_u32_e64 v4, s[0:1], s8, v4
	v_addc_co_u32_e64 v5, s[0:1], v8, v5, s[0:1]
	v_cndmask_b32_e32 v5, v5, v6, vcc
	v_cndmask_b32_e32 v4, v4, v7, vcc
	global_load_dwordx2 v[6:7], v[4:5], off
.LBB143_8:
	s_or_b64 exec, exec, s[6:7]
.LBB143_9:
	v_lshlrev_b32_e32 v10, 1, v0
	v_min_u32_e32 v4, s17, v10
	v_sub_u32_e64 v13, v4, s26 clamp
	v_min_u32_e32 v5, s19, v4
	v_cmp_lt_u32_e32 vcc, v13, v5
	s_waitcnt vmcnt(0)
	ds_write2st64_b64 v1, v[2:3], v[6:7] offset1:8
	s_waitcnt lgkmcnt(0)
	s_barrier
	s_and_saveexec_b64 s[6:7], vcc
	s_cbranch_execz .LBB143_13
; %bb.10:
	v_lshlrev_b32_e32 v8, 3, v4
	s_mov_b32 s22, 0
	v_lshl_add_u32 v8, s19, 3, v8
	s_mov_b64 s[8:9], 0
	s_brev_b32 s23, 1
	v_bfrev_b32_e32 v9, 1
.LBB143_11:                             ; =>This Inner Loop Header: Depth=1
	v_add_u32_e32 v11, v5, v13
	v_lshrrev_b32_e32 v11, 1, v11
	v_not_b32_e32 v12, v11
	v_lshlrev_b32_e32 v14, 3, v11
	ds_read_b64 v[14:15], v14
	v_lshl_add_u32 v12, v12, 3, v8
	ds_read_b64 v[16:17], v12
	v_add_u32_e32 v18, 1, v11
	s_waitcnt lgkmcnt(1)
	v_cmp_ne_u64_e32 vcc, s[22:23], v[14:15]
	v_cndmask_b32_e32 v15, 0, v15, vcc
	s_waitcnt lgkmcnt(0)
	v_cmp_ne_u64_e64 s[0:1], s[22:23], v[16:17]
	v_cndmask_b32_e32 v14, 0, v14, vcc
	v_cndmask_b32_e64 v17, 0, v17, s[0:1]
	v_cndmask_b32_e64 v16, 0, v16, s[0:1]
	v_cmp_lt_i64_e32 vcc, -1, v[14:15]
	v_ashrrev_i32_e32 v12, 31, v15
	v_cndmask_b32_e32 v20, -1, v9, vcc
	v_cmp_lt_i64_e32 vcc, -1, v[16:17]
	v_ashrrev_i32_e32 v19, 31, v17
	v_xor_b32_e32 v14, v12, v14
	v_cndmask_b32_e32 v12, -1, v9, vcc
	v_xor_b32_e32 v16, v19, v16
	v_xor_b32_e32 v15, v20, v15
	;; [unrolled: 1-line block ×3, first 2 shown]
	v_cmp_gt_u64_e32 vcc, v[16:17], v[14:15]
	v_cndmask_b32_e32 v5, v5, v11, vcc
	v_cndmask_b32_e32 v13, v18, v13, vcc
	v_cmp_ge_u32_e32 vcc, v13, v5
	s_or_b64 s[8:9], vcc, s[8:9]
	s_andn2_b64 exec, exec, s[8:9]
	s_cbranch_execnz .LBB143_11
; %bb.12:
	s_or_b64 exec, exec, s[8:9]
.LBB143_13:
	s_or_b64 exec, exec, s[6:7]
	v_sub_u32_e32 v4, v4, v13
	v_add_u32_e32 v14, s19, v4
	v_cmp_ge_u32_e32 vcc, s19, v13
	v_cmp_ge_u32_e64 s[0:1], s17, v14
	s_or_b64 s[0:1], vcc, s[0:1]
                                        ; implicit-def: $vgpr12
                                        ; implicit-def: $vgpr11
	s_and_saveexec_b64 s[6:7], s[0:1]
	s_cbranch_execz .LBB143_25
; %bb.14:
	v_cmp_le_u32_e32 vcc, s19, v13
	v_cmp_gt_u32_e64 s[0:1], s19, v13
                                        ; implicit-def: $vgpr2_vgpr3
	s_and_saveexec_b64 s[8:9], s[0:1]
	s_cbranch_execz .LBB143_16
; %bb.15:
	v_lshlrev_b32_e32 v2, 3, v13
	ds_read_b64 v[2:3], v2
.LBB143_16:
	s_or_b64 exec, exec, s[8:9]
	v_cmp_le_u32_e64 s[8:9], s17, v14
	v_cmp_gt_u32_e64 s[0:1], s17, v14
                                        ; implicit-def: $vgpr4_vgpr5
	s_and_saveexec_b64 s[22:23], s[0:1]
	s_cbranch_execz .LBB143_18
; %bb.17:
	v_lshlrev_b32_e32 v4, 3, v14
	ds_read_b64 v[4:5], v4
.LBB143_18:
	s_or_b64 exec, exec, s[22:23]
	s_or_b64 s[22:23], vcc, s[8:9]
	s_mov_b64 s[0:1], -1
	s_xor_b64 s[24:25], s[22:23], -1
	s_and_saveexec_b64 s[22:23], s[24:25]
	s_cbranch_execz .LBB143_20
; %bb.19:
	s_mov_b32 s24, 0
	s_brev_b32 s25, 1
	s_waitcnt lgkmcnt(0)
	v_cmp_ne_u64_e32 vcc, s[24:25], v[4:5]
	v_cndmask_b32_e32 v7, 0, v5, vcc
	v_cndmask_b32_e32 v6, 0, v4, vcc
	v_cmp_ne_u64_e32 vcc, s[24:25], v[2:3]
	v_cndmask_b32_e32 v9, 0, v3, vcc
	v_cndmask_b32_e32 v8, 0, v2, vcc
	v_bfrev_b32_e32 v11, 1
	v_cmp_lt_i64_e32 vcc, -1, v[6:7]
	v_cndmask_b32_e32 v12, -1, v11, vcc
	v_cmp_lt_i64_e32 vcc, -1, v[8:9]
	v_ashrrev_i32_e32 v15, 31, v7
	v_xor_b32_e32 v7, v12, v7
	v_cndmask_b32_e32 v11, -1, v11, vcc
	v_ashrrev_i32_e32 v12, 31, v9
	v_xor_b32_e32 v6, v15, v6
	v_xor_b32_e32 v9, v11, v9
	;; [unrolled: 1-line block ×3, first 2 shown]
	v_cmp_le_u64_e32 vcc, v[6:7], v[8:9]
	s_andn2_b64 s[8:9], s[8:9], exec
	s_and_b64 s[24:25], vcc, exec
	s_or_b64 s[8:9], s[8:9], s[24:25]
.LBB143_20:
	s_or_b64 exec, exec, s[22:23]
	v_mov_b32_e32 v6, s17
	v_mov_b32_e32 v7, s19
	v_cndmask_b32_e64 v11, v14, v13, s[8:9]
	v_cndmask_b32_e64 v6, v6, v7, s[8:9]
	v_add_u32_e32 v15, 1, v11
	v_add_u32_e32 v6, -1, v6
	v_min_u32_e32 v6, v15, v6
	v_lshlrev_b32_e32 v6, 3, v6
	ds_read_b64 v[8:9], v6
	v_cndmask_b32_e64 v12, v15, v14, s[8:9]
	v_cndmask_b32_e64 v13, v13, v15, s[8:9]
	v_cmp_gt_u32_e32 vcc, s17, v12
	s_waitcnt lgkmcnt(0)
	v_cndmask_b32_e64 v7, v9, v5, s[8:9]
	v_cndmask_b32_e64 v6, v8, v4, s[8:9]
	;; [unrolled: 1-line block ×4, first 2 shown]
	s_and_saveexec_b64 s[22:23], vcc
	s_cbranch_execz .LBB143_24
; %bb.21:
	v_cmp_gt_u32_e32 vcc, s19, v13
	s_mov_b64 s[24:25], 0
	s_and_saveexec_b64 s[0:1], vcc
	s_cbranch_execz .LBB143_23
; %bb.22:
	s_mov_b32 s24, 0
	s_brev_b32 s25, 1
	v_cmp_ne_u64_e32 vcc, s[24:25], v[6:7]
	v_cndmask_b32_e32 v15, 0, v7, vcc
	v_cndmask_b32_e32 v14, 0, v6, vcc
	v_cmp_ne_u64_e32 vcc, s[24:25], v[8:9]
	v_cndmask_b32_e32 v17, 0, v9, vcc
	v_cndmask_b32_e32 v16, 0, v8, vcc
	v_bfrev_b32_e32 v18, 1
	v_cmp_lt_i64_e32 vcc, -1, v[14:15]
	v_cndmask_b32_e32 v19, -1, v18, vcc
	v_cmp_lt_i64_e32 vcc, -1, v[16:17]
	v_ashrrev_i32_e32 v20, 31, v15
	v_xor_b32_e32 v15, v19, v15
	v_cndmask_b32_e32 v18, -1, v18, vcc
	v_ashrrev_i32_e32 v19, 31, v17
	v_xor_b32_e32 v14, v20, v14
	v_xor_b32_e32 v17, v18, v17
	;; [unrolled: 1-line block ×3, first 2 shown]
	v_cmp_le_u64_e32 vcc, v[14:15], v[16:17]
	s_and_b64 s[24:25], vcc, exec
.LBB143_23:
	s_or_b64 exec, exec, s[0:1]
	s_orn2_b64 s[0:1], s[24:25], exec
.LBB143_24:
	s_or_b64 exec, exec, s[22:23]
	v_cndmask_b32_e64 v3, v5, v3, s[8:9]
	v_cndmask_b32_e64 v2, v4, v2, s[8:9]
	;; [unrolled: 1-line block ×5, first 2 shown]
.LBB143_25:
	s_or_b64 exec, exec, s[6:7]
	s_add_u32 s22, s12, s2
	s_addc_u32 s23, s13, s3
	s_add_u32 s12, s12, s4
	v_cndmask_b32_e64 v4, 0, 1, s[20:21]
	s_addc_u32 s13, s13, s5
	v_cmp_gt_u32_e64 s[4:5], s19, v0
	v_cmp_ne_u32_e64 s[0:1], 1, v4
	s_andn2_b64 vcc, exec, s[20:21]
	v_cmp_le_u32_e64 s[2:3], s19, v0
	s_barrier
	s_cbranch_vccnz .LBB143_27
; %bb.26:
	v_subrev_u32_e32 v4, s19, v0
	v_mov_b32_e32 v5, 0
	v_lshlrev_b64 v[8:9], 3, v[4:5]
	v_mov_b32_e32 v4, s13
	v_add_co_u32_e32 v8, vcc, s12, v8
	v_addc_co_u32_e32 v4, vcc, v4, v9, vcc
	v_mov_b32_e32 v9, s23
	v_add_co_u32_e32 v13, vcc, s22, v1
	v_addc_co_u32_e32 v14, vcc, 0, v9, vcc
	v_cndmask_b32_e64 v9, v4, v14, s[4:5]
	v_cndmask_b32_e64 v8, v8, v13, s[4:5]
	global_load_dwordx2 v[8:9], v[8:9], off
	v_or_b32_e32 v15, 0x200, v0
	s_movk_i32 s4, 0x1000
	v_add_co_u32_e32 v13, vcc, s4, v13
	v_subrev_u32_e32 v4, s19, v15
	v_addc_co_u32_e32 v14, vcc, 0, v14, vcc
	v_lshlrev_b64 v[4:5], 3, v[4:5]
	v_mov_b32_e32 v16, s13
	v_add_co_u32_e32 v4, vcc, s12, v4
	v_addc_co_u32_e32 v5, vcc, v16, v5, vcc
	v_cmp_gt_u32_e32 vcc, s19, v15
	v_cndmask_b32_e32 v5, v5, v14, vcc
	v_cndmask_b32_e32 v4, v4, v13, vcc
	s_mov_b64 s[4:5], -1
	s_waitcnt vmcnt(0)
	ds_write_b64 v1, v[8:9]
	s_cbranch_execz .LBB143_28
	s_branch .LBB143_39
.LBB143_27:
	s_mov_b64 s[4:5], 0
                                        ; implicit-def: $vgpr4_vgpr5
.LBB143_28:
	s_mov_b64 s[6:7], 0
                                        ; implicit-def: $vgpr4_vgpr5
	s_and_saveexec_b64 s[8:9], s[2:3]
	s_xor_b64 s[2:3], exec, s[8:9]
	s_cbranch_execnz .LBB143_60
; %bb.29:
	s_andn2_saveexec_b64 s[2:3], s[2:3]
	s_cbranch_execnz .LBB143_63
.LBB143_30:
	s_or_b64 exec, exec, s[2:3]
	s_and_saveexec_b64 s[2:3], s[6:7]
	s_cbranch_execz .LBB143_32
.LBB143_31:
	global_load_dwordx2 v[4:5], v[4:5], off
	s_waitcnt vmcnt(0)
	ds_write_b64 v1, v[4:5]
.LBB143_32:
	s_or_b64 exec, exec, s[2:3]
	v_or_b32_e32 v8, 0x200, v0
	v_cmp_le_u32_e32 vcc, s19, v8
                                        ; implicit-def: $vgpr4_vgpr5
	s_and_saveexec_b64 s[2:3], vcc
	s_xor_b64 s[2:3], exec, s[2:3]
	s_cbranch_execz .LBB143_36
; %bb.33:
	v_subrev_u32_e32 v8, s19, v8
	v_cmp_gt_u32_e32 vcc, s26, v8
	s_mov_b64 s[8:9], s[4:5]
                                        ; implicit-def: $vgpr4_vgpr5
	s_and_saveexec_b64 s[6:7], vcc
; %bb.34:
	v_mov_b32_e32 v9, 0
	v_lshlrev_b64 v[4:5], 3, v[8:9]
	v_mov_b32_e32 v8, s13
	v_add_co_u32_e32 v4, vcc, s12, v4
	v_addc_co_u32_e32 v5, vcc, v8, v5, vcc
	s_or_b64 s[8:9], s[4:5], exec
; %bb.35:
	s_or_b64 exec, exec, s[6:7]
	s_andn2_b64 s[4:5], s[4:5], exec
	s_and_b64 s[6:7], s[8:9], exec
	s_or_b64 s[4:5], s[4:5], s[6:7]
                                        ; implicit-def: $vgpr8
.LBB143_36:
	s_andn2_saveexec_b64 s[2:3], s[2:3]
; %bb.37:
	v_lshlrev_b32_e32 v4, 3, v8
	v_mov_b32_e32 v5, s23
	v_add_co_u32_e32 v4, vcc, s22, v4
	v_addc_co_u32_e32 v5, vcc, 0, v5, vcc
	s_or_b64 s[4:5], s[4:5], exec
; %bb.38:
	s_or_b64 exec, exec, s[2:3]
.LBB143_39:
	s_and_saveexec_b64 s[2:3], s[4:5]
	s_cbranch_execz .LBB143_41
; %bb.40:
	global_load_dwordx2 v[4:5], v[4:5], off
	s_waitcnt vmcnt(0)
	ds_write_b64 v1, v[4:5] offset:4096
.LBB143_41:
	s_or_b64 exec, exec, s[2:3]
	s_and_b64 vcc, exec, s[0:1]
	v_add_u32_e32 v4, s18, v10
	s_waitcnt lgkmcnt(0)
	s_barrier
	s_cbranch_vccnz .LBB143_43
; %bb.42:
	v_lshlrev_b32_e32 v13, 3, v11
	ds_read_b64 v[14:15], v13
	v_mov_b32_e32 v5, 0
	v_lshlrev_b64 v[8:9], 3, v[4:5]
	v_mov_b32_e32 v16, s15
	v_add_co_u32_e32 v8, vcc, s14, v8
	v_addc_co_u32_e32 v9, vcc, v16, v9, vcc
	s_mov_b64 s[0:1], -1
	s_waitcnt lgkmcnt(0)
	global_store_dwordx2 v[8:9], v[14:15], off
	s_cbranch_execz .LBB143_44
	s_branch .LBB143_49
.LBB143_43:
	s_mov_b64 s[0:1], 0
.LBB143_44:
	v_cmp_gt_u32_e32 vcc, s17, v10
	s_and_saveexec_b64 s[2:3], vcc
	s_cbranch_execz .LBB143_46
; %bb.45:
	v_lshlrev_b32_e32 v11, 3, v11
	ds_read_b64 v[14:15], v11
	v_mov_b32_e32 v5, 0
	v_lshlrev_b64 v[8:9], 3, v[4:5]
	v_mov_b32_e32 v5, s15
	v_add_co_u32_e32 v8, vcc, s14, v8
	v_addc_co_u32_e32 v9, vcc, v5, v9, vcc
	s_waitcnt lgkmcnt(0)
	global_store_dwordx2 v[8:9], v[14:15], off
.LBB143_46:
	s_or_b64 exec, exec, s[2:3]
	v_or_b32_e32 v5, 1, v10
	v_cmp_gt_u32_e32 vcc, s17, v5
	s_and_saveexec_b64 s[2:3], vcc
; %bb.47:
	v_mov_b32_e32 v5, 0
	s_or_b64 s[0:1], s[0:1], exec
; %bb.48:
	s_or_b64 exec, exec, s[2:3]
.LBB143_49:
	s_and_saveexec_b64 s[2:3], s[0:1]
	s_cbranch_execz .LBB143_51
; %bb.50:
	v_lshlrev_b32_e32 v8, 3, v12
	ds_read_b64 v[8:9], v8
	v_lshlrev_b64 v[4:5], 3, v[4:5]
	v_mov_b32_e32 v11, s15
	v_add_co_u32_e32 v4, vcc, s14, v4
	v_addc_co_u32_e32 v5, vcc, v11, v5, vcc
	s_waitcnt lgkmcnt(0)
	global_store_dwordx2 v[4:5], v[8:9], off offset:8
.LBB143_51:
	s_or_b64 exec, exec, s[2:3]
	v_lshrrev_b32_e32 v4, 1, v0
	v_and_b32_e32 v4, 0xf8, v4
	v_lshl_add_u32 v4, v10, 3, v4
	s_barrier
	s_barrier
	s_mov_b32 s19, 0
	ds_write2_b64 v4, v[2:3], v[6:7] offset1:1
	v_lshrrev_b32_e32 v2, 2, v0
	s_lshl_b64 s[0:1], s[18:19], 3
	v_and_b32_e32 v2, 0x78, v2
	v_or_b32_e32 v6, 0x200, v0
	s_add_u32 s0, s10, s0
	v_add_u32_e32 v7, v1, v2
	v_lshrrev_b32_e32 v2, 2, v6
	s_addc_u32 s1, s11, s1
	v_and_b32_e32 v2, 0xf8, v2
	v_add_u32_e32 v8, v1, v2
	v_mov_b32_e32 v3, s1
	v_add_co_u32_e32 v2, vcc, s0, v1
	v_addc_co_u32_e32 v3, vcc, 0, v3, vcc
	s_and_b64 vcc, exec, s[20:21]
	s_waitcnt lgkmcnt(0)
	s_cbranch_vccz .LBB143_53
; %bb.52:
	s_barrier
	ds_read_b64 v[10:11], v7
	ds_read_b64 v[4:5], v8 offset:4096
	s_mov_b64 s[0:1], -1
	s_waitcnt lgkmcnt(1)
	global_store_dwordx2 v[2:3], v[10:11], off
	s_cbranch_execz .LBB143_54
	s_branch .LBB143_57
.LBB143_53:
	s_mov_b64 s[0:1], 0
                                        ; implicit-def: $vgpr4_vgpr5
.LBB143_54:
	s_barrier
	s_waitcnt lgkmcnt(0)
	ds_read_b64 v[4:5], v8 offset:4096
	s_sub_i32 s2, s16, s18
	v_cmp_gt_u32_e32 vcc, s2, v0
	s_and_saveexec_b64 s[0:1], vcc
	s_cbranch_execz .LBB143_56
; %bb.55:
	ds_read_b64 v[0:1], v7
	s_waitcnt lgkmcnt(0)
	global_store_dwordx2 v[2:3], v[0:1], off
.LBB143_56:
	s_or_b64 exec, exec, s[0:1]
	v_cmp_gt_u32_e64 s[0:1], s2, v6
.LBB143_57:
	s_and_saveexec_b64 s[2:3], s[0:1]
	s_cbranch_execz .LBB143_59
; %bb.58:
	v_add_co_u32_e32 v0, vcc, 0x1000, v2
	v_addc_co_u32_e32 v1, vcc, 0, v3, vcc
	s_waitcnt lgkmcnt(0)
	global_store_dwordx2 v[0:1], v[4:5], off
.LBB143_59:
	s_endpgm
.LBB143_60:
	v_subrev_u32_e32 v8, s19, v0
	v_cmp_gt_u32_e32 vcc, s26, v8
                                        ; implicit-def: $vgpr4_vgpr5
	s_and_saveexec_b64 s[8:9], vcc
	s_xor_b64 s[8:9], exec, s[8:9]
; %bb.61:
	v_mov_b32_e32 v9, 0
	v_lshlrev_b64 v[4:5], 3, v[8:9]
	v_mov_b32_e32 v8, s13
	v_add_co_u32_e32 v4, vcc, s12, v4
	s_mov_b64 s[6:7], exec
	v_addc_co_u32_e32 v5, vcc, v8, v5, vcc
; %bb.62:
	s_or_b64 exec, exec, s[8:9]
	s_and_b64 s[6:7], s[6:7], exec
	s_andn2_saveexec_b64 s[2:3], s[2:3]
	s_cbranch_execz .LBB143_30
.LBB143_63:
	v_mov_b32_e32 v5, s23
	v_add_co_u32_e32 v4, vcc, s22, v1
	v_addc_co_u32_e32 v5, vcc, 0, v5, vcc
	s_or_b64 s[6:7], s[6:7], exec
	s_or_b64 exec, exec, s[2:3]
	s_and_saveexec_b64 s[2:3], s[6:7]
	s_cbranch_execnz .LBB143_31
	s_branch .LBB143_32
	.section	.rodata,"a",@progbits
	.p2align	6, 0x0
	.amdhsa_kernel _ZN7rocprim17ROCPRIM_304000_NS6detail35device_block_merge_mergepath_kernelINS1_37wrapped_merge_sort_block_merge_configINS0_14default_configEdN2at4cuda3cub6detail10OpaqueTypeILi8EEEEEPdSC_PSA_SD_jNS1_19radix_merge_compareILb1ELb0EdNS0_19identity_decomposerEEEEEvT0_T1_T2_T3_T4_SL_jT5_PKSL_NS1_7vsmem_tE
		.amdhsa_group_segment_fixed_size 8448
		.amdhsa_private_segment_fixed_size 0
		.amdhsa_kernarg_size 320
		.amdhsa_user_sgpr_count 6
		.amdhsa_user_sgpr_private_segment_buffer 1
		.amdhsa_user_sgpr_dispatch_ptr 0
		.amdhsa_user_sgpr_queue_ptr 0
		.amdhsa_user_sgpr_kernarg_segment_ptr 1
		.amdhsa_user_sgpr_dispatch_id 0
		.amdhsa_user_sgpr_flat_scratch_init 0
		.amdhsa_user_sgpr_kernarg_preload_length 0
		.amdhsa_user_sgpr_kernarg_preload_offset 0
		.amdhsa_user_sgpr_private_segment_size 0
		.amdhsa_uses_dynamic_stack 0
		.amdhsa_system_sgpr_private_segment_wavefront_offset 0
		.amdhsa_system_sgpr_workgroup_id_x 1
		.amdhsa_system_sgpr_workgroup_id_y 1
		.amdhsa_system_sgpr_workgroup_id_z 1
		.amdhsa_system_sgpr_workgroup_info 0
		.amdhsa_system_vgpr_workitem_id 0
		.amdhsa_next_free_vgpr 21
		.amdhsa_next_free_sgpr 29
		.amdhsa_accum_offset 24
		.amdhsa_reserve_vcc 1
		.amdhsa_reserve_flat_scratch 0
		.amdhsa_float_round_mode_32 0
		.amdhsa_float_round_mode_16_64 0
		.amdhsa_float_denorm_mode_32 3
		.amdhsa_float_denorm_mode_16_64 3
		.amdhsa_dx10_clamp 1
		.amdhsa_ieee_mode 1
		.amdhsa_fp16_overflow 0
		.amdhsa_tg_split 0
		.amdhsa_exception_fp_ieee_invalid_op 0
		.amdhsa_exception_fp_denorm_src 0
		.amdhsa_exception_fp_ieee_div_zero 0
		.amdhsa_exception_fp_ieee_overflow 0
		.amdhsa_exception_fp_ieee_underflow 0
		.amdhsa_exception_fp_ieee_inexact 0
		.amdhsa_exception_int_div_zero 0
	.end_amdhsa_kernel
	.section	.text._ZN7rocprim17ROCPRIM_304000_NS6detail35device_block_merge_mergepath_kernelINS1_37wrapped_merge_sort_block_merge_configINS0_14default_configEdN2at4cuda3cub6detail10OpaqueTypeILi8EEEEEPdSC_PSA_SD_jNS1_19radix_merge_compareILb1ELb0EdNS0_19identity_decomposerEEEEEvT0_T1_T2_T3_T4_SL_jT5_PKSL_NS1_7vsmem_tE,"axG",@progbits,_ZN7rocprim17ROCPRIM_304000_NS6detail35device_block_merge_mergepath_kernelINS1_37wrapped_merge_sort_block_merge_configINS0_14default_configEdN2at4cuda3cub6detail10OpaqueTypeILi8EEEEEPdSC_PSA_SD_jNS1_19radix_merge_compareILb1ELb0EdNS0_19identity_decomposerEEEEEvT0_T1_T2_T3_T4_SL_jT5_PKSL_NS1_7vsmem_tE,comdat
.Lfunc_end143:
	.size	_ZN7rocprim17ROCPRIM_304000_NS6detail35device_block_merge_mergepath_kernelINS1_37wrapped_merge_sort_block_merge_configINS0_14default_configEdN2at4cuda3cub6detail10OpaqueTypeILi8EEEEEPdSC_PSA_SD_jNS1_19radix_merge_compareILb1ELb0EdNS0_19identity_decomposerEEEEEvT0_T1_T2_T3_T4_SL_jT5_PKSL_NS1_7vsmem_tE, .Lfunc_end143-_ZN7rocprim17ROCPRIM_304000_NS6detail35device_block_merge_mergepath_kernelINS1_37wrapped_merge_sort_block_merge_configINS0_14default_configEdN2at4cuda3cub6detail10OpaqueTypeILi8EEEEEPdSC_PSA_SD_jNS1_19radix_merge_compareILb1ELb0EdNS0_19identity_decomposerEEEEEvT0_T1_T2_T3_T4_SL_jT5_PKSL_NS1_7vsmem_tE
                                        ; -- End function
	.section	.AMDGPU.csdata,"",@progbits
; Kernel info:
; codeLenInByte = 2404
; NumSgprs: 33
; NumVgprs: 21
; NumAgprs: 0
; TotalNumVgprs: 21
; ScratchSize: 0
; MemoryBound: 1
; FloatMode: 240
; IeeeMode: 1
; LDSByteSize: 8448 bytes/workgroup (compile time only)
; SGPRBlocks: 4
; VGPRBlocks: 2
; NumSGPRsForWavesPerEU: 33
; NumVGPRsForWavesPerEU: 21
; AccumOffset: 24
; Occupancy: 8
; WaveLimiterHint : 1
; COMPUTE_PGM_RSRC2:SCRATCH_EN: 0
; COMPUTE_PGM_RSRC2:USER_SGPR: 6
; COMPUTE_PGM_RSRC2:TRAP_HANDLER: 0
; COMPUTE_PGM_RSRC2:TGID_X_EN: 1
; COMPUTE_PGM_RSRC2:TGID_Y_EN: 1
; COMPUTE_PGM_RSRC2:TGID_Z_EN: 1
; COMPUTE_PGM_RSRC2:TIDIG_COMP_CNT: 0
; COMPUTE_PGM_RSRC3_GFX90A:ACCUM_OFFSET: 5
; COMPUTE_PGM_RSRC3_GFX90A:TG_SPLIT: 0
	.section	.text._ZN7rocprim17ROCPRIM_304000_NS6detail33device_block_merge_oddeven_kernelINS1_37wrapped_merge_sort_block_merge_configINS0_14default_configEdN2at4cuda3cub6detail10OpaqueTypeILi8EEEEEPdSC_PSA_SD_jNS1_19radix_merge_compareILb1ELb0EdNS0_19identity_decomposerEEEEEvT0_T1_T2_T3_T4_SL_T5_,"axG",@progbits,_ZN7rocprim17ROCPRIM_304000_NS6detail33device_block_merge_oddeven_kernelINS1_37wrapped_merge_sort_block_merge_configINS0_14default_configEdN2at4cuda3cub6detail10OpaqueTypeILi8EEEEEPdSC_PSA_SD_jNS1_19radix_merge_compareILb1ELb0EdNS0_19identity_decomposerEEEEEvT0_T1_T2_T3_T4_SL_T5_,comdat
	.protected	_ZN7rocprim17ROCPRIM_304000_NS6detail33device_block_merge_oddeven_kernelINS1_37wrapped_merge_sort_block_merge_configINS0_14default_configEdN2at4cuda3cub6detail10OpaqueTypeILi8EEEEEPdSC_PSA_SD_jNS1_19radix_merge_compareILb1ELb0EdNS0_19identity_decomposerEEEEEvT0_T1_T2_T3_T4_SL_T5_ ; -- Begin function _ZN7rocprim17ROCPRIM_304000_NS6detail33device_block_merge_oddeven_kernelINS1_37wrapped_merge_sort_block_merge_configINS0_14default_configEdN2at4cuda3cub6detail10OpaqueTypeILi8EEEEEPdSC_PSA_SD_jNS1_19radix_merge_compareILb1ELb0EdNS0_19identity_decomposerEEEEEvT0_T1_T2_T3_T4_SL_T5_
	.globl	_ZN7rocprim17ROCPRIM_304000_NS6detail33device_block_merge_oddeven_kernelINS1_37wrapped_merge_sort_block_merge_configINS0_14default_configEdN2at4cuda3cub6detail10OpaqueTypeILi8EEEEEPdSC_PSA_SD_jNS1_19radix_merge_compareILb1ELb0EdNS0_19identity_decomposerEEEEEvT0_T1_T2_T3_T4_SL_T5_
	.p2align	8
	.type	_ZN7rocprim17ROCPRIM_304000_NS6detail33device_block_merge_oddeven_kernelINS1_37wrapped_merge_sort_block_merge_configINS0_14default_configEdN2at4cuda3cub6detail10OpaqueTypeILi8EEEEEPdSC_PSA_SD_jNS1_19radix_merge_compareILb1ELb0EdNS0_19identity_decomposerEEEEEvT0_T1_T2_T3_T4_SL_T5_,@function
_ZN7rocprim17ROCPRIM_304000_NS6detail33device_block_merge_oddeven_kernelINS1_37wrapped_merge_sort_block_merge_configINS0_14default_configEdN2at4cuda3cub6detail10OpaqueTypeILi8EEEEEPdSC_PSA_SD_jNS1_19radix_merge_compareILb1ELb0EdNS0_19identity_decomposerEEEEEvT0_T1_T2_T3_T4_SL_T5_: ; @_ZN7rocprim17ROCPRIM_304000_NS6detail33device_block_merge_oddeven_kernelINS1_37wrapped_merge_sort_block_merge_configINS0_14default_configEdN2at4cuda3cub6detail10OpaqueTypeILi8EEEEEPdSC_PSA_SD_jNS1_19radix_merge_compareILb1ELb0EdNS0_19identity_decomposerEEEEEvT0_T1_T2_T3_T4_SL_T5_
; %bb.0:
	s_load_dwordx2 s[16:17], s[4:5], 0x20
	s_waitcnt lgkmcnt(0)
	s_lshr_b32 s2, s16, 8
	s_cmp_lg_u32 s6, s2
	s_cselect_b64 s[0:1], -1, 0
	s_cmp_eq_u32 s6, s2
	s_cselect_b64 s[18:19], -1, 0
	s_lshl_b32 s20, s6, 8
	s_sub_i32 s2, s16, s20
	v_cmp_gt_u32_e64 s[2:3], s2, v0
	s_or_b64 s[0:1], s[0:1], s[2:3]
	s_and_saveexec_b64 s[8:9], s[0:1]
	s_cbranch_execz .LBB144_26
; %bb.1:
	s_load_dwordx8 s[8:15], s[4:5], 0x0
	s_mov_b32 s21, 0
	s_lshl_b64 s[0:1], s[20:21], 3
	v_lshlrev_b32_e32 v1, 3, v0
	v_add_u32_e32 v6, s20, v0
	s_waitcnt lgkmcnt(0)
	s_add_u32 s4, s8, s0
	s_addc_u32 s5, s9, s1
	s_add_u32 s0, s12, s0
	s_addc_u32 s1, s13, s1
	global_load_dwordx2 v[2:3], v1, s[0:1]
	global_load_dwordx2 v[4:5], v1, s[4:5]
	s_lshr_b32 s0, s17, 8
	s_sub_i32 s1, 0, s0
	s_and_b32 s1, s6, s1
	s_and_b32 s0, s1, s0
	s_lshl_b32 s22, s1, 8
	s_sub_i32 s6, 0, s17
	s_cmp_eq_u32 s0, 0
	s_cselect_b64 s[0:1], -1, 0
	s_and_b64 s[4:5], s[0:1], exec
	s_cselect_b32 s21, s17, s6
	s_add_i32 s21, s21, s22
	s_cmp_lt_u32 s21, s16
	s_cbranch_scc1 .LBB144_6
; %bb.2:
	s_and_b64 vcc, exec, s[18:19]
	s_cbranch_vccz .LBB144_7
; %bb.3:
	v_cmp_gt_u32_e32 vcc, s16, v6
	s_mov_b64 s[6:7], 0
	s_mov_b64 s[4:5], 0
                                        ; implicit-def: $vgpr0_vgpr1
	s_and_saveexec_b64 s[12:13], vcc
	s_cbranch_execz .LBB144_5
; %bb.4:
	v_mov_b32_e32 v7, 0
	v_lshlrev_b64 v[8:9], 3, v[6:7]
	v_mov_b32_e32 v1, s15
	v_add_co_u32_e32 v0, vcc, s14, v8
	v_addc_co_u32_e32 v1, vcc, v1, v9, vcc
	v_mov_b32_e32 v7, s11
	v_add_co_u32_e32 v8, vcc, s10, v8
	s_mov_b64 s[4:5], exec
	v_addc_co_u32_e32 v9, vcc, v7, v9, vcc
	s_waitcnt vmcnt(0)
	global_store_dwordx2 v[8:9], v[4:5], off
.LBB144_5:
	s_or_b64 exec, exec, s[12:13]
	s_and_b64 vcc, exec, s[6:7]
	s_cbranch_vccnz .LBB144_8
	s_branch .LBB144_9
.LBB144_6:
	s_mov_b64 s[4:5], 0
                                        ; implicit-def: $vgpr0_vgpr1
	s_cbranch_execnz .LBB144_10
	s_branch .LBB144_24
.LBB144_7:
	s_mov_b64 s[4:5], 0
                                        ; implicit-def: $vgpr0_vgpr1
	s_cbranch_execz .LBB144_9
.LBB144_8:
	v_mov_b32_e32 v7, 0
	v_lshlrev_b64 v[0:1], 3, v[6:7]
	v_mov_b32_e32 v7, s11
	v_add_co_u32_e32 v8, vcc, s10, v0
	v_addc_co_u32_e32 v9, vcc, v7, v1, vcc
	v_mov_b32_e32 v7, s15
	v_add_co_u32_e32 v0, vcc, s14, v0
	v_addc_co_u32_e32 v1, vcc, v7, v1, vcc
	s_or_b64 s[4:5], s[4:5], exec
	s_waitcnt vmcnt(0)
	global_store_dwordx2 v[8:9], v[4:5], off
.LBB144_9:
	s_branch .LBB144_24
.LBB144_10:
	s_min_u32 s20, s21, s16
	s_add_i32 s6, s20, s17
	s_min_u32 s16, s6, s16
	s_min_u32 s6, s22, s20
	s_add_i32 s22, s22, s20
	v_subrev_u32_e32 v0, s22, v6
	v_add_u32_e32 v8, s6, v0
	s_and_b64 vcc, exec, s[18:19]
	s_cbranch_vccz .LBB144_18
; %bb.11:
                                        ; implicit-def: $vgpr0_vgpr1
	s_and_saveexec_b64 s[6:7], s[2:3]
	s_cbranch_execz .LBB144_17
; %bb.12:
	s_cmp_ge_u32 s21, s16
	v_mov_b32_e32 v9, s20
	s_cbranch_scc1 .LBB144_16
; %bb.13:
	s_mov_b32 s2, 0
	s_brev_b32 s3, 1
	s_waitcnt vmcnt(0)
	v_cmp_ne_u64_e32 vcc, s[2:3], v[4:5]
	v_cndmask_b32_e32 v1, 0, v5, vcc
	v_cndmask_b32_e32 v0, 0, v4, vcc
	v_bfrev_b32_e32 v10, 1
	v_cmp_lt_i64_e32 vcc, -1, v[0:1]
	v_cndmask_b32_e32 v6, -1, v10, vcc
	v_ashrrev_i32_e32 v7, 31, v1
	v_xor_b32_e32 v1, v6, v1
	v_xor_b32_e32 v0, v7, v0
	s_mov_b64 s[12:13], 0
	v_mov_b32_e32 v11, s16
	v_mov_b32_e32 v9, s20
	v_mov_b32_e32 v7, 0
	v_mov_b32_e32 v12, s9
.LBB144_14:                             ; =>This Inner Loop Header: Depth=1
	v_add_u32_e32 v6, v9, v11
	v_lshrrev_b32_e32 v6, 1, v6
	v_lshlrev_b64 v[14:15], 3, v[6:7]
	v_add_co_u32_e32 v14, vcc, s8, v14
	v_addc_co_u32_e32 v15, vcc, v12, v15, vcc
	global_load_dwordx2 v[14:15], v[14:15], off
	v_add_u32_e32 v13, 1, v6
	s_waitcnt vmcnt(0)
	v_cmp_ne_u64_e32 vcc, s[2:3], v[14:15]
	v_cndmask_b32_e32 v15, 0, v15, vcc
	v_cndmask_b32_e32 v14, 0, v14, vcc
	v_cmp_lt_i64_e32 vcc, -1, v[14:15]
	v_ashrrev_i32_e32 v16, 31, v15
	v_cndmask_b32_e32 v17, -1, v10, vcc
	v_xor_b32_e32 v14, v16, v14
	v_xor_b32_e32 v15, v17, v15
	v_cmp_gt_u64_e32 vcc, v[14:15], v[0:1]
	v_cndmask_b32_e64 v16, 0, 1, vcc
	v_cmp_le_u64_e32 vcc, v[0:1], v[14:15]
	v_cndmask_b32_e64 v14, 0, 1, vcc
	v_cndmask_b32_e64 v14, v14, v16, s[0:1]
	v_and_b32_e32 v14, 1, v14
	v_cmp_eq_u32_e32 vcc, 1, v14
	v_cndmask_b32_e32 v11, v6, v11, vcc
	v_cndmask_b32_e32 v9, v9, v13, vcc
	v_cmp_ge_u32_e32 vcc, v9, v11
	s_or_b64 s[12:13], vcc, s[12:13]
	s_andn2_b64 exec, exec, s[12:13]
	s_cbranch_execnz .LBB144_14
; %bb.15:
	s_or_b64 exec, exec, s[12:13]
.LBB144_16:
	v_add_u32_e32 v0, v9, v8
	v_mov_b32_e32 v1, 0
	v_lshlrev_b64 v[0:1], 3, v[0:1]
	v_mov_b32_e32 v7, s11
	v_add_co_u32_e32 v6, vcc, s10, v0
	v_addc_co_u32_e32 v7, vcc, v7, v1, vcc
	s_waitcnt vmcnt(0)
	global_store_dwordx2 v[6:7], v[4:5], off
	v_mov_b32_e32 v6, s15
	v_add_co_u32_e32 v0, vcc, s14, v0
	v_addc_co_u32_e32 v1, vcc, v6, v1, vcc
	s_or_b64 s[4:5], s[4:5], exec
.LBB144_17:
	s_or_b64 exec, exec, s[6:7]
	s_branch .LBB144_24
.LBB144_18:
                                        ; implicit-def: $vgpr0_vgpr1
	s_cbranch_execz .LBB144_24
; %bb.19:
	s_cmp_ge_u32 s21, s16
	v_mov_b32_e32 v9, s20
	s_cbranch_scc1 .LBB144_23
; %bb.20:
	s_mov_b32 s2, 0
	s_brev_b32 s3, 1
	s_waitcnt vmcnt(0)
	v_cmp_ne_u64_e32 vcc, s[2:3], v[4:5]
	v_cndmask_b32_e32 v1, 0, v5, vcc
	v_cndmask_b32_e32 v0, 0, v4, vcc
	v_bfrev_b32_e32 v10, 1
	v_cmp_lt_i64_e32 vcc, -1, v[0:1]
	v_cndmask_b32_e32 v6, -1, v10, vcc
	v_ashrrev_i32_e32 v7, 31, v1
	v_xor_b32_e32 v1, v6, v1
	v_xor_b32_e32 v0, v7, v0
	s_mov_b64 s[4:5], 0
	v_mov_b32_e32 v11, s16
	v_mov_b32_e32 v9, s20
	;; [unrolled: 1-line block ×4, first 2 shown]
.LBB144_21:                             ; =>This Inner Loop Header: Depth=1
	v_add_u32_e32 v6, v9, v11
	v_lshrrev_b32_e32 v6, 1, v6
	v_lshlrev_b64 v[14:15], 3, v[6:7]
	v_add_co_u32_e32 v14, vcc, s8, v14
	v_addc_co_u32_e32 v15, vcc, v12, v15, vcc
	global_load_dwordx2 v[14:15], v[14:15], off
	v_add_u32_e32 v13, 1, v6
	s_waitcnt vmcnt(0)
	v_cmp_ne_u64_e32 vcc, s[2:3], v[14:15]
	v_cndmask_b32_e32 v15, 0, v15, vcc
	v_cndmask_b32_e32 v14, 0, v14, vcc
	v_cmp_lt_i64_e32 vcc, -1, v[14:15]
	v_ashrrev_i32_e32 v16, 31, v15
	v_cndmask_b32_e32 v17, -1, v10, vcc
	v_xor_b32_e32 v14, v16, v14
	v_xor_b32_e32 v15, v17, v15
	v_cmp_gt_u64_e32 vcc, v[14:15], v[0:1]
	v_cndmask_b32_e64 v16, 0, 1, vcc
	v_cmp_le_u64_e32 vcc, v[0:1], v[14:15]
	v_cndmask_b32_e64 v14, 0, 1, vcc
	v_cndmask_b32_e64 v14, v14, v16, s[0:1]
	v_and_b32_e32 v14, 1, v14
	v_cmp_eq_u32_e32 vcc, 1, v14
	v_cndmask_b32_e32 v11, v6, v11, vcc
	v_cndmask_b32_e32 v9, v9, v13, vcc
	v_cmp_ge_u32_e32 vcc, v9, v11
	s_or_b64 s[4:5], vcc, s[4:5]
	s_andn2_b64 exec, exec, s[4:5]
	s_cbranch_execnz .LBB144_21
; %bb.22:
	s_or_b64 exec, exec, s[4:5]
.LBB144_23:
	v_add_u32_e32 v0, v9, v8
	v_mov_b32_e32 v1, 0
	v_lshlrev_b64 v[0:1], 3, v[0:1]
	v_mov_b32_e32 v7, s11
	v_add_co_u32_e32 v6, vcc, s10, v0
	v_addc_co_u32_e32 v7, vcc, v7, v1, vcc
	s_waitcnt vmcnt(0)
	global_store_dwordx2 v[6:7], v[4:5], off
	v_mov_b32_e32 v4, s15
	v_add_co_u32_e32 v0, vcc, s14, v0
	v_addc_co_u32_e32 v1, vcc, v4, v1, vcc
	s_mov_b64 s[4:5], -1
.LBB144_24:
	s_and_b64 exec, exec, s[4:5]
	s_cbranch_execz .LBB144_26
; %bb.25:
	s_waitcnt vmcnt(1)
	global_store_dwordx2 v[0:1], v[2:3], off
.LBB144_26:
	s_endpgm
	.section	.rodata,"a",@progbits
	.p2align	6, 0x0
	.amdhsa_kernel _ZN7rocprim17ROCPRIM_304000_NS6detail33device_block_merge_oddeven_kernelINS1_37wrapped_merge_sort_block_merge_configINS0_14default_configEdN2at4cuda3cub6detail10OpaqueTypeILi8EEEEEPdSC_PSA_SD_jNS1_19radix_merge_compareILb1ELb0EdNS0_19identity_decomposerEEEEEvT0_T1_T2_T3_T4_SL_T5_
		.amdhsa_group_segment_fixed_size 0
		.amdhsa_private_segment_fixed_size 0
		.amdhsa_kernarg_size 44
		.amdhsa_user_sgpr_count 6
		.amdhsa_user_sgpr_private_segment_buffer 1
		.amdhsa_user_sgpr_dispatch_ptr 0
		.amdhsa_user_sgpr_queue_ptr 0
		.amdhsa_user_sgpr_kernarg_segment_ptr 1
		.amdhsa_user_sgpr_dispatch_id 0
		.amdhsa_user_sgpr_flat_scratch_init 0
		.amdhsa_user_sgpr_kernarg_preload_length 0
		.amdhsa_user_sgpr_kernarg_preload_offset 0
		.amdhsa_user_sgpr_private_segment_size 0
		.amdhsa_uses_dynamic_stack 0
		.amdhsa_system_sgpr_private_segment_wavefront_offset 0
		.amdhsa_system_sgpr_workgroup_id_x 1
		.amdhsa_system_sgpr_workgroup_id_y 0
		.amdhsa_system_sgpr_workgroup_id_z 0
		.amdhsa_system_sgpr_workgroup_info 0
		.amdhsa_system_vgpr_workitem_id 0
		.amdhsa_next_free_vgpr 18
		.amdhsa_next_free_sgpr 23
		.amdhsa_accum_offset 20
		.amdhsa_reserve_vcc 1
		.amdhsa_reserve_flat_scratch 0
		.amdhsa_float_round_mode_32 0
		.amdhsa_float_round_mode_16_64 0
		.amdhsa_float_denorm_mode_32 3
		.amdhsa_float_denorm_mode_16_64 3
		.amdhsa_dx10_clamp 1
		.amdhsa_ieee_mode 1
		.amdhsa_fp16_overflow 0
		.amdhsa_tg_split 0
		.amdhsa_exception_fp_ieee_invalid_op 0
		.amdhsa_exception_fp_denorm_src 0
		.amdhsa_exception_fp_ieee_div_zero 0
		.amdhsa_exception_fp_ieee_overflow 0
		.amdhsa_exception_fp_ieee_underflow 0
		.amdhsa_exception_fp_ieee_inexact 0
		.amdhsa_exception_int_div_zero 0
	.end_amdhsa_kernel
	.section	.text._ZN7rocprim17ROCPRIM_304000_NS6detail33device_block_merge_oddeven_kernelINS1_37wrapped_merge_sort_block_merge_configINS0_14default_configEdN2at4cuda3cub6detail10OpaqueTypeILi8EEEEEPdSC_PSA_SD_jNS1_19radix_merge_compareILb1ELb0EdNS0_19identity_decomposerEEEEEvT0_T1_T2_T3_T4_SL_T5_,"axG",@progbits,_ZN7rocprim17ROCPRIM_304000_NS6detail33device_block_merge_oddeven_kernelINS1_37wrapped_merge_sort_block_merge_configINS0_14default_configEdN2at4cuda3cub6detail10OpaqueTypeILi8EEEEEPdSC_PSA_SD_jNS1_19radix_merge_compareILb1ELb0EdNS0_19identity_decomposerEEEEEvT0_T1_T2_T3_T4_SL_T5_,comdat
.Lfunc_end144:
	.size	_ZN7rocprim17ROCPRIM_304000_NS6detail33device_block_merge_oddeven_kernelINS1_37wrapped_merge_sort_block_merge_configINS0_14default_configEdN2at4cuda3cub6detail10OpaqueTypeILi8EEEEEPdSC_PSA_SD_jNS1_19radix_merge_compareILb1ELb0EdNS0_19identity_decomposerEEEEEvT0_T1_T2_T3_T4_SL_T5_, .Lfunc_end144-_ZN7rocprim17ROCPRIM_304000_NS6detail33device_block_merge_oddeven_kernelINS1_37wrapped_merge_sort_block_merge_configINS0_14default_configEdN2at4cuda3cub6detail10OpaqueTypeILi8EEEEEPdSC_PSA_SD_jNS1_19radix_merge_compareILb1ELb0EdNS0_19identity_decomposerEEEEEvT0_T1_T2_T3_T4_SL_T5_
                                        ; -- End function
	.section	.AMDGPU.csdata,"",@progbits
; Kernel info:
; codeLenInByte = 976
; NumSgprs: 27
; NumVgprs: 18
; NumAgprs: 0
; TotalNumVgprs: 18
; ScratchSize: 0
; MemoryBound: 0
; FloatMode: 240
; IeeeMode: 1
; LDSByteSize: 0 bytes/workgroup (compile time only)
; SGPRBlocks: 3
; VGPRBlocks: 2
; NumSGPRsForWavesPerEU: 27
; NumVGPRsForWavesPerEU: 18
; AccumOffset: 20
; Occupancy: 8
; WaveLimiterHint : 0
; COMPUTE_PGM_RSRC2:SCRATCH_EN: 0
; COMPUTE_PGM_RSRC2:USER_SGPR: 6
; COMPUTE_PGM_RSRC2:TRAP_HANDLER: 0
; COMPUTE_PGM_RSRC2:TGID_X_EN: 1
; COMPUTE_PGM_RSRC2:TGID_Y_EN: 0
; COMPUTE_PGM_RSRC2:TGID_Z_EN: 0
; COMPUTE_PGM_RSRC2:TIDIG_COMP_CNT: 0
; COMPUTE_PGM_RSRC3_GFX90A:ACCUM_OFFSET: 4
; COMPUTE_PGM_RSRC3_GFX90A:TG_SPLIT: 0
	.section	.text._ZN7rocprim17ROCPRIM_304000_NS6detail16transform_kernelINS1_24wrapped_transform_configINS0_14default_configEdEEdPdS6_NS0_8identityIdEEEEvT1_mT2_T3_,"axG",@progbits,_ZN7rocprim17ROCPRIM_304000_NS6detail16transform_kernelINS1_24wrapped_transform_configINS0_14default_configEdEEdPdS6_NS0_8identityIdEEEEvT1_mT2_T3_,comdat
	.protected	_ZN7rocprim17ROCPRIM_304000_NS6detail16transform_kernelINS1_24wrapped_transform_configINS0_14default_configEdEEdPdS6_NS0_8identityIdEEEEvT1_mT2_T3_ ; -- Begin function _ZN7rocprim17ROCPRIM_304000_NS6detail16transform_kernelINS1_24wrapped_transform_configINS0_14default_configEdEEdPdS6_NS0_8identityIdEEEEvT1_mT2_T3_
	.globl	_ZN7rocprim17ROCPRIM_304000_NS6detail16transform_kernelINS1_24wrapped_transform_configINS0_14default_configEdEEdPdS6_NS0_8identityIdEEEEvT1_mT2_T3_
	.p2align	8
	.type	_ZN7rocprim17ROCPRIM_304000_NS6detail16transform_kernelINS1_24wrapped_transform_configINS0_14default_configEdEEdPdS6_NS0_8identityIdEEEEvT1_mT2_T3_,@function
_ZN7rocprim17ROCPRIM_304000_NS6detail16transform_kernelINS1_24wrapped_transform_configINS0_14default_configEdEEdPdS6_NS0_8identityIdEEEEvT1_mT2_T3_: ; @_ZN7rocprim17ROCPRIM_304000_NS6detail16transform_kernelINS1_24wrapped_transform_configINS0_14default_configEdEEdPdS6_NS0_8identityIdEEEEvT1_mT2_T3_
; %bb.0:
	s_load_dword s7, s[4:5], 0x20
	s_load_dwordx4 s[0:3], s[4:5], 0x0
	s_load_dwordx2 s[8:9], s[4:5], 0x10
	s_lshl_b32 s10, s6, 9
	s_mov_b32 s11, 0
	s_waitcnt lgkmcnt(0)
	s_add_i32 s7, s7, -1
	s_lshl_b64 s[4:5], s[10:11], 3
	s_add_u32 s0, s0, s4
	s_addc_u32 s1, s1, s5
	v_lshlrev_b32_e32 v1, 3, v0
	v_mov_b32_e32 v2, s1
	v_add_co_u32_e32 v6, vcc, s0, v1
	s_cmp_lg_u32 s6, s7
	v_addc_co_u32_e32 v7, vcc, 0, v2, vcc
	s_cbranch_scc0 .LBB145_2
; %bb.1:
	global_load_dwordx2 v[2:3], v[6:7], off
	global_load_dwordx2 v[4:5], v[6:7], off offset:2048
	s_add_u32 s6, s8, s4
	s_addc_u32 s7, s9, s5
	s_waitcnt vmcnt(1)
	global_store_dwordx2 v1, v[2:3], s[6:7]
	s_mov_b64 s[6:7], -1
	s_cbranch_execz .LBB145_3
	s_branch .LBB145_10
.LBB145_2:
	s_mov_b64 s[6:7], 0
                                        ; implicit-def: $vgpr4_vgpr5
.LBB145_3:
	s_sub_i32 s2, s2, s10
	v_cmp_gt_u32_e32 vcc, s2, v0
                                        ; implicit-def: $vgpr2_vgpr3_vgpr4_vgpr5
	s_and_saveexec_b64 s[0:1], vcc
	s_cbranch_execz .LBB145_5
; %bb.4:
	global_load_dwordx2 v[2:3], v[6:7], off
.LBB145_5:
	s_or_b64 exec, exec, s[0:1]
	v_or_b32_e32 v0, 0x100, v0
	v_cmp_gt_u32_e64 s[0:1], s2, v0
	s_and_saveexec_b64 s[2:3], s[0:1]
	s_cbranch_execnz .LBB145_13
; %bb.6:
	s_or_b64 exec, exec, s[2:3]
	s_and_saveexec_b64 s[2:3], vcc
	s_cbranch_execnz .LBB145_14
.LBB145_7:
	s_or_b64 exec, exec, s[2:3]
	s_and_saveexec_b64 s[2:3], s[0:1]
.LBB145_8:
	s_or_b64 s[6:7], s[6:7], exec
.LBB145_9:
	s_or_b64 exec, exec, s[2:3]
.LBB145_10:
	s_and_saveexec_b64 s[0:1], s[6:7]
	s_cbranch_execnz .LBB145_12
; %bb.11:
	s_endpgm
.LBB145_12:
	s_add_u32 s0, s8, s4
	s_addc_u32 s1, s9, s5
	s_waitcnt vmcnt(0)
	global_store_dwordx2 v1, v[4:5], s[0:1] offset:2048
	s_endpgm
.LBB145_13:
	global_load_dwordx2 v[4:5], v[6:7], off offset:2048
	s_or_b64 exec, exec, s[2:3]
	s_and_saveexec_b64 s[2:3], vcc
	s_cbranch_execz .LBB145_7
.LBB145_14:
	s_add_u32 s10, s8, s4
	s_addc_u32 s11, s9, s5
	s_waitcnt vmcnt(0)
	global_store_dwordx2 v1, v[2:3], s[10:11]
	s_or_b64 exec, exec, s[2:3]
	s_and_saveexec_b64 s[2:3], s[0:1]
	s_cbranch_execnz .LBB145_8
	s_branch .LBB145_9
	.section	.rodata,"a",@progbits
	.p2align	6, 0x0
	.amdhsa_kernel _ZN7rocprim17ROCPRIM_304000_NS6detail16transform_kernelINS1_24wrapped_transform_configINS0_14default_configEdEEdPdS6_NS0_8identityIdEEEEvT1_mT2_T3_
		.amdhsa_group_segment_fixed_size 0
		.amdhsa_private_segment_fixed_size 0
		.amdhsa_kernarg_size 288
		.amdhsa_user_sgpr_count 6
		.amdhsa_user_sgpr_private_segment_buffer 1
		.amdhsa_user_sgpr_dispatch_ptr 0
		.amdhsa_user_sgpr_queue_ptr 0
		.amdhsa_user_sgpr_kernarg_segment_ptr 1
		.amdhsa_user_sgpr_dispatch_id 0
		.amdhsa_user_sgpr_flat_scratch_init 0
		.amdhsa_user_sgpr_kernarg_preload_length 0
		.amdhsa_user_sgpr_kernarg_preload_offset 0
		.amdhsa_user_sgpr_private_segment_size 0
		.amdhsa_uses_dynamic_stack 0
		.amdhsa_system_sgpr_private_segment_wavefront_offset 0
		.amdhsa_system_sgpr_workgroup_id_x 1
		.amdhsa_system_sgpr_workgroup_id_y 0
		.amdhsa_system_sgpr_workgroup_id_z 0
		.amdhsa_system_sgpr_workgroup_info 0
		.amdhsa_system_vgpr_workitem_id 0
		.amdhsa_next_free_vgpr 8
		.amdhsa_next_free_sgpr 12
		.amdhsa_accum_offset 8
		.amdhsa_reserve_vcc 1
		.amdhsa_reserve_flat_scratch 0
		.amdhsa_float_round_mode_32 0
		.amdhsa_float_round_mode_16_64 0
		.amdhsa_float_denorm_mode_32 3
		.amdhsa_float_denorm_mode_16_64 3
		.amdhsa_dx10_clamp 1
		.amdhsa_ieee_mode 1
		.amdhsa_fp16_overflow 0
		.amdhsa_tg_split 0
		.amdhsa_exception_fp_ieee_invalid_op 0
		.amdhsa_exception_fp_denorm_src 0
		.amdhsa_exception_fp_ieee_div_zero 0
		.amdhsa_exception_fp_ieee_overflow 0
		.amdhsa_exception_fp_ieee_underflow 0
		.amdhsa_exception_fp_ieee_inexact 0
		.amdhsa_exception_int_div_zero 0
	.end_amdhsa_kernel
	.section	.text._ZN7rocprim17ROCPRIM_304000_NS6detail16transform_kernelINS1_24wrapped_transform_configINS0_14default_configEdEEdPdS6_NS0_8identityIdEEEEvT1_mT2_T3_,"axG",@progbits,_ZN7rocprim17ROCPRIM_304000_NS6detail16transform_kernelINS1_24wrapped_transform_configINS0_14default_configEdEEdPdS6_NS0_8identityIdEEEEvT1_mT2_T3_,comdat
.Lfunc_end145:
	.size	_ZN7rocprim17ROCPRIM_304000_NS6detail16transform_kernelINS1_24wrapped_transform_configINS0_14default_configEdEEdPdS6_NS0_8identityIdEEEEvT1_mT2_T3_, .Lfunc_end145-_ZN7rocprim17ROCPRIM_304000_NS6detail16transform_kernelINS1_24wrapped_transform_configINS0_14default_configEdEEdPdS6_NS0_8identityIdEEEEvT1_mT2_T3_
                                        ; -- End function
	.section	.AMDGPU.csdata,"",@progbits
; Kernel info:
; codeLenInByte = 300
; NumSgprs: 16
; NumVgprs: 8
; NumAgprs: 0
; TotalNumVgprs: 8
; ScratchSize: 0
; MemoryBound: 1
; FloatMode: 240
; IeeeMode: 1
; LDSByteSize: 0 bytes/workgroup (compile time only)
; SGPRBlocks: 1
; VGPRBlocks: 0
; NumSGPRsForWavesPerEU: 16
; NumVGPRsForWavesPerEU: 8
; AccumOffset: 8
; Occupancy: 8
; WaveLimiterHint : 1
; COMPUTE_PGM_RSRC2:SCRATCH_EN: 0
; COMPUTE_PGM_RSRC2:USER_SGPR: 6
; COMPUTE_PGM_RSRC2:TRAP_HANDLER: 0
; COMPUTE_PGM_RSRC2:TGID_X_EN: 1
; COMPUTE_PGM_RSRC2:TGID_Y_EN: 0
; COMPUTE_PGM_RSRC2:TGID_Z_EN: 0
; COMPUTE_PGM_RSRC2:TIDIG_COMP_CNT: 0
; COMPUTE_PGM_RSRC3_GFX90A:ACCUM_OFFSET: 1
; COMPUTE_PGM_RSRC3_GFX90A:TG_SPLIT: 0
	.section	.text._ZN7rocprim17ROCPRIM_304000_NS6detail26onesweep_histograms_kernelINS1_34wrapped_radix_sort_onesweep_configINS0_14default_configEdN2at4cuda3cub6detail10OpaqueTypeILi8EEEEELb1EPKdmNS0_19identity_decomposerEEEvT1_PT2_SG_SG_T3_jj,"axG",@progbits,_ZN7rocprim17ROCPRIM_304000_NS6detail26onesweep_histograms_kernelINS1_34wrapped_radix_sort_onesweep_configINS0_14default_configEdN2at4cuda3cub6detail10OpaqueTypeILi8EEEEELb1EPKdmNS0_19identity_decomposerEEEvT1_PT2_SG_SG_T3_jj,comdat
	.protected	_ZN7rocprim17ROCPRIM_304000_NS6detail26onesweep_histograms_kernelINS1_34wrapped_radix_sort_onesweep_configINS0_14default_configEdN2at4cuda3cub6detail10OpaqueTypeILi8EEEEELb1EPKdmNS0_19identity_decomposerEEEvT1_PT2_SG_SG_T3_jj ; -- Begin function _ZN7rocprim17ROCPRIM_304000_NS6detail26onesweep_histograms_kernelINS1_34wrapped_radix_sort_onesweep_configINS0_14default_configEdN2at4cuda3cub6detail10OpaqueTypeILi8EEEEELb1EPKdmNS0_19identity_decomposerEEEvT1_PT2_SG_SG_T3_jj
	.globl	_ZN7rocprim17ROCPRIM_304000_NS6detail26onesweep_histograms_kernelINS1_34wrapped_radix_sort_onesweep_configINS0_14default_configEdN2at4cuda3cub6detail10OpaqueTypeILi8EEEEELb1EPKdmNS0_19identity_decomposerEEEvT1_PT2_SG_SG_T3_jj
	.p2align	8
	.type	_ZN7rocprim17ROCPRIM_304000_NS6detail26onesweep_histograms_kernelINS1_34wrapped_radix_sort_onesweep_configINS0_14default_configEdN2at4cuda3cub6detail10OpaqueTypeILi8EEEEELb1EPKdmNS0_19identity_decomposerEEEvT1_PT2_SG_SG_T3_jj,@function
_ZN7rocprim17ROCPRIM_304000_NS6detail26onesweep_histograms_kernelINS1_34wrapped_radix_sort_onesweep_configINS0_14default_configEdN2at4cuda3cub6detail10OpaqueTypeILi8EEEEELb1EPKdmNS0_19identity_decomposerEEEvT1_PT2_SG_SG_T3_jj: ; @_ZN7rocprim17ROCPRIM_304000_NS6detail26onesweep_histograms_kernelINS1_34wrapped_radix_sort_onesweep_configINS0_14default_configEdN2at4cuda3cub6detail10OpaqueTypeILi8EEEEELb1EPKdmNS0_19identity_decomposerEEEvT1_PT2_SG_SG_T3_jj
; %bb.0:
	s_load_dwordx8 s[12:19], s[4:5], 0x0
	s_load_dwordx2 s[20:21], s[4:5], 0x24
	s_mov_b32 s7, 0
	s_mul_i32 s1, s6, 0xc000
	s_mul_hi_u32 s0, s6, 0xc000
	s_waitcnt lgkmcnt(0)
	v_pk_mov_b32 v[2:3], s[18:19], s[18:19] op_sel:[0,1]
	v_cmp_ge_u64_e32 vcc, s[6:7], v[2:3]
	s_add_u32 s12, s12, s1
	s_addc_u32 s13, s13, s0
	s_mov_b64 s[0:1], -1
	v_lshlrev_b32_e32 v16, 3, v0
	s_cbranch_vccz .LBB146_44
; %bb.1:
	s_mul_i32 s0, s18, 0xffffe800
	s_add_i32 s16, s0, s16
	v_mov_b32_e32 v1, s13
	v_add_co_u32_e32 v14, vcc, s12, v16
	v_addc_co_u32_e32 v15, vcc, 0, v1, vcc
	v_cmp_gt_u32_e64 s[10:11], s16, v0
                                        ; implicit-def: $vgpr12_vgpr13
	s_and_saveexec_b64 s[0:1], s[10:11]
	s_cbranch_execz .LBB146_3
; %bb.2:
	global_load_dwordx2 v[12:13], v[14:15], off
.LBB146_3:
	s_or_b64 exec, exec, s[0:1]
	v_or_b32_e32 v1, 0x400, v0
	v_cmp_gt_u32_e64 s[8:9], s16, v1
                                        ; implicit-def: $vgpr10_vgpr11
	s_and_saveexec_b64 s[0:1], s[8:9]
	s_cbranch_execz .LBB146_5
; %bb.4:
	v_add_co_u32_e32 v2, vcc, 0x2000, v14
	v_addc_co_u32_e32 v3, vcc, 0, v15, vcc
	global_load_dwordx2 v[10:11], v[2:3], off
.LBB146_5:
	s_or_b64 exec, exec, s[0:1]
	v_or_b32_e32 v1, 0x800, v0
	v_cmp_gt_u32_e64 s[6:7], s16, v1
                                        ; implicit-def: $vgpr8_vgpr9
	s_and_saveexec_b64 s[0:1], s[6:7]
	s_cbranch_execz .LBB146_7
; %bb.6:
	v_add_co_u32_e32 v2, vcc, 0x4000, v14
	v_addc_co_u32_e32 v3, vcc, 0, v15, vcc
	global_load_dwordx2 v[8:9], v[2:3], off
.LBB146_7:
	s_or_b64 exec, exec, s[0:1]
	v_or_b32_e32 v1, 0xc00, v0
	v_cmp_gt_u32_e64 s[4:5], s16, v1
                                        ; implicit-def: $vgpr6_vgpr7
	s_and_saveexec_b64 s[0:1], s[4:5]
	s_cbranch_execz .LBB146_9
; %bb.8:
	v_add_co_u32_e32 v2, vcc, 0x6000, v14
	v_addc_co_u32_e32 v3, vcc, 0, v15, vcc
	global_load_dwordx2 v[6:7], v[2:3], off
.LBB146_9:
	s_or_b64 exec, exec, s[0:1]
	v_or_b32_e32 v1, 0x1000, v0
	v_cmp_gt_u32_e64 s[2:3], s16, v1
                                        ; implicit-def: $vgpr4_vgpr5
	s_and_saveexec_b64 s[0:1], s[2:3]
	s_cbranch_execz .LBB146_11
; %bb.10:
	v_add_co_u32_e32 v2, vcc, 0x8000, v14
	v_addc_co_u32_e32 v3, vcc, 0, v15, vcc
	global_load_dwordx2 v[4:5], v[2:3], off
.LBB146_11:
	s_or_b64 exec, exec, s[0:1]
	v_or_b32_e32 v1, 0x1400, v0
	v_cmp_gt_u32_e64 s[0:1], s16, v1
                                        ; implicit-def: $vgpr2_vgpr3
	s_and_saveexec_b64 s[16:17], s[0:1]
	s_cbranch_execz .LBB146_13
; %bb.12:
	v_add_co_u32_e32 v2, vcc, 0xa000, v14
	v_addc_co_u32_e32 v3, vcc, 0, v15, vcc
	global_load_dwordx2 v[2:3], v[2:3], off
.LBB146_13:
	s_or_b64 exec, exec, s[16:17]
	s_cmp_gt_u32 s21, s20
	v_lshlrev_b32_e32 v1, 2, v0
	v_mov_b32_e32 v14, 0
	s_cselect_b64 s[16:17], -1, 0
	s_cmp_le_u32 s21, s20
	ds_write2st64_b32 v1, v14, v14 offset1:16
	ds_write2st64_b32 v1, v14, v14 offset0:32 offset1:48
	ds_write2st64_b32 v1, v14, v14 offset0:64 offset1:80
	;; [unrolled: 1-line block ×3, first 2 shown]
	s_waitcnt lgkmcnt(0)
	s_barrier
	s_cbranch_scc1 .LBB146_38
; %bb.14:
	v_bfrev_b32_e32 v14, -2
	s_waitcnt vmcnt(0)
	v_cmp_gt_i64_e32 vcc, 0, v[12:13]
	v_ashrrev_i32_e32 v17, 31, v13
	s_mov_b32 s18, 0
	v_cndmask_b32_e64 v15, v14, 0, vcc
	v_not_b32_e32 v17, v17
	v_and_b32_e32 v1, 3, v0
	s_brev_b32 s19, 1
	v_xor_b32_e32 v13, v15, v13
	v_xor_b32_e32 v12, v17, v12
	v_cmp_ne_u64_e32 vcc, s[18:19], v[12:13]
	v_lshlrev_b32_e32 v1, 2, v1
	s_sub_i32 s22, s21, s20
	v_cndmask_b32_e32 v13, v14, v13, vcc
	v_cndmask_b32_e32 v12, -1, v12, vcc
	v_mov_b32_e32 v14, 1
	s_mov_b32 s23, s22
	v_mov_b32_e32 v15, v1
	s_mov_b32 s24, s20
	s_branch .LBB146_16
.LBB146_15:                             ;   in Loop: Header=BB146_16 Depth=1
	s_or_b64 exec, exec, s[18:19]
	s_add_i32 s24, s24, 8
	s_add_i32 s23, s23, -8
	s_cmp_ge_u32 s24, s21
	v_add_u32_e32 v15, 0x1000, v15
	s_cbranch_scc1 .LBB146_18
.LBB146_16:                             ; =>This Inner Loop Header: Depth=1
	s_and_saveexec_b64 s[18:19], s[10:11]
	s_cbranch_execz .LBB146_15
; %bb.17:                               ;   in Loop: Header=BB146_16 Depth=1
	s_min_u32 s25, s23, 8
	v_lshrrev_b64 v[18:19], s24, v[12:13]
	v_bfe_u32 v17, v18, 0, s25
	v_lshl_add_u32 v17, v17, 4, v15
	ds_add_u32 v17, v14
	s_branch .LBB146_15
.LBB146_18:
	v_bfrev_b32_e32 v12, -2
	v_cmp_gt_i64_e32 vcc, 0, v[10:11]
	v_ashrrev_i32_e32 v14, 31, v11
	s_mov_b32 s10, 0
	v_cndmask_b32_e64 v13, v12, 0, vcc
	v_not_b32_e32 v14, v14
	s_brev_b32 s11, 1
	v_xor_b32_e32 v11, v13, v11
	v_xor_b32_e32 v10, v14, v10
	v_cmp_ne_u64_e32 vcc, s[10:11], v[10:11]
	v_cndmask_b32_e32 v11, v12, v11, vcc
	v_cndmask_b32_e32 v10, -1, v10, vcc
	v_mov_b32_e32 v12, 1
	s_mov_b32 s18, s22
	v_mov_b32_e32 v13, v1
	s_mov_b32 s19, s20
	s_branch .LBB146_20
.LBB146_19:                             ;   in Loop: Header=BB146_20 Depth=1
	s_or_b64 exec, exec, s[10:11]
	s_add_i32 s19, s19, 8
	s_add_i32 s18, s18, -8
	s_cmp_lt_u32 s19, s21
	v_add_u32_e32 v13, 0x1000, v13
	s_cbranch_scc0 .LBB146_22
.LBB146_20:                             ; =>This Inner Loop Header: Depth=1
	s_and_saveexec_b64 s[10:11], s[8:9]
	s_cbranch_execz .LBB146_19
; %bb.21:                               ;   in Loop: Header=BB146_20 Depth=1
	s_min_u32 s23, s18, 8
	v_lshrrev_b64 v[14:15], s19, v[10:11]
	v_bfe_u32 v14, v14, 0, s23
	v_lshl_add_u32 v14, v14, 4, v13
	ds_add_u32 v14, v12
	s_branch .LBB146_19
.LBB146_22:
	v_bfrev_b32_e32 v10, -2
	v_cmp_gt_i64_e32 vcc, 0, v[8:9]
	v_ashrrev_i32_e32 v12, 31, v9
	s_mov_b32 s8, 0
	v_cndmask_b32_e64 v11, v10, 0, vcc
	v_not_b32_e32 v12, v12
	s_brev_b32 s9, 1
	v_xor_b32_e32 v9, v11, v9
	v_xor_b32_e32 v8, v12, v8
	v_cmp_ne_u64_e32 vcc, s[8:9], v[8:9]
	v_cndmask_b32_e32 v9, v10, v9, vcc
	v_cndmask_b32_e32 v8, -1, v8, vcc
	v_mov_b32_e32 v10, 1
	s_mov_b32 s10, s22
	v_mov_b32_e32 v11, v1
	s_mov_b32 s11, s20
	s_branch .LBB146_24
.LBB146_23:                             ;   in Loop: Header=BB146_24 Depth=1
	s_or_b64 exec, exec, s[8:9]
	s_add_i32 s11, s11, 8
	s_add_i32 s10, s10, -8
	s_cmp_lt_u32 s11, s21
	v_add_u32_e32 v11, 0x1000, v11
	s_cbranch_scc0 .LBB146_26
.LBB146_24:                             ; =>This Inner Loop Header: Depth=1
	s_and_saveexec_b64 s[8:9], s[6:7]
	s_cbranch_execz .LBB146_23
; %bb.25:                               ;   in Loop: Header=BB146_24 Depth=1
	s_min_u32 s18, s10, 8
	v_lshrrev_b64 v[12:13], s11, v[8:9]
	v_bfe_u32 v12, v12, 0, s18
	v_lshl_add_u32 v12, v12, 4, v11
	ds_add_u32 v12, v10
	s_branch .LBB146_23
.LBB146_26:
	;; [unrolled: 35-line block ×4, first 2 shown]
	v_bfrev_b32_e32 v4, -2
	v_cmp_gt_i64_e32 vcc, 0, v[2:3]
	v_ashrrev_i32_e32 v6, 31, v3
	s_mov_b32 s2, 0
	v_cndmask_b32_e64 v5, v4, 0, vcc
	v_not_b32_e32 v6, v6
	s_brev_b32 s3, 1
	v_xor_b32_e32 v3, v5, v3
	v_xor_b32_e32 v2, v6, v2
	v_cmp_ne_u64_e32 vcc, s[2:3], v[2:3]
	v_cndmask_b32_e32 v3, v4, v3, vcc
	v_cndmask_b32_e32 v2, -1, v2, vcc
	v_mov_b32_e32 v4, 1
	s_mov_b32 s4, s20
	s_branch .LBB146_36
.LBB146_35:                             ;   in Loop: Header=BB146_36 Depth=1
	s_or_b64 exec, exec, s[2:3]
	s_add_i32 s4, s4, 8
	s_add_i32 s22, s22, -8
	s_cmp_lt_u32 s4, s21
	v_add_u32_e32 v1, 0x1000, v1
	s_cbranch_scc0 .LBB146_38
.LBB146_36:                             ; =>This Inner Loop Header: Depth=1
	s_and_saveexec_b64 s[2:3], s[0:1]
	s_cbranch_execz .LBB146_35
; %bb.37:                               ;   in Loop: Header=BB146_36 Depth=1
	s_min_u32 s5, s22, 8
	v_lshrrev_b64 v[6:7], s4, v[2:3]
	v_bfe_u32 v5, v6, 0, s5
	v_lshl_add_u32 v5, v5, 4, v1
	ds_add_u32 v5, v4
	s_branch .LBB146_35
.LBB146_38:
	s_and_b64 vcc, exec, s[16:17]
	s_waitcnt lgkmcnt(0)
	s_barrier
	s_cbranch_vccz .LBB146_43
; %bb.39:
	s_movk_i32 s0, 0x100
	v_cmp_gt_u32_e32 vcc, s0, v0
	v_lshlrev_b32_e32 v1, 4, v0
	s_waitcnt vmcnt(0)
	v_mov_b32_e32 v3, 0
	v_mov_b32_e32 v2, v0
	s_mov_b32 s4, s20
	s_branch .LBB146_41
.LBB146_40:                             ;   in Loop: Header=BB146_41 Depth=1
	s_or_b64 exec, exec, s[2:3]
	s_add_i32 s4, s4, 8
	v_add_u32_e32 v2, 0x100, v2
	s_cmp_lt_u32 s4, s21
	v_add_u32_e32 v1, 0x1000, v1
	s_cbranch_scc0 .LBB146_43
.LBB146_41:                             ; =>This Inner Loop Header: Depth=1
	s_and_saveexec_b64 s[2:3], vcc
	s_cbranch_execz .LBB146_40
; %bb.42:                               ;   in Loop: Header=BB146_41 Depth=1
	ds_read2_b32 v[4:5], v1 offset1:1
	ds_read2_b32 v[6:7], v1 offset0:2 offset1:3
	v_lshlrev_b64 v[8:9], 3, v[2:3]
	v_mov_b32_e32 v10, s15
	s_waitcnt lgkmcnt(1)
	v_add_u32_e32 v4, v5, v4
	s_waitcnt lgkmcnt(0)
	v_add3_u32 v4, v4, v6, v7
	v_add_co_u32_e64 v6, s[0:1], s14, v8
	v_addc_co_u32_e64 v7, s[0:1], v10, v9, s[0:1]
	v_mov_b32_e32 v5, v3
	global_atomic_add_x2 v[6:7], v[4:5], off
	s_branch .LBB146_40
.LBB146_43:
	s_mov_b64 s[0:1], 0
.LBB146_44:
	s_and_b64 vcc, exec, s[0:1]
	s_cbranch_vccz .LBB146_68
; %bb.45:
	v_mov_b32_e32 v1, s13
	v_add_co_u32_e32 v17, vcc, s12, v16
	v_addc_co_u32_e32 v1, vcc, 0, v1, vcc
	s_waitcnt vmcnt(0)
	v_add_co_u32_e32 v4, vcc, 0x2000, v17
	v_addc_co_u32_e32 v5, vcc, 0, v1, vcc
	v_add_co_u32_e32 v12, vcc, 0x4000, v17
	v_addc_co_u32_e32 v13, vcc, 0, v1, vcc
	;; [unrolled: 2-line block ×4, first 2 shown]
	global_load_dwordx2 v[10:11], v[4:5], off
	global_load_dwordx2 v[8:9], v[12:13], off
	global_load_dwordx2 v[6:7], v[14:15], off
	global_load_dwordx2 v[2:3], v[18:19], off
	v_add_co_u32_e32 v14, vcc, 0xa000, v17
	v_addc_co_u32_e32 v15, vcc, 0, v1, vcc
	global_load_dwordx2 v[12:13], v16, s[12:13]
	global_load_dwordx2 v[4:5], v[14:15], off
	s_cmp_eq_u32 s20, 0
	s_cselect_b64 s[0:1], -1, 0
	s_cmp_eq_u32 s21, 64
	s_cselect_b64 s[2:3], -1, 0
	s_and_b64 s[2:3], s[0:1], s[2:3]
	s_mov_b64 s[0:1], -1
	s_and_b64 vcc, exec, s[2:3]
	v_lshlrev_b32_e32 v17, 2, v0
	s_cbranch_vccnz .LBB146_65
; %bb.46:
	s_cmp_gt_u32 s21, s20
	s_cselect_b64 s[0:1], -1, 0
	v_mov_b32_e32 v1, 0
	s_and_b64 vcc, exec, s[0:1]
	ds_write2st64_b32 v17, v1, v1 offset1:16
	ds_write2st64_b32 v17, v1, v1 offset0:32 offset1:48
	ds_write2st64_b32 v17, v1, v1 offset0:64 offset1:80
	;; [unrolled: 1-line block ×3, first 2 shown]
	s_waitcnt lgkmcnt(0)
	s_barrier
	s_cbranch_vccz .LBB146_59
; %bb.47:
	v_bfrev_b32_e32 v18, -2
	s_waitcnt vmcnt(1)
	v_cmp_gt_i64_e32 vcc, 0, v[12:13]
	v_ashrrev_i32_e32 v15, 31, v13
	s_mov_b32 s2, 0
	v_cndmask_b32_e64 v14, v18, 0, vcc
	v_not_b32_e32 v19, v15
	v_and_b32_e32 v1, 3, v0
	s_brev_b32 s3, 1
	v_xor_b32_e32 v15, v14, v13
	v_xor_b32_e32 v14, v19, v12
	v_cmp_ne_u64_e32 vcc, s[2:3], v[14:15]
	v_lshlrev_b32_e32 v1, 2, v1
	s_sub_i32 s2, s21, s20
	v_cndmask_b32_e32 v15, v18, v15, vcc
	v_cndmask_b32_e32 v14, -1, v14, vcc
	v_mov_b32_e32 v18, 1
	s_mov_b32 s3, s2
	v_mov_b32_e32 v19, v1
	s_mov_b32 s4, s20
.LBB146_48:                             ; =>This Inner Loop Header: Depth=1
	s_min_u32 s5, s3, 8
	v_lshrrev_b64 v[20:21], s4, v[14:15]
	v_bfe_u32 v20, v20, 0, s5
	v_lshl_add_u32 v20, v20, 4, v19
	ds_add_u32 v20, v18
	s_add_i32 s4, s4, 8
	s_add_i32 s3, s3, -8
	s_cmp_ge_u32 s4, s21
	v_add_u32_e32 v19, 0x1000, v19
	s_cbranch_scc0 .LBB146_48
; %bb.49:
	v_bfrev_b32_e32 v18, -2
	v_cmp_gt_i64_e32 vcc, 0, v[10:11]
	v_ashrrev_i32_e32 v15, 31, v11
	s_mov_b32 s4, 0
	v_cndmask_b32_e64 v14, v18, 0, vcc
	v_not_b32_e32 v19, v15
	s_brev_b32 s5, 1
	v_xor_b32_e32 v15, v14, v11
	v_xor_b32_e32 v14, v19, v10
	v_cmp_ne_u64_e32 vcc, s[4:5], v[14:15]
	v_cndmask_b32_e32 v15, v18, v15, vcc
	v_cndmask_b32_e32 v14, -1, v14, vcc
	v_mov_b32_e32 v18, 1
	s_mov_b32 s3, s2
	v_mov_b32_e32 v19, v1
	s_mov_b32 s4, s20
.LBB146_50:                             ; =>This Inner Loop Header: Depth=1
	s_min_u32 s5, s3, 8
	v_lshrrev_b64 v[20:21], s4, v[14:15]
	v_bfe_u32 v20, v20, 0, s5
	v_lshl_add_u32 v20, v20, 4, v19
	ds_add_u32 v20, v18
	s_add_i32 s4, s4, 8
	s_add_i32 s3, s3, -8
	s_cmp_lt_u32 s4, s21
	v_add_u32_e32 v19, 0x1000, v19
	s_cbranch_scc1 .LBB146_50
; %bb.51:
	v_bfrev_b32_e32 v18, -2
	v_cmp_gt_i64_e32 vcc, 0, v[8:9]
	v_ashrrev_i32_e32 v15, 31, v9
	s_mov_b32 s4, 0
	v_cndmask_b32_e64 v14, v18, 0, vcc
	v_not_b32_e32 v19, v15
	s_brev_b32 s5, 1
	v_xor_b32_e32 v15, v14, v9
	v_xor_b32_e32 v14, v19, v8
	v_cmp_ne_u64_e32 vcc, s[4:5], v[14:15]
	v_cndmask_b32_e32 v15, v18, v15, vcc
	v_cndmask_b32_e32 v14, -1, v14, vcc
	v_mov_b32_e32 v18, 1
	s_mov_b32 s3, s2
	v_mov_b32_e32 v19, v1
	s_mov_b32 s4, s20
.LBB146_52:                             ; =>This Inner Loop Header: Depth=1
	s_min_u32 s5, s3, 8
	v_lshrrev_b64 v[20:21], s4, v[14:15]
	v_bfe_u32 v20, v20, 0, s5
	v_lshl_add_u32 v20, v20, 4, v19
	ds_add_u32 v20, v18
	s_add_i32 s4, s4, 8
	s_add_i32 s3, s3, -8
	s_cmp_lt_u32 s4, s21
	v_add_u32_e32 v19, 0x1000, v19
	s_cbranch_scc1 .LBB146_52
	;; [unrolled: 28-line block ×4, first 2 shown]
; %bb.57:
	v_bfrev_b32_e32 v18, -2
	s_waitcnt vmcnt(0)
	v_cmp_gt_i64_e32 vcc, 0, v[4:5]
	v_ashrrev_i32_e32 v15, 31, v5
	s_mov_b32 s4, 0
	v_cndmask_b32_e64 v14, v18, 0, vcc
	v_not_b32_e32 v19, v15
	s_brev_b32 s5, 1
	v_xor_b32_e32 v15, v14, v5
	v_xor_b32_e32 v14, v19, v4
	v_cmp_ne_u64_e32 vcc, s[4:5], v[14:15]
	v_cndmask_b32_e32 v15, v18, v15, vcc
	v_cndmask_b32_e32 v14, -1, v14, vcc
	v_mov_b32_e32 v18, 1
	s_mov_b32 s3, s20
.LBB146_58:                             ; =>This Inner Loop Header: Depth=1
	s_min_u32 s4, s2, 8
	v_lshrrev_b64 v[20:21], s3, v[14:15]
	v_bfe_u32 v19, v20, 0, s4
	v_lshl_add_u32 v19, v19, 4, v1
	ds_add_u32 v19, v18
	s_add_i32 s3, s3, 8
	s_add_i32 s2, s2, -8
	s_cmp_lt_u32 s3, s21
	v_add_u32_e32 v1, 0x1000, v1
	s_cbranch_scc1 .LBB146_58
.LBB146_59:
	s_and_b64 vcc, exec, s[0:1]
	s_waitcnt lgkmcnt(0)
	s_barrier
	s_cbranch_vccz .LBB146_64
; %bb.60:
	s_movk_i32 s0, 0x100
	v_cmp_gt_u32_e32 vcc, s0, v0
	v_lshlrev_b32_e32 v1, 4, v0
	v_mov_b32_e32 v15, 0
	v_mov_b32_e32 v14, v0
	s_branch .LBB146_62
.LBB146_61:                             ;   in Loop: Header=BB146_62 Depth=1
	s_or_b64 exec, exec, s[2:3]
	s_add_i32 s20, s20, 8
	v_add_u32_e32 v14, 0x100, v14
	s_cmp_ge_u32 s20, s21
	v_add_u32_e32 v1, 0x1000, v1
	s_cbranch_scc1 .LBB146_64
.LBB146_62:                             ; =>This Inner Loop Header: Depth=1
	s_and_saveexec_b64 s[2:3], vcc
	s_cbranch_execz .LBB146_61
; %bb.63:                               ;   in Loop: Header=BB146_62 Depth=1
	ds_read2_b32 v[18:19], v1 offset1:1
	ds_read2_b32 v[20:21], v1 offset0:2 offset1:3
	v_lshlrev_b64 v[22:23], 3, v[14:15]
	v_mov_b32_e32 v24, s15
	s_waitcnt lgkmcnt(1)
	v_add_u32_e32 v18, v19, v18
	s_waitcnt lgkmcnt(0)
	v_add3_u32 v18, v18, v20, v21
	v_add_co_u32_e64 v20, s[0:1], s14, v22
	v_addc_co_u32_e64 v21, s[0:1], v24, v23, s[0:1]
	v_mov_b32_e32 v19, v15
	global_atomic_add_x2 v[20:21], v[18:19], off
	s_branch .LBB146_61
.LBB146_64:
	s_mov_b64 s[0:1], 0
.LBB146_65:
	s_and_b64 vcc, exec, s[0:1]
	s_cbranch_vccz .LBB146_68
; %bb.66:
	s_waitcnt vmcnt(1)
	v_ashrrev_i32_e32 v15, 31, v13
	v_mov_b32_e32 v1, 0
	v_not_b32_e32 v15, v15
	ds_write2st64_b32 v17, v1, v1 offset1:16
	ds_write2st64_b32 v17, v1, v1 offset0:32 offset1:48
	ds_write2st64_b32 v17, v1, v1 offset0:64 offset1:80
	;; [unrolled: 1-line block ×3, first 2 shown]
	v_bfrev_b32_e32 v17, -2
	v_cmp_gt_i64_e32 vcc, 0, v[12:13]
	v_xor_b32_e32 v12, v15, v12
	v_ashrrev_i32_e32 v15, 31, v11
	v_cndmask_b32_e64 v14, v17, 0, vcc
	v_cmp_gt_i64_e32 vcc, 0, v[10:11]
	v_not_b32_e32 v15, v15
	v_xor_b32_e32 v13, v14, v13
	v_cndmask_b32_e64 v14, v17, 0, vcc
	v_xor_b32_e32 v10, v15, v10
	v_cmp_gt_i64_e32 vcc, 0, v[8:9]
	v_ashrrev_i32_e32 v15, 31, v9
	v_xor_b32_e32 v11, v14, v11
	v_cndmask_b32_e64 v14, v17, 0, vcc
	v_not_b32_e32 v18, v15
	v_cmp_gt_i64_e32 vcc, 0, v[6:7]
	v_xor_b32_e32 v15, v14, v9
	v_xor_b32_e32 v14, v18, v8
	v_cndmask_b32_e64 v8, v17, 0, vcc
	v_ashrrev_i32_e32 v9, 31, v7
	v_not_b32_e32 v18, v9
	v_xor_b32_e32 v9, v8, v7
	v_cmp_gt_i64_e32 vcc, 0, v[2:3]
	v_ashrrev_i32_e32 v7, 31, v3
	s_mov_b32 s0, 0
	v_xor_b32_e32 v8, v18, v6
	v_cndmask_b32_e64 v6, v17, 0, vcc
	v_not_b32_e32 v18, v7
	s_waitcnt vmcnt(0)
	v_cmp_gt_i64_e32 vcc, 0, v[4:5]
	s_brev_b32 s1, 1
	v_xor_b32_e32 v7, v6, v3
	v_xor_b32_e32 v6, v18, v2
	v_cndmask_b32_e64 v2, v17, 0, vcc
	v_ashrrev_i32_e32 v3, 31, v5
	v_cmp_ne_u64_e32 vcc, s[0:1], v[12:13]
	v_not_b32_e32 v18, v3
	v_cndmask_b32_e32 v12, -1, v12, vcc
	v_xor_b32_e32 v3, v2, v5
	v_xor_b32_e32 v2, v18, v4
	v_and_b32_e32 v4, 3, v0
	v_cndmask_b32_e32 v5, v17, v13, vcc
	v_lshlrev_b32_e32 v13, 2, v12
	s_movk_i32 s2, 0x3fc
	v_and_or_b32 v13, v13, s2, v4
	v_lshlrev_b32_e32 v13, 2, v13
	v_mov_b32_e32 v18, 1
	s_waitcnt lgkmcnt(0)
	s_barrier
	ds_add_u32 v13, v18
	v_bfe_u32 v13, v12, 8, 8
	v_lshl_or_b32 v13, v13, 2, v4
	v_lshlrev_b32_e32 v13, 2, v13
	ds_add_u32 v13, v18 offset:4096
	v_bfe_u32 v13, v12, 16, 8
	v_lshl_or_b32 v13, v13, 2, v4
	v_lshlrev_b32_e32 v13, 2, v13
	ds_add_u32 v13, v18 offset:8192
	v_lshrrev_b32_e32 v13, 24, v12
	v_lshl_or_b32 v13, v13, 2, v4
	v_alignbit_b32 v12, v5, v12, 30
	v_lshlrev_b32_e32 v13, 2, v13
	v_and_or_b32 v12, v12, s2, v4
	ds_add_u32 v13, v18 offset:12288
	v_lshlrev_b32_e32 v12, 2, v12
	ds_add_u32 v12, v18 offset:16384
	v_bfe_u32 v12, v5, 8, 8
	v_lshl_or_b32 v12, v12, 2, v4
	v_lshlrev_b32_e32 v12, 2, v12
	ds_add_u32 v12, v18 offset:20480
	v_bfe_u32 v12, v5, 16, 8
	v_lshl_or_b32 v12, v12, 2, v4
	v_lshrrev_b32_e32 v5, 24, v5
	v_lshlrev_b32_e32 v12, 2, v12
	v_lshl_or_b32 v5, v5, 2, v4
	v_cmp_ne_u64_e32 vcc, s[0:1], v[10:11]
	ds_add_u32 v12, v18 offset:24576
	v_lshlrev_b32_e32 v5, 2, v5
	v_cndmask_b32_e32 v10, -1, v10, vcc
	ds_add_u32 v5, v18 offset:28672
	v_cndmask_b32_e32 v5, v17, v11, vcc
	v_lshlrev_b32_e32 v11, 2, v10
	v_and_or_b32 v11, v11, s2, v4
	v_lshlrev_b32_e32 v11, 2, v11
	ds_add_u32 v11, v18
	v_bfe_u32 v11, v10, 8, 8
	v_lshl_or_b32 v11, v11, 2, v4
	v_lshlrev_b32_e32 v11, 2, v11
	ds_add_u32 v11, v18 offset:4096
	v_bfe_u32 v11, v10, 16, 8
	v_lshl_or_b32 v11, v11, 2, v4
	v_lshlrev_b32_e32 v11, 2, v11
	ds_add_u32 v11, v18 offset:8192
	v_lshrrev_b32_e32 v11, 24, v10
	v_lshl_or_b32 v11, v11, 2, v4
	v_alignbit_b32 v10, v5, v10, 30
	v_lshlrev_b32_e32 v11, 2, v11
	v_and_or_b32 v10, v10, s2, v4
	ds_add_u32 v11, v18 offset:12288
	v_lshlrev_b32_e32 v10, 2, v10
	ds_add_u32 v10, v18 offset:16384
	v_bfe_u32 v10, v5, 8, 8
	v_lshl_or_b32 v10, v10, 2, v4
	v_lshlrev_b32_e32 v10, 2, v10
	ds_add_u32 v10, v18 offset:20480
	v_bfe_u32 v10, v5, 16, 8
	v_lshl_or_b32 v10, v10, 2, v4
	v_lshlrev_b32_e32 v10, 2, v10
	v_cmp_ne_u64_e32 vcc, s[0:1], v[14:15]
	ds_add_u32 v10, v18 offset:24576
	v_lshrrev_b32_e32 v5, 24, v5
	v_cndmask_b32_e32 v10, -1, v14, vcc
	v_lshl_or_b32 v5, v5, 2, v4
	v_lshlrev_b32_e32 v11, 2, v10
	v_lshlrev_b32_e32 v5, 2, v5
	v_and_or_b32 v11, v11, s2, v4
	ds_add_u32 v5, v18 offset:28672
	v_lshlrev_b32_e32 v11, 2, v11
	ds_add_u32 v11, v18
	v_bfe_u32 v11, v10, 8, 8
	v_lshl_or_b32 v11, v11, 2, v4
	v_lshlrev_b32_e32 v11, 2, v11
	ds_add_u32 v11, v18 offset:4096
	v_bfe_u32 v11, v10, 16, 8
	v_lshl_or_b32 v11, v11, 2, v4
	v_lshlrev_b32_e32 v11, 2, v11
	v_cndmask_b32_e32 v5, v17, v15, vcc
	ds_add_u32 v11, v18 offset:8192
	v_lshrrev_b32_e32 v11, 24, v10
	v_lshl_or_b32 v11, v11, 2, v4
	v_alignbit_b32 v10, v5, v10, 30
	v_lshlrev_b32_e32 v11, 2, v11
	v_and_or_b32 v10, v10, s2, v4
	ds_add_u32 v11, v18 offset:12288
	v_lshlrev_b32_e32 v10, 2, v10
	ds_add_u32 v10, v18 offset:16384
	v_bfe_u32 v10, v5, 8, 8
	v_lshl_or_b32 v10, v10, 2, v4
	v_lshlrev_b32_e32 v10, 2, v10
	ds_add_u32 v10, v18 offset:20480
	v_bfe_u32 v10, v5, 16, 8
	v_lshl_or_b32 v10, v10, 2, v4
	v_lshrrev_b32_e32 v5, 24, v5
	v_lshlrev_b32_e32 v10, 2, v10
	v_lshl_or_b32 v5, v5, 2, v4
	v_cmp_ne_u64_e32 vcc, s[0:1], v[8:9]
	ds_add_u32 v10, v18 offset:24576
	v_lshlrev_b32_e32 v5, 2, v5
	v_cndmask_b32_e32 v8, -1, v8, vcc
	ds_add_u32 v5, v18 offset:28672
	v_cndmask_b32_e32 v5, v17, v9, vcc
	v_lshlrev_b32_e32 v9, 2, v8
	v_and_or_b32 v9, v9, s2, v4
	v_lshlrev_b32_e32 v9, 2, v9
	ds_add_u32 v9, v18
	v_bfe_u32 v9, v8, 8, 8
	v_lshl_or_b32 v9, v9, 2, v4
	v_lshlrev_b32_e32 v9, 2, v9
	ds_add_u32 v9, v18 offset:4096
	v_bfe_u32 v9, v8, 16, 8
	v_lshl_or_b32 v9, v9, 2, v4
	v_lshlrev_b32_e32 v9, 2, v9
	ds_add_u32 v9, v18 offset:8192
	v_lshrrev_b32_e32 v9, 24, v8
	v_lshl_or_b32 v9, v9, 2, v4
	v_alignbit_b32 v8, v5, v8, 30
	v_lshlrev_b32_e32 v9, 2, v9
	v_and_or_b32 v8, v8, s2, v4
	ds_add_u32 v9, v18 offset:12288
	v_lshlrev_b32_e32 v8, 2, v8
	ds_add_u32 v8, v18 offset:16384
	v_bfe_u32 v8, v5, 8, 8
	v_lshl_or_b32 v8, v8, 2, v4
	v_lshlrev_b32_e32 v8, 2, v8
	ds_add_u32 v8, v18 offset:20480
	v_bfe_u32 v8, v5, 16, 8
	v_lshl_or_b32 v8, v8, 2, v4
	v_lshrrev_b32_e32 v5, 24, v5
	v_lshlrev_b32_e32 v8, 2, v8
	v_lshl_or_b32 v5, v5, 2, v4
	v_cmp_ne_u64_e32 vcc, s[0:1], v[6:7]
	ds_add_u32 v8, v18 offset:24576
	v_lshlrev_b32_e32 v5, 2, v5
	v_cndmask_b32_e32 v6, -1, v6, vcc
	ds_add_u32 v5, v18 offset:28672
	v_cndmask_b32_e32 v5, v17, v7, vcc
	v_lshlrev_b32_e32 v7, 2, v6
	v_and_or_b32 v7, v7, s2, v4
	v_lshlrev_b32_e32 v7, 2, v7
	ds_add_u32 v7, v18
	v_bfe_u32 v7, v6, 8, 8
	v_lshl_or_b32 v7, v7, 2, v4
	v_lshlrev_b32_e32 v7, 2, v7
	ds_add_u32 v7, v18 offset:4096
	v_bfe_u32 v7, v6, 16, 8
	v_lshl_or_b32 v7, v7, 2, v4
	v_lshlrev_b32_e32 v7, 2, v7
	ds_add_u32 v7, v18 offset:8192
	v_lshrrev_b32_e32 v7, 24, v6
	v_lshl_or_b32 v7, v7, 2, v4
	v_alignbit_b32 v6, v5, v6, 30
	v_lshlrev_b32_e32 v7, 2, v7
	v_and_or_b32 v6, v6, s2, v4
	ds_add_u32 v7, v18 offset:12288
	v_lshlrev_b32_e32 v6, 2, v6
	ds_add_u32 v6, v18 offset:16384
	v_bfe_u32 v6, v5, 8, 8
	v_lshl_or_b32 v6, v6, 2, v4
	v_lshlrev_b32_e32 v6, 2, v6
	ds_add_u32 v6, v18 offset:20480
	v_bfe_u32 v6, v5, 16, 8
	v_lshl_or_b32 v6, v6, 2, v4
	v_lshrrev_b32_e32 v5, 24, v5
	v_lshlrev_b32_e32 v6, 2, v6
	v_lshl_or_b32 v5, v5, 2, v4
	v_cmp_ne_u64_e32 vcc, s[0:1], v[2:3]
	ds_add_u32 v6, v18 offset:24576
	v_lshlrev_b32_e32 v5, 2, v5
	v_cndmask_b32_e32 v2, -1, v2, vcc
	ds_add_u32 v5, v18 offset:28672
	v_lshlrev_b32_e32 v5, 2, v2
	v_and_or_b32 v5, v5, s2, v4
	v_lshlrev_b32_e32 v5, 2, v5
	ds_add_u32 v5, v18
	v_bfe_u32 v5, v2, 8, 8
	v_lshl_or_b32 v5, v5, 2, v4
	v_lshlrev_b32_e32 v5, 2, v5
	ds_add_u32 v5, v18 offset:4096
	v_bfe_u32 v5, v2, 16, 8
	v_lshl_or_b32 v5, v5, 2, v4
	v_lshlrev_b32_e32 v5, 2, v5
	v_cndmask_b32_e32 v3, v17, v3, vcc
	ds_add_u32 v5, v18 offset:8192
	v_lshrrev_b32_e32 v5, 24, v2
	v_lshl_or_b32 v5, v5, 2, v4
	v_alignbit_b32 v2, v3, v2, 30
	v_lshlrev_b32_e32 v5, 2, v5
	v_and_or_b32 v2, v2, s2, v4
	ds_add_u32 v5, v18 offset:12288
	v_lshlrev_b32_e32 v2, 2, v2
	ds_add_u32 v2, v18 offset:16384
	v_bfe_u32 v2, v3, 8, 8
	v_lshl_or_b32 v2, v2, 2, v4
	v_lshlrev_b32_e32 v2, 2, v2
	ds_add_u32 v2, v18 offset:20480
	v_bfe_u32 v2, v3, 16, 8
	v_lshl_or_b32 v2, v2, 2, v4
	v_lshlrev_b32_e32 v2, 2, v2
	ds_add_u32 v2, v18 offset:24576
	v_lshrrev_b32_e32 v2, 24, v3
	v_lshl_or_b32 v2, v2, 2, v4
	v_lshlrev_b32_e32 v2, 2, v2
	ds_add_u32 v2, v18 offset:28672
	s_movk_i32 s0, 0x100
	v_cmp_gt_u32_e32 vcc, s0, v0
	s_waitcnt lgkmcnt(0)
	s_barrier
	s_and_saveexec_b64 s[0:1], vcc
	s_cbranch_execz .LBB146_68
; %bb.67:
	v_lshlrev_b32_e32 v6, 4, v0
	ds_read2_b32 v[2:3], v6 offset1:1
	ds_read2_b32 v[4:5], v6 offset0:2 offset1:3
	v_add_u32_e32 v7, 0x1000, v6
	v_add_u32_e32 v8, 0x1008, v6
	;; [unrolled: 1-line block ×3, first 2 shown]
	s_waitcnt lgkmcnt(1)
	v_add_u32_e32 v0, v3, v2
	s_waitcnt lgkmcnt(0)
	v_add3_u32 v0, v0, v4, v5
	global_atomic_add_x2 v16, v[0:1], s[14:15]
	ds_read2_b32 v[2:3], v7 offset1:1
	ds_read2_b32 v[4:5], v8 offset1:1
	v_add_u32_e32 v7, 0x2000, v6
	v_add_u32_e32 v8, 0x2008, v6
	s_waitcnt lgkmcnt(1)
	v_add_u32_e32 v0, v3, v2
	s_waitcnt lgkmcnt(0)
	v_add3_u32 v0, v0, v4, v5
	global_atomic_add_x2 v16, v[0:1], s[14:15] offset:2048
	ds_read2_b32 v[2:3], v7 offset1:1
	ds_read2_b32 v[4:5], v8 offset1:1
	v_or_b32_e32 v7, 0x1000, v16
	v_add_u32_e32 v8, 0x3000, v6
	s_waitcnt lgkmcnt(1)
	v_add_u32_e32 v0, v3, v2
	s_waitcnt lgkmcnt(0)
	v_add3_u32 v0, v0, v4, v5
	global_atomic_add_x2 v7, v[0:1], s[14:15]
	ds_read2_b32 v[2:3], v8 offset1:1
	ds_read2_b32 v[4:5], v9 offset1:1
	v_or_b32_e32 v7, 0x1800, v16
	v_or_b32_e32 v8, 0x4000, v6
	;; [unrolled: 1-line block ×3, first 2 shown]
	s_waitcnt lgkmcnt(1)
	v_add_u32_e32 v0, v3, v2
	s_waitcnt lgkmcnt(0)
	v_add3_u32 v0, v0, v4, v5
	global_atomic_add_x2 v7, v[0:1], s[14:15]
	ds_read2_b32 v[2:3], v8 offset1:1
	ds_read2_b32 v[4:5], v9 offset1:1
	v_or_b32_e32 v7, 0x2000, v16
	v_add_u32_e32 v8, 0x5000, v6
	v_add_u32_e32 v9, 0x5008, v6
	s_waitcnt lgkmcnt(1)
	v_add_u32_e32 v0, v3, v2
	s_waitcnt lgkmcnt(0)
	v_add3_u32 v0, v0, v4, v5
	global_atomic_add_x2 v7, v[0:1], s[14:15]
	ds_read2_b32 v[2:3], v8 offset1:1
	ds_read2_b32 v[4:5], v9 offset1:1
	v_or_b32_e32 v7, 0x2800, v16
	v_add_u32_e32 v8, 0x6000, v6
	v_add_u32_e32 v9, 0x6008, v6
	;; [unrolled: 10-line block ×3, first 2 shown]
	s_waitcnt lgkmcnt(1)
	v_add_u32_e32 v0, v3, v2
	s_waitcnt lgkmcnt(0)
	v_add3_u32 v0, v0, v4, v5
	global_atomic_add_x2 v7, v[0:1], s[14:15]
	ds_read2_b32 v[2:3], v8 offset1:1
	ds_read2_b32 v[4:5], v6 offset1:1
	s_waitcnt lgkmcnt(1)
	v_add_u32_e32 v0, v3, v2
	s_waitcnt lgkmcnt(0)
	v_add3_u32 v0, v0, v4, v5
	v_or_b32_e32 v2, 0x3800, v16
	global_atomic_add_x2 v2, v[0:1], s[14:15]
.LBB146_68:
	s_endpgm
	.section	.rodata,"a",@progbits
	.p2align	6, 0x0
	.amdhsa_kernel _ZN7rocprim17ROCPRIM_304000_NS6detail26onesweep_histograms_kernelINS1_34wrapped_radix_sort_onesweep_configINS0_14default_configEdN2at4cuda3cub6detail10OpaqueTypeILi8EEEEELb1EPKdmNS0_19identity_decomposerEEEvT1_PT2_SG_SG_T3_jj
		.amdhsa_group_segment_fixed_size 32768
		.amdhsa_private_segment_fixed_size 0
		.amdhsa_kernarg_size 44
		.amdhsa_user_sgpr_count 6
		.amdhsa_user_sgpr_private_segment_buffer 1
		.amdhsa_user_sgpr_dispatch_ptr 0
		.amdhsa_user_sgpr_queue_ptr 0
		.amdhsa_user_sgpr_kernarg_segment_ptr 1
		.amdhsa_user_sgpr_dispatch_id 0
		.amdhsa_user_sgpr_flat_scratch_init 0
		.amdhsa_user_sgpr_kernarg_preload_length 0
		.amdhsa_user_sgpr_kernarg_preload_offset 0
		.amdhsa_user_sgpr_private_segment_size 0
		.amdhsa_uses_dynamic_stack 0
		.amdhsa_system_sgpr_private_segment_wavefront_offset 0
		.amdhsa_system_sgpr_workgroup_id_x 1
		.amdhsa_system_sgpr_workgroup_id_y 0
		.amdhsa_system_sgpr_workgroup_id_z 0
		.amdhsa_system_sgpr_workgroup_info 0
		.amdhsa_system_vgpr_workitem_id 0
		.amdhsa_next_free_vgpr 25
		.amdhsa_next_free_sgpr 26
		.amdhsa_accum_offset 28
		.amdhsa_reserve_vcc 1
		.amdhsa_reserve_flat_scratch 0
		.amdhsa_float_round_mode_32 0
		.amdhsa_float_round_mode_16_64 0
		.amdhsa_float_denorm_mode_32 3
		.amdhsa_float_denorm_mode_16_64 3
		.amdhsa_dx10_clamp 1
		.amdhsa_ieee_mode 1
		.amdhsa_fp16_overflow 0
		.amdhsa_tg_split 0
		.amdhsa_exception_fp_ieee_invalid_op 0
		.amdhsa_exception_fp_denorm_src 0
		.amdhsa_exception_fp_ieee_div_zero 0
		.amdhsa_exception_fp_ieee_overflow 0
		.amdhsa_exception_fp_ieee_underflow 0
		.amdhsa_exception_fp_ieee_inexact 0
		.amdhsa_exception_int_div_zero 0
	.end_amdhsa_kernel
	.section	.text._ZN7rocprim17ROCPRIM_304000_NS6detail26onesweep_histograms_kernelINS1_34wrapped_radix_sort_onesweep_configINS0_14default_configEdN2at4cuda3cub6detail10OpaqueTypeILi8EEEEELb1EPKdmNS0_19identity_decomposerEEEvT1_PT2_SG_SG_T3_jj,"axG",@progbits,_ZN7rocprim17ROCPRIM_304000_NS6detail26onesweep_histograms_kernelINS1_34wrapped_radix_sort_onesweep_configINS0_14default_configEdN2at4cuda3cub6detail10OpaqueTypeILi8EEEEELb1EPKdmNS0_19identity_decomposerEEEvT1_PT2_SG_SG_T3_jj,comdat
.Lfunc_end146:
	.size	_ZN7rocprim17ROCPRIM_304000_NS6detail26onesweep_histograms_kernelINS1_34wrapped_radix_sort_onesweep_configINS0_14default_configEdN2at4cuda3cub6detail10OpaqueTypeILi8EEEEELb1EPKdmNS0_19identity_decomposerEEEvT1_PT2_SG_SG_T3_jj, .Lfunc_end146-_ZN7rocprim17ROCPRIM_304000_NS6detail26onesweep_histograms_kernelINS1_34wrapped_radix_sort_onesweep_configINS0_14default_configEdN2at4cuda3cub6detail10OpaqueTypeILi8EEEEELb1EPKdmNS0_19identity_decomposerEEEvT1_PT2_SG_SG_T3_jj
                                        ; -- End function
	.section	.AMDGPU.csdata,"",@progbits
; Kernel info:
; codeLenInByte = 4808
; NumSgprs: 30
; NumVgprs: 25
; NumAgprs: 0
; TotalNumVgprs: 25
; ScratchSize: 0
; MemoryBound: 0
; FloatMode: 240
; IeeeMode: 1
; LDSByteSize: 32768 bytes/workgroup (compile time only)
; SGPRBlocks: 3
; VGPRBlocks: 3
; NumSGPRsForWavesPerEU: 30
; NumVGPRsForWavesPerEU: 25
; AccumOffset: 28
; Occupancy: 8
; WaveLimiterHint : 1
; COMPUTE_PGM_RSRC2:SCRATCH_EN: 0
; COMPUTE_PGM_RSRC2:USER_SGPR: 6
; COMPUTE_PGM_RSRC2:TRAP_HANDLER: 0
; COMPUTE_PGM_RSRC2:TGID_X_EN: 1
; COMPUTE_PGM_RSRC2:TGID_Y_EN: 0
; COMPUTE_PGM_RSRC2:TGID_Z_EN: 0
; COMPUTE_PGM_RSRC2:TIDIG_COMP_CNT: 0
; COMPUTE_PGM_RSRC3_GFX90A:ACCUM_OFFSET: 6
; COMPUTE_PGM_RSRC3_GFX90A:TG_SPLIT: 0
	.section	.text._ZN7rocprim17ROCPRIM_304000_NS6detail31onesweep_scan_histograms_kernelINS1_34wrapped_radix_sort_onesweep_configINS0_14default_configEdN2at4cuda3cub6detail10OpaqueTypeILi8EEEEEmEEvPT0_,"axG",@progbits,_ZN7rocprim17ROCPRIM_304000_NS6detail31onesweep_scan_histograms_kernelINS1_34wrapped_radix_sort_onesweep_configINS0_14default_configEdN2at4cuda3cub6detail10OpaqueTypeILi8EEEEEmEEvPT0_,comdat
	.protected	_ZN7rocprim17ROCPRIM_304000_NS6detail31onesweep_scan_histograms_kernelINS1_34wrapped_radix_sort_onesweep_configINS0_14default_configEdN2at4cuda3cub6detail10OpaqueTypeILi8EEEEEmEEvPT0_ ; -- Begin function _ZN7rocprim17ROCPRIM_304000_NS6detail31onesweep_scan_histograms_kernelINS1_34wrapped_radix_sort_onesweep_configINS0_14default_configEdN2at4cuda3cub6detail10OpaqueTypeILi8EEEEEmEEvPT0_
	.globl	_ZN7rocprim17ROCPRIM_304000_NS6detail31onesweep_scan_histograms_kernelINS1_34wrapped_radix_sort_onesweep_configINS0_14default_configEdN2at4cuda3cub6detail10OpaqueTypeILi8EEEEEmEEvPT0_
	.p2align	8
	.type	_ZN7rocprim17ROCPRIM_304000_NS6detail31onesweep_scan_histograms_kernelINS1_34wrapped_radix_sort_onesweep_configINS0_14default_configEdN2at4cuda3cub6detail10OpaqueTypeILi8EEEEEmEEvPT0_,@function
_ZN7rocprim17ROCPRIM_304000_NS6detail31onesweep_scan_histograms_kernelINS1_34wrapped_radix_sort_onesweep_configINS0_14default_configEdN2at4cuda3cub6detail10OpaqueTypeILi8EEEEEmEEvPT0_: ; @_ZN7rocprim17ROCPRIM_304000_NS6detail31onesweep_scan_histograms_kernelINS1_34wrapped_radix_sort_onesweep_configINS0_14default_configEdN2at4cuda3cub6detail10OpaqueTypeILi8EEEEEmEEvPT0_
; %bb.0:
	s_load_dwordx2 s[0:1], s[4:5], 0x0
	s_lshl_b32 s2, s6, 8
	s_mov_b32 s3, 0
	s_lshl_b64 s[2:3], s[2:3], 3
	v_lshlrev_b32_e32 v5, 3, v0
	s_waitcnt lgkmcnt(0)
	s_add_u32 s14, s0, s2
	s_movk_i32 s0, 0x100
	s_addc_u32 s15, s1, s3
	v_cmp_gt_u32_e32 vcc, s0, v0
                                        ; implicit-def: $vgpr2_vgpr3
	s_and_saveexec_b64 s[0:1], vcc
	s_cbranch_execz .LBB147_2
; %bb.1:
	global_load_dwordx2 v[2:3], v5, s[14:15]
.LBB147_2:
	s_or_b64 exec, exec, s[0:1]
	v_mbcnt_lo_u32_b32 v1, -1, 0
	s_waitcnt vmcnt(0)
	v_mov_b32_dpp v4, v2 row_shr:1 row_mask:0xf bank_mask:0xf
	v_mbcnt_hi_u32_b32 v6, -1, v1
	v_add_co_u32_e64 v4, s[0:1], v2, v4
	v_and_b32_e32 v1, 15, v6
	v_addc_co_u32_e64 v8, s[0:1], 0, v3, s[0:1]
	v_mov_b32_dpp v7, v3 row_shr:1 row_mask:0xf bank_mask:0xf
	v_add_co_u32_e64 v9, s[0:1], 0, v4
	v_cmp_eq_u32_e64 s[2:3], 0, v1
	v_addc_co_u32_e64 v7, s[0:1], v7, v8, s[0:1]
	v_cndmask_b32_e64 v4, v4, v2, s[2:3]
	v_cndmask_b32_e64 v7, v7, v3, s[2:3]
	v_cndmask_b32_e64 v8, v9, v2, s[2:3]
	v_mov_b32_dpp v9, v4 row_shr:2 row_mask:0xf bank_mask:0xf
	v_mov_b32_dpp v10, v7 row_shr:2 row_mask:0xf bank_mask:0xf
	v_add_co_u32_e64 v9, s[0:1], v9, v8
	v_cmp_lt_u32_e64 s[4:5], 1, v1
	v_addc_co_u32_e64 v10, s[0:1], v10, v7, s[0:1]
	v_cndmask_b32_e64 v4, v4, v9, s[4:5]
	v_cndmask_b32_e64 v7, v7, v10, s[4:5]
	v_cndmask_b32_e64 v8, v8, v9, s[4:5]
	v_mov_b32_dpp v9, v4 row_shr:4 row_mask:0xf bank_mask:0xf
	v_mov_b32_dpp v10, v7 row_shr:4 row_mask:0xf bank_mask:0xf
	v_add_co_u32_e64 v9, s[0:1], v9, v8
	v_cmp_lt_u32_e64 s[6:7], 3, v1
	;; [unrolled: 8-line block ×3, first 2 shown]
	v_addc_co_u32_e64 v10, s[0:1], v10, v7, s[0:1]
	v_cndmask_b32_e64 v11, v4, v9, s[8:9]
	v_cndmask_b32_e64 v1, v7, v10, s[8:9]
	;; [unrolled: 1-line block ×3, first 2 shown]
	v_mov_b32_dpp v7, v11 row_bcast:15 row_mask:0xf bank_mask:0xf
	v_mov_b32_dpp v8, v1 row_bcast:15 row_mask:0xf bank_mask:0xf
	v_and_b32_e32 v10, 16, v6
	v_add_co_u32_e64 v7, s[0:1], v7, v4
	v_addc_co_u32_e64 v9, s[0:1], v8, v1, s[0:1]
	v_cmp_eq_u32_e64 s[10:11], 0, v10
	v_cndmask_b32_e64 v10, v9, v1, s[10:11]
	v_cndmask_b32_e64 v8, v7, v11, s[10:11]
	v_cmp_eq_u32_e64 s[0:1], 0, v6
	v_mov_b32_dpp v10, v10 row_bcast:31 row_mask:0xf bank_mask:0xf
	v_mov_b32_dpp v8, v8 row_bcast:31 row_mask:0xf bank_mask:0xf
	v_cmp_ne_u32_e64 s[12:13], 0, v6
	s_and_saveexec_b64 s[16:17], s[12:13]
; %bb.3:
	v_cndmask_b32_e64 v1, v9, v1, s[10:11]
	v_cndmask_b32_e64 v2, v7, v4, s[10:11]
	v_cmp_lt_u32_e64 s[10:11], 31, v6
	v_cndmask_b32_e64 v4, 0, v8, s[10:11]
	v_cndmask_b32_e64 v3, 0, v10, s[10:11]
	v_add_co_u32_e64 v2, s[10:11], v4, v2
	v_addc_co_u32_e64 v3, s[10:11], v3, v1, s[10:11]
; %bb.4:
	s_or_b64 exec, exec, s[16:17]
	v_and_b32_e32 v1, 63, v0
	v_lshrrev_b32_e32 v4, 6, v0
	v_cmp_eq_u32_e64 s[10:11], 63, v1
	s_and_saveexec_b64 s[12:13], s[10:11]
	s_cbranch_execz .LBB147_6
; %bb.5:
	v_lshlrev_b32_e32 v1, 3, v4
	ds_write_b64 v1, v[2:3]
.LBB147_6:
	s_or_b64 exec, exec, s[12:13]
	v_cmp_gt_u32_e64 s[10:11], 16, v0
	s_waitcnt lgkmcnt(0)
	s_barrier
	s_and_saveexec_b64 s[12:13], s[10:11]
	s_cbranch_execz .LBB147_8
; %bb.7:
	ds_read_b64 v[8:9], v5
	s_waitcnt lgkmcnt(0)
	s_nop 0
	v_mov_b32_dpp v1, v8 row_shr:1 row_mask:0xf bank_mask:0xf
	v_add_co_u32_e64 v1, s[10:11], v8, v1
	v_addc_co_u32_e64 v10, s[10:11], 0, v9, s[10:11]
	v_mov_b32_dpp v7, v9 row_shr:1 row_mask:0xf bank_mask:0xf
	v_add_co_u32_e64 v11, s[10:11], 0, v1
	v_addc_co_u32_e64 v7, s[10:11], v7, v10, s[10:11]
	v_cndmask_b32_e64 v1, v1, v8, s[2:3]
	v_cndmask_b32_e64 v7, v7, v9, s[2:3]
	;; [unrolled: 1-line block ×3, first 2 shown]
	v_mov_b32_dpp v8, v1 row_shr:2 row_mask:0xf bank_mask:0xf
	v_add_co_u32_e64 v8, s[2:3], v9, v8
	v_addc_co_u32_e64 v11, s[2:3], 0, v7, s[2:3]
	v_mov_b32_dpp v10, v7 row_shr:2 row_mask:0xf bank_mask:0xf
	v_add_co_u32_e64 v12, s[2:3], 0, v8
	v_cndmask_b32_e64 v1, v1, v8, s[4:5]
	v_addc_co_u32_e64 v10, s[2:3], v11, v10, s[2:3]
	v_cndmask_b32_e64 v8, v9, v12, s[4:5]
	v_mov_b32_dpp v9, v1 row_shr:4 row_mask:0xf bank_mask:0xf
	v_cndmask_b32_e64 v7, v7, v10, s[4:5]
	v_add_co_u32_e64 v9, s[2:3], v8, v9
	v_addc_co_u32_e64 v11, s[2:3], 0, v7, s[2:3]
	v_mov_b32_dpp v10, v7 row_shr:4 row_mask:0xf bank_mask:0xf
	v_add_co_u32_e64 v12, s[2:3], 0, v9
	v_addc_co_u32_e64 v10, s[2:3], v11, v10, s[2:3]
	v_cndmask_b32_e64 v1, v1, v9, s[6:7]
	v_cndmask_b32_e64 v7, v7, v10, s[6:7]
	;; [unrolled: 1-line block ×3, first 2 shown]
	v_mov_b32_dpp v1, v1 row_shr:8 row_mask:0xf bank_mask:0xf
	v_mov_b32_dpp v9, v7 row_shr:8 row_mask:0xf bank_mask:0xf
	v_cndmask_b32_e64 v1, 0, v1, s[8:9]
	v_cndmask_b32_e64 v9, 0, v9, s[8:9]
	v_add_co_u32_e64 v8, s[2:3], v1, v8
	v_addc_co_u32_e64 v9, s[2:3], v9, v7, s[2:3]
	ds_write_b64 v5, v[8:9]
.LBB147_8:
	s_or_b64 exec, exec, s[12:13]
	v_cmp_lt_u32_e64 s[2:3], 63, v0
	v_pk_mov_b32 v[0:1], 0, 0
	s_waitcnt lgkmcnt(0)
	s_barrier
	s_and_saveexec_b64 s[4:5], s[2:3]
	s_cbranch_execz .LBB147_10
; %bb.9:
	v_lshl_add_u32 v0, v4, 3, -8
	ds_read_b64 v[0:1], v0
.LBB147_10:
	s_or_b64 exec, exec, s[4:5]
	s_waitcnt lgkmcnt(0)
	v_add_co_u32_e64 v2, s[2:3], v0, v2
	v_addc_co_u32_e64 v3, s[2:3], v1, v3, s[2:3]
	v_add_u32_e32 v4, -1, v6
	v_and_b32_e32 v7, 64, v6
	v_cmp_lt_i32_e64 s[2:3], v4, v7
	v_cndmask_b32_e64 v4, v4, v6, s[2:3]
	v_lshlrev_b32_e32 v4, 2, v4
	ds_bpermute_b32 v2, v4, v2
	ds_bpermute_b32 v3, v4, v3
	s_and_saveexec_b64 s[2:3], vcc
	s_cbranch_execz .LBB147_12
; %bb.11:
	s_waitcnt lgkmcnt(0)
	v_cndmask_b32_e64 v1, v3, v1, s[0:1]
	v_cndmask_b32_e64 v0, v2, v0, s[0:1]
	global_store_dwordx2 v5, v[0:1], s[14:15]
.LBB147_12:
	s_endpgm
	.section	.rodata,"a",@progbits
	.p2align	6, 0x0
	.amdhsa_kernel _ZN7rocprim17ROCPRIM_304000_NS6detail31onesweep_scan_histograms_kernelINS1_34wrapped_radix_sort_onesweep_configINS0_14default_configEdN2at4cuda3cub6detail10OpaqueTypeILi8EEEEEmEEvPT0_
		.amdhsa_group_segment_fixed_size 128
		.amdhsa_private_segment_fixed_size 0
		.amdhsa_kernarg_size 8
		.amdhsa_user_sgpr_count 6
		.amdhsa_user_sgpr_private_segment_buffer 1
		.amdhsa_user_sgpr_dispatch_ptr 0
		.amdhsa_user_sgpr_queue_ptr 0
		.amdhsa_user_sgpr_kernarg_segment_ptr 1
		.amdhsa_user_sgpr_dispatch_id 0
		.amdhsa_user_sgpr_flat_scratch_init 0
		.amdhsa_user_sgpr_kernarg_preload_length 0
		.amdhsa_user_sgpr_kernarg_preload_offset 0
		.amdhsa_user_sgpr_private_segment_size 0
		.amdhsa_uses_dynamic_stack 0
		.amdhsa_system_sgpr_private_segment_wavefront_offset 0
		.amdhsa_system_sgpr_workgroup_id_x 1
		.amdhsa_system_sgpr_workgroup_id_y 0
		.amdhsa_system_sgpr_workgroup_id_z 0
		.amdhsa_system_sgpr_workgroup_info 0
		.amdhsa_system_vgpr_workitem_id 0
		.amdhsa_next_free_vgpr 13
		.amdhsa_next_free_sgpr 18
		.amdhsa_accum_offset 16
		.amdhsa_reserve_vcc 1
		.amdhsa_reserve_flat_scratch 0
		.amdhsa_float_round_mode_32 0
		.amdhsa_float_round_mode_16_64 0
		.amdhsa_float_denorm_mode_32 3
		.amdhsa_float_denorm_mode_16_64 3
		.amdhsa_dx10_clamp 1
		.amdhsa_ieee_mode 1
		.amdhsa_fp16_overflow 0
		.amdhsa_tg_split 0
		.amdhsa_exception_fp_ieee_invalid_op 0
		.amdhsa_exception_fp_denorm_src 0
		.amdhsa_exception_fp_ieee_div_zero 0
		.amdhsa_exception_fp_ieee_overflow 0
		.amdhsa_exception_fp_ieee_underflow 0
		.amdhsa_exception_fp_ieee_inexact 0
		.amdhsa_exception_int_div_zero 0
	.end_amdhsa_kernel
	.section	.text._ZN7rocprim17ROCPRIM_304000_NS6detail31onesweep_scan_histograms_kernelINS1_34wrapped_radix_sort_onesweep_configINS0_14default_configEdN2at4cuda3cub6detail10OpaqueTypeILi8EEEEEmEEvPT0_,"axG",@progbits,_ZN7rocprim17ROCPRIM_304000_NS6detail31onesweep_scan_histograms_kernelINS1_34wrapped_radix_sort_onesweep_configINS0_14default_configEdN2at4cuda3cub6detail10OpaqueTypeILi8EEEEEmEEvPT0_,comdat
.Lfunc_end147:
	.size	_ZN7rocprim17ROCPRIM_304000_NS6detail31onesweep_scan_histograms_kernelINS1_34wrapped_radix_sort_onesweep_configINS0_14default_configEdN2at4cuda3cub6detail10OpaqueTypeILi8EEEEEmEEvPT0_, .Lfunc_end147-_ZN7rocprim17ROCPRIM_304000_NS6detail31onesweep_scan_histograms_kernelINS1_34wrapped_radix_sort_onesweep_configINS0_14default_configEdN2at4cuda3cub6detail10OpaqueTypeILi8EEEEEmEEvPT0_
                                        ; -- End function
	.section	.AMDGPU.csdata,"",@progbits
; Kernel info:
; codeLenInByte = 1028
; NumSgprs: 22
; NumVgprs: 13
; NumAgprs: 0
; TotalNumVgprs: 13
; ScratchSize: 0
; MemoryBound: 0
; FloatMode: 240
; IeeeMode: 1
; LDSByteSize: 128 bytes/workgroup (compile time only)
; SGPRBlocks: 2
; VGPRBlocks: 1
; NumSGPRsForWavesPerEU: 22
; NumVGPRsForWavesPerEU: 13
; AccumOffset: 16
; Occupancy: 8
; WaveLimiterHint : 0
; COMPUTE_PGM_RSRC2:SCRATCH_EN: 0
; COMPUTE_PGM_RSRC2:USER_SGPR: 6
; COMPUTE_PGM_RSRC2:TRAP_HANDLER: 0
; COMPUTE_PGM_RSRC2:TGID_X_EN: 1
; COMPUTE_PGM_RSRC2:TGID_Y_EN: 0
; COMPUTE_PGM_RSRC2:TGID_Z_EN: 0
; COMPUTE_PGM_RSRC2:TIDIG_COMP_CNT: 0
; COMPUTE_PGM_RSRC3_GFX90A:ACCUM_OFFSET: 3
; COMPUTE_PGM_RSRC3_GFX90A:TG_SPLIT: 0
	.section	.text._ZN7rocprim17ROCPRIM_304000_NS6detail16transform_kernelINS1_24wrapped_transform_configINS0_14default_configEdEEdPKdPdNS0_8identityIdEEEEvT1_mT2_T3_,"axG",@progbits,_ZN7rocprim17ROCPRIM_304000_NS6detail16transform_kernelINS1_24wrapped_transform_configINS0_14default_configEdEEdPKdPdNS0_8identityIdEEEEvT1_mT2_T3_,comdat
	.protected	_ZN7rocprim17ROCPRIM_304000_NS6detail16transform_kernelINS1_24wrapped_transform_configINS0_14default_configEdEEdPKdPdNS0_8identityIdEEEEvT1_mT2_T3_ ; -- Begin function _ZN7rocprim17ROCPRIM_304000_NS6detail16transform_kernelINS1_24wrapped_transform_configINS0_14default_configEdEEdPKdPdNS0_8identityIdEEEEvT1_mT2_T3_
	.globl	_ZN7rocprim17ROCPRIM_304000_NS6detail16transform_kernelINS1_24wrapped_transform_configINS0_14default_configEdEEdPKdPdNS0_8identityIdEEEEvT1_mT2_T3_
	.p2align	8
	.type	_ZN7rocprim17ROCPRIM_304000_NS6detail16transform_kernelINS1_24wrapped_transform_configINS0_14default_configEdEEdPKdPdNS0_8identityIdEEEEvT1_mT2_T3_,@function
_ZN7rocprim17ROCPRIM_304000_NS6detail16transform_kernelINS1_24wrapped_transform_configINS0_14default_configEdEEdPKdPdNS0_8identityIdEEEEvT1_mT2_T3_: ; @_ZN7rocprim17ROCPRIM_304000_NS6detail16transform_kernelINS1_24wrapped_transform_configINS0_14default_configEdEEdPKdPdNS0_8identityIdEEEEvT1_mT2_T3_
; %bb.0:
	s_load_dword s7, s[4:5], 0x20
	s_load_dwordx4 s[0:3], s[4:5], 0x0
	s_load_dwordx2 s[8:9], s[4:5], 0x10
	s_lshl_b32 s10, s6, 9
	s_mov_b32 s11, 0
	s_waitcnt lgkmcnt(0)
	s_add_i32 s7, s7, -1
	s_lshl_b64 s[4:5], s[10:11], 3
	s_add_u32 s0, s0, s4
	s_addc_u32 s1, s1, s5
	v_lshlrev_b32_e32 v1, 3, v0
	v_mov_b32_e32 v2, s1
	v_add_co_u32_e32 v6, vcc, s0, v1
	s_cmp_lg_u32 s6, s7
	v_addc_co_u32_e32 v7, vcc, 0, v2, vcc
	s_cbranch_scc0 .LBB148_2
; %bb.1:
	global_load_dwordx2 v[2:3], v[6:7], off
	global_load_dwordx2 v[4:5], v[6:7], off offset:2048
	s_add_u32 s6, s8, s4
	s_addc_u32 s7, s9, s5
	s_waitcnt vmcnt(1)
	global_store_dwordx2 v1, v[2:3], s[6:7]
	s_mov_b64 s[6:7], -1
	s_cbranch_execz .LBB148_3
	s_branch .LBB148_10
.LBB148_2:
	s_mov_b64 s[6:7], 0
                                        ; implicit-def: $vgpr4_vgpr5
.LBB148_3:
	s_sub_i32 s2, s2, s10
	v_cmp_gt_u32_e32 vcc, s2, v0
                                        ; implicit-def: $vgpr2_vgpr3_vgpr4_vgpr5
	s_and_saveexec_b64 s[0:1], vcc
	s_cbranch_execz .LBB148_5
; %bb.4:
	global_load_dwordx2 v[2:3], v[6:7], off
.LBB148_5:
	s_or_b64 exec, exec, s[0:1]
	v_or_b32_e32 v0, 0x100, v0
	v_cmp_gt_u32_e64 s[0:1], s2, v0
	s_and_saveexec_b64 s[2:3], s[0:1]
	s_cbranch_execnz .LBB148_13
; %bb.6:
	s_or_b64 exec, exec, s[2:3]
	s_and_saveexec_b64 s[2:3], vcc
	s_cbranch_execnz .LBB148_14
.LBB148_7:
	s_or_b64 exec, exec, s[2:3]
	s_and_saveexec_b64 s[2:3], s[0:1]
.LBB148_8:
	s_or_b64 s[6:7], s[6:7], exec
.LBB148_9:
	s_or_b64 exec, exec, s[2:3]
.LBB148_10:
	s_and_saveexec_b64 s[0:1], s[6:7]
	s_cbranch_execnz .LBB148_12
; %bb.11:
	s_endpgm
.LBB148_12:
	s_add_u32 s0, s8, s4
	s_addc_u32 s1, s9, s5
	s_waitcnt vmcnt(0)
	global_store_dwordx2 v1, v[4:5], s[0:1] offset:2048
	s_endpgm
.LBB148_13:
	global_load_dwordx2 v[4:5], v[6:7], off offset:2048
	s_or_b64 exec, exec, s[2:3]
	s_and_saveexec_b64 s[2:3], vcc
	s_cbranch_execz .LBB148_7
.LBB148_14:
	s_add_u32 s10, s8, s4
	s_addc_u32 s11, s9, s5
	s_waitcnt vmcnt(0)
	global_store_dwordx2 v1, v[2:3], s[10:11]
	s_or_b64 exec, exec, s[2:3]
	s_and_saveexec_b64 s[2:3], s[0:1]
	s_cbranch_execnz .LBB148_8
	s_branch .LBB148_9
	.section	.rodata,"a",@progbits
	.p2align	6, 0x0
	.amdhsa_kernel _ZN7rocprim17ROCPRIM_304000_NS6detail16transform_kernelINS1_24wrapped_transform_configINS0_14default_configEdEEdPKdPdNS0_8identityIdEEEEvT1_mT2_T3_
		.amdhsa_group_segment_fixed_size 0
		.amdhsa_private_segment_fixed_size 0
		.amdhsa_kernarg_size 288
		.amdhsa_user_sgpr_count 6
		.amdhsa_user_sgpr_private_segment_buffer 1
		.amdhsa_user_sgpr_dispatch_ptr 0
		.amdhsa_user_sgpr_queue_ptr 0
		.amdhsa_user_sgpr_kernarg_segment_ptr 1
		.amdhsa_user_sgpr_dispatch_id 0
		.amdhsa_user_sgpr_flat_scratch_init 0
		.amdhsa_user_sgpr_kernarg_preload_length 0
		.amdhsa_user_sgpr_kernarg_preload_offset 0
		.amdhsa_user_sgpr_private_segment_size 0
		.amdhsa_uses_dynamic_stack 0
		.amdhsa_system_sgpr_private_segment_wavefront_offset 0
		.amdhsa_system_sgpr_workgroup_id_x 1
		.amdhsa_system_sgpr_workgroup_id_y 0
		.amdhsa_system_sgpr_workgroup_id_z 0
		.amdhsa_system_sgpr_workgroup_info 0
		.amdhsa_system_vgpr_workitem_id 0
		.amdhsa_next_free_vgpr 8
		.amdhsa_next_free_sgpr 12
		.amdhsa_accum_offset 8
		.amdhsa_reserve_vcc 1
		.amdhsa_reserve_flat_scratch 0
		.amdhsa_float_round_mode_32 0
		.amdhsa_float_round_mode_16_64 0
		.amdhsa_float_denorm_mode_32 3
		.amdhsa_float_denorm_mode_16_64 3
		.amdhsa_dx10_clamp 1
		.amdhsa_ieee_mode 1
		.amdhsa_fp16_overflow 0
		.amdhsa_tg_split 0
		.amdhsa_exception_fp_ieee_invalid_op 0
		.amdhsa_exception_fp_denorm_src 0
		.amdhsa_exception_fp_ieee_div_zero 0
		.amdhsa_exception_fp_ieee_overflow 0
		.amdhsa_exception_fp_ieee_underflow 0
		.amdhsa_exception_fp_ieee_inexact 0
		.amdhsa_exception_int_div_zero 0
	.end_amdhsa_kernel
	.section	.text._ZN7rocprim17ROCPRIM_304000_NS6detail16transform_kernelINS1_24wrapped_transform_configINS0_14default_configEdEEdPKdPdNS0_8identityIdEEEEvT1_mT2_T3_,"axG",@progbits,_ZN7rocprim17ROCPRIM_304000_NS6detail16transform_kernelINS1_24wrapped_transform_configINS0_14default_configEdEEdPKdPdNS0_8identityIdEEEEvT1_mT2_T3_,comdat
.Lfunc_end148:
	.size	_ZN7rocprim17ROCPRIM_304000_NS6detail16transform_kernelINS1_24wrapped_transform_configINS0_14default_configEdEEdPKdPdNS0_8identityIdEEEEvT1_mT2_T3_, .Lfunc_end148-_ZN7rocprim17ROCPRIM_304000_NS6detail16transform_kernelINS1_24wrapped_transform_configINS0_14default_configEdEEdPKdPdNS0_8identityIdEEEEvT1_mT2_T3_
                                        ; -- End function
	.section	.AMDGPU.csdata,"",@progbits
; Kernel info:
; codeLenInByte = 300
; NumSgprs: 16
; NumVgprs: 8
; NumAgprs: 0
; TotalNumVgprs: 8
; ScratchSize: 0
; MemoryBound: 1
; FloatMode: 240
; IeeeMode: 1
; LDSByteSize: 0 bytes/workgroup (compile time only)
; SGPRBlocks: 1
; VGPRBlocks: 0
; NumSGPRsForWavesPerEU: 16
; NumVGPRsForWavesPerEU: 8
; AccumOffset: 8
; Occupancy: 8
; WaveLimiterHint : 1
; COMPUTE_PGM_RSRC2:SCRATCH_EN: 0
; COMPUTE_PGM_RSRC2:USER_SGPR: 6
; COMPUTE_PGM_RSRC2:TRAP_HANDLER: 0
; COMPUTE_PGM_RSRC2:TGID_X_EN: 1
; COMPUTE_PGM_RSRC2:TGID_Y_EN: 0
; COMPUTE_PGM_RSRC2:TGID_Z_EN: 0
; COMPUTE_PGM_RSRC2:TIDIG_COMP_CNT: 0
; COMPUTE_PGM_RSRC3_GFX90A:ACCUM_OFFSET: 1
; COMPUTE_PGM_RSRC3_GFX90A:TG_SPLIT: 0
	.section	.text._ZN7rocprim17ROCPRIM_304000_NS6detail25onesweep_iteration_kernelINS1_34wrapped_radix_sort_onesweep_configINS0_14default_configEdN2at4cuda3cub6detail10OpaqueTypeILi8EEEEELb1EPKdPdPKSA_PSA_mNS0_19identity_decomposerEEEvT1_T2_T3_T4_jPT5_SO_PNS1_23onesweep_lookback_stateET6_jjj,"axG",@progbits,_ZN7rocprim17ROCPRIM_304000_NS6detail25onesweep_iteration_kernelINS1_34wrapped_radix_sort_onesweep_configINS0_14default_configEdN2at4cuda3cub6detail10OpaqueTypeILi8EEEEELb1EPKdPdPKSA_PSA_mNS0_19identity_decomposerEEEvT1_T2_T3_T4_jPT5_SO_PNS1_23onesweep_lookback_stateET6_jjj,comdat
	.protected	_ZN7rocprim17ROCPRIM_304000_NS6detail25onesweep_iteration_kernelINS1_34wrapped_radix_sort_onesweep_configINS0_14default_configEdN2at4cuda3cub6detail10OpaqueTypeILi8EEEEELb1EPKdPdPKSA_PSA_mNS0_19identity_decomposerEEEvT1_T2_T3_T4_jPT5_SO_PNS1_23onesweep_lookback_stateET6_jjj ; -- Begin function _ZN7rocprim17ROCPRIM_304000_NS6detail25onesweep_iteration_kernelINS1_34wrapped_radix_sort_onesweep_configINS0_14default_configEdN2at4cuda3cub6detail10OpaqueTypeILi8EEEEELb1EPKdPdPKSA_PSA_mNS0_19identity_decomposerEEEvT1_T2_T3_T4_jPT5_SO_PNS1_23onesweep_lookback_stateET6_jjj
	.globl	_ZN7rocprim17ROCPRIM_304000_NS6detail25onesweep_iteration_kernelINS1_34wrapped_radix_sort_onesweep_configINS0_14default_configEdN2at4cuda3cub6detail10OpaqueTypeILi8EEEEELb1EPKdPdPKSA_PSA_mNS0_19identity_decomposerEEEvT1_T2_T3_T4_jPT5_SO_PNS1_23onesweep_lookback_stateET6_jjj
	.p2align	8
	.type	_ZN7rocprim17ROCPRIM_304000_NS6detail25onesweep_iteration_kernelINS1_34wrapped_radix_sort_onesweep_configINS0_14default_configEdN2at4cuda3cub6detail10OpaqueTypeILi8EEEEELb1EPKdPdPKSA_PSA_mNS0_19identity_decomposerEEEvT1_T2_T3_T4_jPT5_SO_PNS1_23onesweep_lookback_stateET6_jjj,@function
_ZN7rocprim17ROCPRIM_304000_NS6detail25onesweep_iteration_kernelINS1_34wrapped_radix_sort_onesweep_configINS0_14default_configEdN2at4cuda3cub6detail10OpaqueTypeILi8EEEEELb1EPKdPdPKSA_PSA_mNS0_19identity_decomposerEEEvT1_T2_T3_T4_jPT5_SO_PNS1_23onesweep_lookback_stateET6_jjj: ; @_ZN7rocprim17ROCPRIM_304000_NS6detail25onesweep_iteration_kernelINS1_34wrapped_radix_sort_onesweep_configINS0_14default_configEdN2at4cuda3cub6detail10OpaqueTypeILi8EEEEELb1EPKdPdPKSA_PSA_mNS0_19identity_decomposerEEEvT1_T2_T3_T4_jPT5_SO_PNS1_23onesweep_lookback_stateET6_jjj
; %bb.0:
	s_load_dwordx4 s[48:51], s[4:5], 0x44
	s_load_dwordx8 s[36:43], s[4:5], 0x0
	s_load_dwordx4 s[44:47], s[4:5], 0x28
	s_load_dwordx2 s[30:31], s[4:5], 0x38
	s_mul_i32 s34, s6, 0x1800
	s_waitcnt lgkmcnt(0)
	s_cmp_ge_u32 s6, s50
	v_mbcnt_lo_u32_b32 v1, -1, 0
	s_cbranch_scc0 .LBB149_86
; %bb.1:
	s_load_dword s0, s[4:5], 0x20
	s_mul_i32 s1, s50, 0xffffe800
	s_mov_b32 s35, 0
	s_lshl_b64 s[50:51], s[34:35], 3
	v_and_b32_e32 v8, 0x3ff, v0
	s_waitcnt lgkmcnt(0)
	s_add_i32 s35, s1, s0
	s_add_u32 s0, s36, s50
	v_mbcnt_hi_u32_b32 v21, -1, v1
	s_addc_u32 s1, s37, s51
	v_and_b32_e32 v2, 0x3c0, v8
	v_lshlrev_b32_e32 v9, 3, v21
	v_mul_u32_u24_e32 v2, 6, v2
	v_mov_b32_e32 v3, s1
	v_add_co_u32_e32 v4, vcc, s0, v9
	v_addc_co_u32_e32 v3, vcc, 0, v3, vcc
	v_lshlrev_b32_e32 v20, 3, v2
	v_add_co_u32_e32 v16, vcc, v4, v20
	v_addc_co_u32_e32 v17, vcc, 0, v3, vcc
	v_or_b32_e32 v18, v21, v2
	v_pk_mov_b32 v[6:7], -1, -1
	v_cmp_gt_u32_e32 vcc, s35, v18
	v_pk_mov_b32 v[2:3], v[6:7], v[6:7] op_sel:[0,1]
	s_and_saveexec_b64 s[0:1], vcc
	s_cbranch_execz .LBB149_3
; %bb.2:
	global_load_dwordx2 v[2:3], v[16:17], off
.LBB149_3:
	s_or_b64 exec, exec, s[0:1]
	v_add_u32_e32 v4, 64, v18
	v_cmp_gt_u32_e64 s[0:1], s35, v4
	s_and_saveexec_b64 s[2:3], s[0:1]
	s_cbranch_execz .LBB149_5
; %bb.4:
	global_load_dwordx2 v[6:7], v[16:17], off offset:512
.LBB149_5:
	s_or_b64 exec, exec, s[2:3]
	v_add_u32_e32 v4, 0x80, v18
	v_pk_mov_b32 v[14:15], -1, -1
	v_cmp_gt_u32_e64 s[2:3], s35, v4
	v_pk_mov_b32 v[10:11], v[14:15], v[14:15] op_sel:[0,1]
	s_and_saveexec_b64 s[8:9], s[2:3]
	s_cbranch_execz .LBB149_7
; %bb.6:
	global_load_dwordx2 v[10:11], v[16:17], off offset:1024
.LBB149_7:
	s_or_b64 exec, exec, s[8:9]
	v_add_u32_e32 v4, 0xc0, v18
	v_cmp_gt_u32_e64 s[26:27], s35, v4
	s_and_saveexec_b64 s[8:9], s[26:27]
	s_cbranch_execz .LBB149_9
; %bb.8:
	global_load_dwordx2 v[14:15], v[16:17], off offset:1536
.LBB149_9:
	s_or_b64 exec, exec, s[8:9]
	v_add_u32_e32 v4, 0x100, v18
	v_cmp_gt_u32_e64 s[8:9], s35, v4
	v_pk_mov_b32 v[4:5], -1, -1
	v_pk_mov_b32 v[12:13], v[4:5], v[4:5] op_sel:[0,1]
	s_and_saveexec_b64 s[10:11], s[8:9]
	s_cbranch_execz .LBB149_11
; %bb.10:
	global_load_dwordx2 v[12:13], v[16:17], off offset:2048
.LBB149_11:
	s_or_b64 exec, exec, s[10:11]
	v_add_u32_e32 v18, 0x140, v18
	v_cmp_gt_u32_e64 s[10:11], s35, v18
	s_and_saveexec_b64 s[12:13], s[10:11]
	s_cbranch_execz .LBB149_13
; %bb.12:
	global_load_dwordx2 v[4:5], v[16:17], off offset:2560
.LBB149_13:
	s_or_b64 exec, exec, s[12:13]
	s_load_dword s12, s[4:5], 0x5c
	s_load_dword s7, s[4:5], 0x50
	s_add_u32 s13, s4, 0x50
	s_addc_u32 s14, s5, 0
	v_mov_b32_e32 v16, 0
	s_waitcnt lgkmcnt(0)
	s_lshr_b32 s15, s12, 16
	s_cmp_lt_u32 s6, s7
	s_cselect_b32 s12, 12, 18
	s_add_u32 s12, s13, s12
	s_addc_u32 s13, s14, 0
	global_load_ushort v23, v16, s[12:13]
	v_bfrev_b32_e32 v25, -2
	s_waitcnt vmcnt(1)
	v_ashrrev_i32_e32 v17, 31, v3
	v_cmp_gt_i64_e64 s[12:13], 0, v[2:3]
	s_mov_b32 s16, 0
	v_cndmask_b32_e64 v19, v25, 0, s[12:13]
	v_not_b32_e32 v17, v17
	s_brev_b32 s17, 1
	v_xor_b32_e32 v3, v19, v3
	v_xor_b32_e32 v2, v17, v2
	v_mul_u32_u24_e32 v18, 5, v8
	v_cmp_ne_u64_e64 s[12:13], s[16:17], v[2:3]
	v_lshlrev_b32_e32 v22, 2, v18
	v_cndmask_b32_e64 v19, v25, v3, s[12:13]
	v_cndmask_b32_e64 v18, -1, v2, s[12:13]
	s_lshl_b32 s12, -1, s49
	v_bfe_u32 v24, v0, 10, 10
	v_bfe_u32 v26, v0, 20, 10
	v_lshrrev_b64 v[18:19], s48, v[18:19]
	s_not_b32 s33, s12
	v_mad_u32_u24 v19, v26, s15, v24
	v_and_b32_e32 v26, s33, v18
	v_and_b32_e32 v18, 1, v26
	v_add_co_u32_e64 v27, s[12:13], -1, v18
	v_lshlrev_b32_e32 v17, 30, v26
	v_addc_co_u32_e64 v28, s[12:13], 0, -1, s[12:13]
	v_cmp_ne_u32_e64 s[12:13], 0, v18
	v_cmp_gt_i64_e64 s[14:15], 0, v[16:17]
	v_not_b32_e32 v18, v17
	v_lshlrev_b32_e32 v17, 29, v26
	v_xor_b32_e32 v28, s13, v28
	v_xor_b32_e32 v27, s12, v27
	v_ashrrev_i32_e32 v18, 31, v18
	v_cmp_gt_i64_e64 s[12:13], 0, v[16:17]
	v_not_b32_e32 v29, v17
	v_lshlrev_b32_e32 v17, 28, v26
	v_and_b32_e32 v28, exec_hi, v28
	v_and_b32_e32 v27, exec_lo, v27
	v_xor_b32_e32 v30, s15, v18
	v_xor_b32_e32 v18, s14, v18
	v_ashrrev_i32_e32 v29, 31, v29
	v_cmp_gt_i64_e64 s[14:15], 0, v[16:17]
	v_not_b32_e32 v31, v17
	v_lshlrev_b32_e32 v17, 27, v26
	v_and_b32_e32 v28, v28, v30
	v_and_b32_e32 v18, v27, v18
	v_xor_b32_e32 v27, s13, v29
	v_xor_b32_e32 v29, s12, v29
	v_ashrrev_i32_e32 v30, 31, v31
	v_cmp_gt_i64_e64 s[12:13], 0, v[16:17]
	v_not_b32_e32 v31, v17
	v_lshlrev_b32_e32 v17, 26, v26
	v_and_b32_e32 v27, v28, v27
	v_and_b32_e32 v18, v18, v29
	v_xor_b32_e32 v28, s15, v30
	v_xor_b32_e32 v29, s14, v30
	v_ashrrev_i32_e32 v30, 31, v31
	v_cmp_gt_i64_e64 s[14:15], 0, v[16:17]
	v_not_b32_e32 v17, v17
	v_and_b32_e32 v27, v27, v28
	v_and_b32_e32 v18, v18, v29
	v_xor_b32_e32 v28, s13, v30
	v_xor_b32_e32 v29, s12, v30
	v_ashrrev_i32_e32 v17, 31, v17
	v_and_b32_e32 v27, v27, v28
	v_and_b32_e32 v18, v18, v29
	v_xor_b32_e32 v28, s15, v17
	v_xor_b32_e32 v17, s14, v17
	v_and_b32_e32 v27, v27, v28
	v_and_b32_e32 v28, v18, v17
	v_lshlrev_b32_e32 v17, 25, v26
	v_lshl_add_u32 v24, v26, 4, v26
	ds_write2_b32 v22, v16, v16 offset0:16 offset1:17
	ds_write2_b32 v22, v16, v16 offset0:18 offset1:19
	ds_write_b32 v22, v16 offset:80
	s_waitcnt lgkmcnt(0)
	s_barrier
	s_waitcnt lgkmcnt(0)
	; wave barrier
	s_waitcnt vmcnt(0)
	v_mad_u64_u32 v[18:19], s[12:13], v19, v23, v[8:9]
	v_cmp_gt_i64_e64 s[12:13], 0, v[16:17]
	v_not_b32_e32 v17, v17
	v_ashrrev_i32_e32 v17, 31, v17
	v_lshrrev_b32_e32 v30, 6, v18
	v_xor_b32_e32 v18, s13, v17
	v_xor_b32_e32 v17, s12, v17
	v_and_b32_e32 v23, v28, v17
	v_lshlrev_b32_e32 v17, 24, v26
	v_cmp_gt_i64_e64 s[12:13], 0, v[16:17]
	v_not_b32_e32 v17, v17
	v_ashrrev_i32_e32 v17, 31, v17
	v_and_b32_e32 v18, v27, v18
	v_xor_b32_e32 v19, s13, v17
	v_xor_b32_e32 v17, s12, v17
	v_and_b32_e32 v19, v18, v19
	v_and_b32_e32 v18, v23, v17
	v_mbcnt_lo_u32_b32 v17, v18, 0
	v_mbcnt_hi_u32_b32 v23, v19, v17
	v_cmp_eq_u32_e64 s[12:13], 0, v23
	v_cmp_ne_u64_e64 s[14:15], 0, v[18:19]
	v_add_lshl_u32 v24, v30, v24, 2
	s_and_b64 s[14:15], s[14:15], s[12:13]
	s_and_saveexec_b64 s[12:13], s[14:15]
	s_cbranch_execz .LBB149_15
; %bb.14:
	v_bcnt_u32_b32 v17, v18, 0
	v_bcnt_u32_b32 v17, v19, v17
	ds_write_b32 v24, v17 offset:64
.LBB149_15:
	s_or_b64 exec, exec, s[12:13]
	v_cmp_gt_i64_e64 s[12:13], 0, v[6:7]
	v_ashrrev_i32_e32 v18, 31, v7
	v_cndmask_b32_e64 v17, v25, 0, s[12:13]
	v_not_b32_e32 v18, v18
	v_xor_b32_e32 v7, v17, v7
	v_xor_b32_e32 v6, v18, v6
	v_cmp_ne_u64_e64 s[12:13], s[16:17], v[6:7]
	v_cndmask_b32_e64 v19, v25, v7, s[12:13]
	v_cndmask_b32_e64 v18, -1, v6, s[12:13]
	v_lshrrev_b64 v[18:19], s48, v[18:19]
	v_and_b32_e32 v18, s33, v18
	v_lshl_add_u32 v17, v18, 4, v18
	v_add_lshl_u32 v26, v30, v17, 2
	v_and_b32_e32 v17, 1, v18
	v_add_co_u32_e64 v19, s[12:13], -1, v17
	v_addc_co_u32_e64 v27, s[12:13], 0, -1, s[12:13]
	v_cmp_ne_u32_e64 s[12:13], 0, v17
	v_xor_b32_e32 v17, s13, v27
	v_and_b32_e32 v27, exec_hi, v17
	v_lshlrev_b32_e32 v17, 30, v18
	v_xor_b32_e32 v19, s12, v19
	v_cmp_gt_i64_e64 s[12:13], 0, v[16:17]
	v_not_b32_e32 v17, v17
	v_ashrrev_i32_e32 v17, 31, v17
	v_and_b32_e32 v19, exec_lo, v19
	v_xor_b32_e32 v28, s13, v17
	v_xor_b32_e32 v17, s12, v17
	v_and_b32_e32 v19, v19, v17
	v_lshlrev_b32_e32 v17, 29, v18
	v_cmp_gt_i64_e64 s[12:13], 0, v[16:17]
	v_not_b32_e32 v17, v17
	v_ashrrev_i32_e32 v17, 31, v17
	v_and_b32_e32 v27, v27, v28
	v_xor_b32_e32 v28, s13, v17
	v_xor_b32_e32 v17, s12, v17
	v_and_b32_e32 v19, v19, v17
	v_lshlrev_b32_e32 v17, 28, v18
	v_cmp_gt_i64_e64 s[12:13], 0, v[16:17]
	v_not_b32_e32 v17, v17
	v_ashrrev_i32_e32 v17, 31, v17
	v_and_b32_e32 v27, v27, v28
	;; [unrolled: 8-line block ×5, first 2 shown]
	v_xor_b32_e32 v28, s13, v17
	v_xor_b32_e32 v17, s12, v17
	v_and_b32_e32 v19, v19, v17
	v_lshlrev_b32_e32 v17, 24, v18
	v_cmp_gt_i64_e64 s[12:13], 0, v[16:17]
	v_not_b32_e32 v16, v17
	v_ashrrev_i32_e32 v16, 31, v16
	v_xor_b32_e32 v17, s13, v16
	v_xor_b32_e32 v16, s12, v16
	; wave barrier
	ds_read_b32 v25, v26 offset:64
	v_and_b32_e32 v27, v27, v28
	v_and_b32_e32 v16, v19, v16
	;; [unrolled: 1-line block ×3, first 2 shown]
	v_mbcnt_lo_u32_b32 v18, v16, 0
	v_mbcnt_hi_u32_b32 v27, v17, v18
	v_cmp_eq_u32_e64 s[12:13], 0, v27
	v_cmp_ne_u64_e64 s[14:15], 0, v[16:17]
	s_and_b64 s[14:15], s[14:15], s[12:13]
	; wave barrier
	s_and_saveexec_b64 s[12:13], s[14:15]
	s_cbranch_execz .LBB149_17
; %bb.16:
	v_bcnt_u32_b32 v16, v16, 0
	v_bcnt_u32_b32 v16, v17, v16
	s_waitcnt lgkmcnt(0)
	v_add_u32_e32 v16, v25, v16
	ds_write_b32 v26, v16 offset:64
.LBB149_17:
	s_or_b64 exec, exec, s[12:13]
	v_bfrev_b32_e32 v32, -2
	v_cmp_gt_i64_e64 s[12:13], 0, v[10:11]
	v_ashrrev_i32_e32 v18, 31, v11
	v_cndmask_b32_e64 v17, v32, 0, s[12:13]
	v_not_b32_e32 v18, v18
	v_xor_b32_e32 v11, v17, v11
	v_xor_b32_e32 v10, v18, v10
	v_cmp_ne_u64_e64 s[12:13], s[16:17], v[10:11]
	v_cndmask_b32_e64 v19, v32, v11, s[12:13]
	v_cndmask_b32_e64 v18, -1, v10, s[12:13]
	v_lshrrev_b64 v[18:19], s48, v[18:19]
	v_and_b32_e32 v18, s33, v18
	v_lshl_add_u32 v17, v18, 4, v18
	v_add_lshl_u32 v29, v30, v17, 2
	v_and_b32_e32 v17, 1, v18
	v_add_co_u32_e64 v19, s[12:13], -1, v17
	v_addc_co_u32_e64 v31, s[12:13], 0, -1, s[12:13]
	v_cmp_ne_u32_e64 s[12:13], 0, v17
	v_xor_b32_e32 v17, s13, v31
	v_mov_b32_e32 v16, 0
	v_and_b32_e32 v31, exec_hi, v17
	v_lshlrev_b32_e32 v17, 30, v18
	v_xor_b32_e32 v19, s12, v19
	v_cmp_gt_i64_e64 s[12:13], 0, v[16:17]
	v_not_b32_e32 v17, v17
	v_ashrrev_i32_e32 v17, 31, v17
	v_and_b32_e32 v19, exec_lo, v19
	v_xor_b32_e32 v33, s13, v17
	v_xor_b32_e32 v17, s12, v17
	v_and_b32_e32 v19, v19, v17
	v_lshlrev_b32_e32 v17, 29, v18
	v_cmp_gt_i64_e64 s[12:13], 0, v[16:17]
	v_not_b32_e32 v17, v17
	v_ashrrev_i32_e32 v17, 31, v17
	v_and_b32_e32 v31, v31, v33
	v_xor_b32_e32 v33, s13, v17
	v_xor_b32_e32 v17, s12, v17
	v_and_b32_e32 v19, v19, v17
	v_lshlrev_b32_e32 v17, 28, v18
	v_cmp_gt_i64_e64 s[12:13], 0, v[16:17]
	v_not_b32_e32 v17, v17
	v_ashrrev_i32_e32 v17, 31, v17
	v_and_b32_e32 v31, v31, v33
	v_xor_b32_e32 v33, s13, v17
	v_xor_b32_e32 v17, s12, v17
	v_and_b32_e32 v19, v19, v17
	v_lshlrev_b32_e32 v17, 27, v18
	v_cmp_gt_i64_e64 s[12:13], 0, v[16:17]
	v_not_b32_e32 v17, v17
	v_ashrrev_i32_e32 v17, 31, v17
	v_and_b32_e32 v31, v31, v33
	v_xor_b32_e32 v33, s13, v17
	v_xor_b32_e32 v17, s12, v17
	v_and_b32_e32 v19, v19, v17
	v_lshlrev_b32_e32 v17, 26, v18
	v_cmp_gt_i64_e64 s[12:13], 0, v[16:17]
	v_not_b32_e32 v17, v17
	v_ashrrev_i32_e32 v17, 31, v17
	v_and_b32_e32 v31, v31, v33
	v_xor_b32_e32 v33, s13, v17
	v_xor_b32_e32 v17, s12, v17
	v_and_b32_e32 v19, v19, v17
	v_lshlrev_b32_e32 v17, 25, v18
	v_cmp_gt_i64_e64 s[12:13], 0, v[16:17]
	v_not_b32_e32 v17, v17
	v_ashrrev_i32_e32 v17, 31, v17
	v_and_b32_e32 v31, v31, v33
	v_xor_b32_e32 v33, s13, v17
	v_xor_b32_e32 v17, s12, v17
	v_and_b32_e32 v31, v31, v33
	v_and_b32_e32 v33, v19, v17
	v_lshlrev_b32_e32 v17, 24, v18
	v_cmp_gt_i64_e64 s[12:13], 0, v[16:17]
	v_not_b32_e32 v17, v17
	v_ashrrev_i32_e32 v17, 31, v17
	v_xor_b32_e32 v18, s13, v17
	v_xor_b32_e32 v17, s12, v17
	; wave barrier
	ds_read_b32 v28, v29 offset:64
	v_and_b32_e32 v19, v31, v18
	v_and_b32_e32 v18, v33, v17
	v_mbcnt_lo_u32_b32 v17, v18, 0
	v_mbcnt_hi_u32_b32 v31, v19, v17
	v_cmp_eq_u32_e64 s[12:13], 0, v31
	v_cmp_ne_u64_e64 s[14:15], 0, v[18:19]
	s_and_b64 s[14:15], s[14:15], s[12:13]
	; wave barrier
	s_and_saveexec_b64 s[12:13], s[14:15]
	s_cbranch_execz .LBB149_19
; %bb.18:
	v_bcnt_u32_b32 v17, v18, 0
	v_bcnt_u32_b32 v17, v19, v17
	s_waitcnt lgkmcnt(0)
	v_add_u32_e32 v17, v28, v17
	ds_write_b32 v29, v17 offset:64
.LBB149_19:
	s_or_b64 exec, exec, s[12:13]
	v_cmp_gt_i64_e64 s[12:13], 0, v[14:15]
	v_ashrrev_i32_e32 v18, 31, v15
	v_cndmask_b32_e64 v17, v32, 0, s[12:13]
	v_not_b32_e32 v18, v18
	v_xor_b32_e32 v15, v17, v15
	v_xor_b32_e32 v14, v18, v14
	v_cmp_ne_u64_e64 s[12:13], s[16:17], v[14:15]
	v_cndmask_b32_e64 v19, v32, v15, s[12:13]
	v_cndmask_b32_e64 v18, -1, v14, s[12:13]
	v_lshrrev_b64 v[18:19], s48, v[18:19]
	v_and_b32_e32 v18, s33, v18
	v_lshl_add_u32 v17, v18, 4, v18
	v_add_lshl_u32 v33, v30, v17, 2
	v_and_b32_e32 v17, 1, v18
	v_add_co_u32_e64 v19, s[12:13], -1, v17
	v_addc_co_u32_e64 v34, s[12:13], 0, -1, s[12:13]
	v_cmp_ne_u32_e64 s[12:13], 0, v17
	v_xor_b32_e32 v17, s13, v34
	v_and_b32_e32 v34, exec_hi, v17
	v_lshlrev_b32_e32 v17, 30, v18
	v_xor_b32_e32 v19, s12, v19
	v_cmp_gt_i64_e64 s[12:13], 0, v[16:17]
	v_not_b32_e32 v17, v17
	v_ashrrev_i32_e32 v17, 31, v17
	v_and_b32_e32 v19, exec_lo, v19
	v_xor_b32_e32 v35, s13, v17
	v_xor_b32_e32 v17, s12, v17
	v_and_b32_e32 v19, v19, v17
	v_lshlrev_b32_e32 v17, 29, v18
	v_cmp_gt_i64_e64 s[12:13], 0, v[16:17]
	v_not_b32_e32 v17, v17
	v_ashrrev_i32_e32 v17, 31, v17
	v_and_b32_e32 v34, v34, v35
	v_xor_b32_e32 v35, s13, v17
	v_xor_b32_e32 v17, s12, v17
	v_and_b32_e32 v19, v19, v17
	v_lshlrev_b32_e32 v17, 28, v18
	v_cmp_gt_i64_e64 s[12:13], 0, v[16:17]
	v_not_b32_e32 v17, v17
	v_ashrrev_i32_e32 v17, 31, v17
	v_and_b32_e32 v34, v34, v35
	;; [unrolled: 8-line block ×5, first 2 shown]
	v_xor_b32_e32 v35, s13, v17
	v_xor_b32_e32 v17, s12, v17
	v_and_b32_e32 v19, v19, v17
	v_lshlrev_b32_e32 v17, 24, v18
	v_cmp_gt_i64_e64 s[12:13], 0, v[16:17]
	v_not_b32_e32 v16, v17
	v_ashrrev_i32_e32 v16, 31, v16
	v_xor_b32_e32 v17, s13, v16
	v_xor_b32_e32 v16, s12, v16
	; wave barrier
	ds_read_b32 v32, v33 offset:64
	v_and_b32_e32 v34, v34, v35
	v_and_b32_e32 v16, v19, v16
	;; [unrolled: 1-line block ×3, first 2 shown]
	v_mbcnt_lo_u32_b32 v18, v16, 0
	v_mbcnt_hi_u32_b32 v34, v17, v18
	v_cmp_eq_u32_e64 s[12:13], 0, v34
	v_cmp_ne_u64_e64 s[14:15], 0, v[16:17]
	s_and_b64 s[14:15], s[14:15], s[12:13]
	; wave barrier
	s_and_saveexec_b64 s[12:13], s[14:15]
	s_cbranch_execz .LBB149_21
; %bb.20:
	v_bcnt_u32_b32 v16, v16, 0
	v_bcnt_u32_b32 v16, v17, v16
	s_waitcnt lgkmcnt(0)
	v_add_u32_e32 v16, v32, v16
	ds_write_b32 v33, v16 offset:64
.LBB149_21:
	s_or_b64 exec, exec, s[12:13]
	v_bfrev_b32_e32 v39, -2
	v_cmp_gt_i64_e64 s[12:13], 0, v[12:13]
	v_ashrrev_i32_e32 v17, 31, v13
	v_cndmask_b32_e64 v16, v39, 0, s[12:13]
	v_not_b32_e32 v17, v17
	v_xor_b32_e32 v13, v16, v13
	v_xor_b32_e32 v12, v17, v12
	v_cmp_ne_u64_e64 s[12:13], s[16:17], v[12:13]
	v_cndmask_b32_e64 v17, v39, v13, s[12:13]
	v_cndmask_b32_e64 v16, -1, v12, s[12:13]
	v_lshrrev_b64 v[16:17], s48, v[16:17]
	v_and_b32_e32 v16, s33, v16
	v_lshl_add_u32 v17, v16, 4, v16
	v_add_lshl_u32 v36, v30, v17, 2
	v_and_b32_e32 v17, 1, v16
	v_add_co_u32_e64 v19, s[12:13], -1, v17
	v_addc_co_u32_e64 v37, s[12:13], 0, -1, s[12:13]
	v_cmp_ne_u32_e64 s[12:13], 0, v17
	v_xor_b32_e32 v19, s12, v19
	v_mov_b32_e32 v18, 0
	v_xor_b32_e32 v17, s13, v37
	v_and_b32_e32 v37, exec_lo, v19
	v_lshlrev_b32_e32 v19, 30, v16
	v_cmp_gt_i64_e64 s[12:13], 0, v[18:19]
	v_not_b32_e32 v19, v19
	v_ashrrev_i32_e32 v19, 31, v19
	v_xor_b32_e32 v38, s13, v19
	v_xor_b32_e32 v19, s12, v19
	v_and_b32_e32 v37, v37, v19
	v_lshlrev_b32_e32 v19, 29, v16
	v_cmp_gt_i64_e64 s[12:13], 0, v[18:19]
	v_not_b32_e32 v19, v19
	v_and_b32_e32 v17, exec_hi, v17
	v_ashrrev_i32_e32 v19, 31, v19
	v_and_b32_e32 v17, v17, v38
	v_xor_b32_e32 v38, s13, v19
	v_xor_b32_e32 v19, s12, v19
	v_and_b32_e32 v37, v37, v19
	v_lshlrev_b32_e32 v19, 28, v16
	v_cmp_gt_i64_e64 s[12:13], 0, v[18:19]
	v_not_b32_e32 v19, v19
	v_ashrrev_i32_e32 v19, 31, v19
	v_and_b32_e32 v17, v17, v38
	v_xor_b32_e32 v38, s13, v19
	v_xor_b32_e32 v19, s12, v19
	v_and_b32_e32 v37, v37, v19
	v_lshlrev_b32_e32 v19, 27, v16
	v_cmp_gt_i64_e64 s[12:13], 0, v[18:19]
	v_not_b32_e32 v19, v19
	;; [unrolled: 8-line block ×4, first 2 shown]
	v_ashrrev_i32_e32 v19, 31, v19
	v_and_b32_e32 v17, v17, v38
	v_xor_b32_e32 v38, s13, v19
	v_xor_b32_e32 v19, s12, v19
	v_and_b32_e32 v37, v37, v19
	v_lshlrev_b32_e32 v19, 24, v16
	v_not_b32_e32 v16, v19
	v_cmp_gt_i64_e64 s[12:13], 0, v[18:19]
	v_ashrrev_i32_e32 v16, 31, v16
	v_xor_b32_e32 v19, s13, v16
	v_xor_b32_e32 v16, s12, v16
	; wave barrier
	ds_read_b32 v35, v36 offset:64
	v_and_b32_e32 v17, v17, v38
	v_and_b32_e32 v16, v37, v16
	;; [unrolled: 1-line block ×3, first 2 shown]
	v_mbcnt_lo_u32_b32 v19, v16, 0
	v_mbcnt_hi_u32_b32 v37, v17, v19
	v_cmp_eq_u32_e64 s[12:13], 0, v37
	v_cmp_ne_u64_e64 s[14:15], 0, v[16:17]
	s_and_b64 s[14:15], s[14:15], s[12:13]
	; wave barrier
	s_and_saveexec_b64 s[12:13], s[14:15]
	s_cbranch_execz .LBB149_23
; %bb.22:
	v_bcnt_u32_b32 v16, v16, 0
	v_bcnt_u32_b32 v16, v17, v16
	s_waitcnt lgkmcnt(0)
	v_add_u32_e32 v16, v35, v16
	ds_write_b32 v36, v16 offset:64
.LBB149_23:
	s_or_b64 exec, exec, s[12:13]
	v_cmp_gt_i64_e64 s[12:13], 0, v[4:5]
	v_ashrrev_i32_e32 v17, 31, v5
	v_cndmask_b32_e64 v16, v39, 0, s[12:13]
	v_not_b32_e32 v19, v17
	v_xor_b32_e32 v17, v16, v5
	v_xor_b32_e32 v16, v19, v4
	v_cmp_ne_u64_e64 s[12:13], s[16:17], v[16:17]
	v_cndmask_b32_e64 v5, v39, v17, s[12:13]
	v_cndmask_b32_e64 v4, -1, v16, s[12:13]
	v_lshrrev_b64 v[4:5], s48, v[4:5]
	v_and_b32_e32 v4, s33, v4
	v_lshl_add_u32 v5, v4, 4, v4
	v_add_lshl_u32 v39, v5, v30, 2
	v_and_b32_e32 v5, 1, v4
	v_add_co_u32_e64 v19, s[12:13], -1, v5
	v_addc_co_u32_e64 v40, s[12:13], 0, -1, s[12:13]
	v_cmp_ne_u32_e64 s[12:13], 0, v5
	v_xor_b32_e32 v19, s12, v19
	v_xor_b32_e32 v5, s13, v40
	v_and_b32_e32 v40, exec_lo, v19
	v_lshlrev_b32_e32 v19, 30, v4
	v_cmp_gt_i64_e64 s[12:13], 0, v[18:19]
	v_not_b32_e32 v19, v19
	v_ashrrev_i32_e32 v19, 31, v19
	v_xor_b32_e32 v41, s13, v19
	v_xor_b32_e32 v19, s12, v19
	v_and_b32_e32 v40, v40, v19
	v_lshlrev_b32_e32 v19, 29, v4
	v_cmp_gt_i64_e64 s[12:13], 0, v[18:19]
	v_not_b32_e32 v19, v19
	v_and_b32_e32 v5, exec_hi, v5
	v_ashrrev_i32_e32 v19, 31, v19
	v_and_b32_e32 v5, v5, v41
	v_xor_b32_e32 v41, s13, v19
	v_xor_b32_e32 v19, s12, v19
	v_and_b32_e32 v40, v40, v19
	v_lshlrev_b32_e32 v19, 28, v4
	v_cmp_gt_i64_e64 s[12:13], 0, v[18:19]
	v_not_b32_e32 v19, v19
	v_ashrrev_i32_e32 v19, 31, v19
	v_and_b32_e32 v5, v5, v41
	v_xor_b32_e32 v41, s13, v19
	v_xor_b32_e32 v19, s12, v19
	v_and_b32_e32 v40, v40, v19
	v_lshlrev_b32_e32 v19, 27, v4
	v_cmp_gt_i64_e64 s[12:13], 0, v[18:19]
	v_not_b32_e32 v19, v19
	;; [unrolled: 8-line block ×4, first 2 shown]
	v_ashrrev_i32_e32 v19, 31, v19
	v_and_b32_e32 v5, v5, v41
	v_xor_b32_e32 v41, s13, v19
	v_xor_b32_e32 v19, s12, v19
	v_and_b32_e32 v40, v40, v19
	v_lshlrev_b32_e32 v19, 24, v4
	v_not_b32_e32 v4, v19
	v_cmp_gt_i64_e64 s[12:13], 0, v[18:19]
	v_ashrrev_i32_e32 v4, 31, v4
	v_xor_b32_e32 v18, s13, v4
	v_xor_b32_e32 v4, s12, v4
	; wave barrier
	ds_read_b32 v30, v39 offset:64
	v_and_b32_e32 v5, v5, v41
	v_and_b32_e32 v4, v40, v4
	;; [unrolled: 1-line block ×3, first 2 shown]
	v_mbcnt_lo_u32_b32 v18, v4, 0
	v_mbcnt_hi_u32_b32 v40, v5, v18
	v_cmp_eq_u32_e64 s[12:13], 0, v40
	v_cmp_ne_u64_e64 s[14:15], 0, v[4:5]
	v_add_u32_e32 v38, 64, v22
	s_and_b64 s[14:15], s[14:15], s[12:13]
	; wave barrier
	s_and_saveexec_b64 s[12:13], s[14:15]
	s_cbranch_execz .LBB149_25
; %bb.24:
	v_bcnt_u32_b32 v4, v4, 0
	v_bcnt_u32_b32 v4, v5, v4
	s_waitcnt lgkmcnt(0)
	v_add_u32_e32 v4, v30, v4
	ds_write_b32 v39, v4 offset:64
.LBB149_25:
	s_or_b64 exec, exec, s[12:13]
	; wave barrier
	s_waitcnt lgkmcnt(0)
	s_barrier
	ds_read2_b32 v[18:19], v22 offset0:16 offset1:17
	ds_read2_b32 v[4:5], v38 offset0:2 offset1:3
	ds_read_b32 v41, v38 offset:16
	v_cmp_lt_u32_e64 s[20:21], 31, v21
	s_waitcnt lgkmcnt(1)
	v_add3_u32 v42, v19, v18, v4
	s_waitcnt lgkmcnt(0)
	v_add3_u32 v41, v42, v5, v41
	v_and_b32_e32 v42, 15, v21
	v_cmp_eq_u32_e64 s[12:13], 0, v42
	v_mov_b32_dpp v43, v41 row_shr:1 row_mask:0xf bank_mask:0xf
	v_cndmask_b32_e64 v43, v43, 0, s[12:13]
	v_add_u32_e32 v41, v43, v41
	v_cmp_lt_u32_e64 s[14:15], 1, v42
	v_cmp_lt_u32_e64 s[16:17], 3, v42
	v_mov_b32_dpp v43, v41 row_shr:2 row_mask:0xf bank_mask:0xf
	v_cndmask_b32_e64 v43, 0, v43, s[14:15]
	v_add_u32_e32 v41, v41, v43
	v_cmp_lt_u32_e64 s[18:19], 7, v42
	s_nop 0
	v_mov_b32_dpp v43, v41 row_shr:4 row_mask:0xf bank_mask:0xf
	v_cndmask_b32_e64 v43, 0, v43, s[16:17]
	v_add_u32_e32 v41, v41, v43
	s_nop 1
	v_mov_b32_dpp v43, v41 row_shr:8 row_mask:0xf bank_mask:0xf
	v_cndmask_b32_e64 v42, 0, v43, s[18:19]
	v_add_u32_e32 v41, v41, v42
	v_bfe_i32 v43, v21, 4, 1
	s_nop 0
	v_mov_b32_dpp v42, v41 row_bcast:15 row_mask:0xf bank_mask:0xf
	v_and_b32_e32 v42, v43, v42
	v_add_u32_e32 v41, v41, v42
	v_and_b32_e32 v43, 63, v8
	s_nop 0
	v_mov_b32_dpp v42, v41 row_bcast:31 row_mask:0xf bank_mask:0xf
	v_cndmask_b32_e64 v42, 0, v42, s[20:21]
	v_add_u32_e32 v41, v41, v42
	v_lshrrev_b32_e32 v42, 6, v8
	v_cmp_eq_u32_e64 s[20:21], 63, v43
	s_and_saveexec_b64 s[22:23], s[20:21]
	s_cbranch_execz .LBB149_27
; %bb.26:
	v_lshlrev_b32_e32 v43, 2, v42
	ds_write_b32 v43, v41
.LBB149_27:
	s_or_b64 exec, exec, s[22:23]
	v_cmp_gt_u32_e64 s[20:21], 16, v8
	s_waitcnt lgkmcnt(0)
	s_barrier
	s_and_saveexec_b64 s[22:23], s[20:21]
	s_cbranch_execz .LBB149_29
; %bb.28:
	v_lshlrev_b32_e32 v43, 2, v8
	ds_read_b32 v44, v43
	s_waitcnt lgkmcnt(0)
	s_nop 0
	v_mov_b32_dpp v45, v44 row_shr:1 row_mask:0xf bank_mask:0xf
	v_cndmask_b32_e64 v45, v45, 0, s[12:13]
	v_add_u32_e32 v44, v45, v44
	s_nop 1
	v_mov_b32_dpp v45, v44 row_shr:2 row_mask:0xf bank_mask:0xf
	v_cndmask_b32_e64 v45, 0, v45, s[14:15]
	v_add_u32_e32 v44, v44, v45
	;; [unrolled: 4-line block ×4, first 2 shown]
	ds_write_b32 v43, v44
.LBB149_29:
	s_or_b64 exec, exec, s[22:23]
	v_cmp_lt_u32_e64 s[12:13], 63, v8
	v_mov_b32_e32 v43, 0
	s_waitcnt lgkmcnt(0)
	s_barrier
	s_and_saveexec_b64 s[14:15], s[12:13]
	s_cbranch_execz .LBB149_31
; %bb.30:
	v_lshl_add_u32 v42, v42, 2, -4
	ds_read_b32 v43, v42
.LBB149_31:
	s_or_b64 exec, exec, s[14:15]
	v_add_u32_e32 v42, -1, v21
	v_and_b32_e32 v44, 64, v21
	v_cmp_lt_i32_e64 s[12:13], v42, v44
	v_cndmask_b32_e64 v42, v42, v21, s[12:13]
	s_waitcnt lgkmcnt(0)
	v_add_u32_e32 v41, v43, v41
	v_lshlrev_b32_e32 v42, 2, v42
	ds_bpermute_b32 v41, v42, v41
	v_cmp_eq_u32_e64 s[12:13], 0, v21
	s_waitcnt lgkmcnt(0)
	v_cndmask_b32_e64 v21, v41, v43, s[12:13]
	v_cmp_ne_u32_e64 s[12:13], 0, v8
	v_cndmask_b32_e64 v21, 0, v21, s[12:13]
	v_add_u32_e32 v18, v21, v18
	v_add_u32_e32 v19, v18, v19
	;; [unrolled: 1-line block ×4, first 2 shown]
	ds_write2_b32 v22, v21, v18 offset0:16 offset1:17
	ds_write2_b32 v38, v19, v4 offset0:2 offset1:3
	ds_write_b32 v38, v5 offset:16
	s_waitcnt lgkmcnt(0)
	s_barrier
	ds_read_b32 v22, v24 offset:64
	ds_read_b32 v38, v26 offset:64
	ds_read_b32 v24, v29 offset:64
	ds_read_b32 v26, v33 offset:64
	ds_read_b32 v19, v36 offset:64
	ds_read_b32 v18, v39 offset:64
	s_movk_i32 s12, 0x100
	v_cmp_gt_u32_e64 s[12:13], s12, v8
	v_pk_mov_b32 v[4:5], 0, 0
                                        ; implicit-def: $vgpr21
	s_and_saveexec_b64 s[16:17], s[12:13]
	s_cbranch_execz .LBB149_35
; %bb.32:
	v_mul_u32_u24_e32 v4, 17, v8
	v_lshlrev_b32_e32 v21, 2, v4
	ds_read_b32 v4, v21 offset:64
	s_movk_i32 s14, 0xff
	v_cmp_ne_u32_e64 s[14:15], s14, v8
	v_mov_b32_e32 v5, 0x1800
	s_and_saveexec_b64 s[18:19], s[14:15]
	s_cbranch_execz .LBB149_34
; %bb.33:
	ds_read_b32 v5, v21 offset:132
.LBB149_34:
	s_or_b64 exec, exec, s[18:19]
	s_waitcnt lgkmcnt(0)
	v_sub_u32_e32 v21, v5, v4
	v_mov_b32_e32 v5, 0
.LBB149_35:
	s_or_b64 exec, exec, s[16:17]
	v_add_u32_e32 v29, v40, v30
	v_add_u32_e32 v30, v37, v35
	;; [unrolled: 1-line block ×5, first 2 shown]
	s_waitcnt lgkmcnt(5)
	v_add_lshl_u32 v22, v22, v23, 3
	s_waitcnt lgkmcnt(4)
	v_add_lshl_u32 v23, v25, v38, 3
	;; [unrolled: 2-line block ×6, first 2 shown]
	s_barrier
	ds_write_b64 v22, v[2:3] offset:2048
	ds_write_b64 v23, v[6:7] offset:2048
	;; [unrolled: 1-line block ×6, first 2 shown]
	s_waitcnt lgkmcnt(0)
	s_barrier
	s_and_saveexec_b64 s[16:17], s[12:13]
	s_cbranch_execz .LBB149_45
; %bb.36:
	v_lshl_or_b32 v2, s6, 8, v8
	v_mov_b32_e32 v3, 0
	v_lshlrev_b64 v[6:7], 2, v[2:3]
	v_mov_b32_e32 v12, s31
	v_add_co_u32_e64 v6, s[14:15], s30, v6
	v_addc_co_u32_e64 v7, s[14:15], v12, v7, s[14:15]
	v_or_b32_e32 v2, 2.0, v21
	s_mov_b64 s[18:19], 0
	s_brev_b32 s24, 1
	s_mov_b32 s25, s6
	v_mov_b32_e32 v13, 0
	global_store_dword v[6:7], v2, off
                                        ; implicit-def: $sgpr14_sgpr15
	s_branch .LBB149_38
.LBB149_37:                             ;   in Loop: Header=BB149_38 Depth=1
	s_or_b64 exec, exec, s[20:21]
	v_and_b32_e32 v10, 0x3fffffff, v14
	v_add_u32_e32 v13, v10, v13
	v_cmp_eq_u32_e64 s[14:15], s24, v2
	s_and_b64 s[20:21], exec, s[14:15]
	s_or_b64 s[18:19], s[20:21], s[18:19]
	s_andn2_b64 exec, exec, s[18:19]
	s_cbranch_execz .LBB149_44
.LBB149_38:                             ; =>This Loop Header: Depth=1
                                        ;     Child Loop BB149_41 Depth 2
	s_or_b64 s[14:15], s[14:15], exec
	s_cmp_eq_u32 s25, 0
	s_cbranch_scc1 .LBB149_43
; %bb.39:                               ;   in Loop: Header=BB149_38 Depth=1
	s_add_i32 s25, s25, -1
	v_lshl_or_b32 v2, s25, 8, v8
	v_lshlrev_b64 v[10:11], 2, v[2:3]
	v_add_co_u32_e64 v10, s[14:15], s30, v10
	v_addc_co_u32_e64 v11, s[14:15], v12, v11, s[14:15]
	global_load_dword v14, v[10:11], off glc
	s_waitcnt vmcnt(0)
	v_and_b32_e32 v2, -2.0, v14
	v_cmp_eq_u32_e64 s[14:15], 0, v2
	s_and_saveexec_b64 s[20:21], s[14:15]
	s_cbranch_execz .LBB149_37
; %bb.40:                               ;   in Loop: Header=BB149_38 Depth=1
	s_mov_b64 s[22:23], 0
.LBB149_41:                             ;   Parent Loop BB149_38 Depth=1
                                        ; =>  This Inner Loop Header: Depth=2
	global_load_dword v14, v[10:11], off glc
	s_waitcnt vmcnt(0)
	v_and_b32_e32 v2, -2.0, v14
	v_cmp_ne_u32_e64 s[14:15], 0, v2
	s_or_b64 s[22:23], s[14:15], s[22:23]
	s_andn2_b64 exec, exec, s[22:23]
	s_cbranch_execnz .LBB149_41
; %bb.42:                               ;   in Loop: Header=BB149_38 Depth=1
	s_or_b64 exec, exec, s[22:23]
	s_branch .LBB149_37
.LBB149_43:                             ;   in Loop: Header=BB149_38 Depth=1
                                        ; implicit-def: $sgpr25
	s_and_b64 s[20:21], exec, s[14:15]
	s_or_b64 s[18:19], s[20:21], s[18:19]
	s_andn2_b64 exec, exec, s[18:19]
	s_cbranch_execnz .LBB149_38
.LBB149_44:
	s_or_b64 exec, exec, s[18:19]
	v_add_u32_e32 v2, v13, v21
	v_or_b32_e32 v2, 0x80000000, v2
	global_store_dword v[6:7], v2, off
	v_lshlrev_b32_e32 v6, 3, v8
	global_load_dwordx2 v[2:3], v6, s[44:45]
	v_sub_co_u32_e64 v7, s[14:15], v13, v4
	v_subb_co_u32_e64 v10, s[14:15], 0, v5, s[14:15]
	s_waitcnt vmcnt(0)
	v_add_co_u32_e64 v2, s[14:15], v7, v2
	v_addc_co_u32_e64 v3, s[14:15], v10, v3, s[14:15]
	ds_write_b64 v6, v[2:3]
.LBB149_45:
	s_or_b64 exec, exec, s[16:17]
	v_cmp_gt_u32_e64 s[14:15], s35, v8
	v_lshlrev_b32_e32 v28, 3, v8
	s_waitcnt lgkmcnt(0)
	s_barrier
	s_and_saveexec_b64 s[18:19], s[14:15]
	s_cbranch_execz .LBB149_47
; %bb.46:
	ds_read_b64 v[2:3], v28 offset:2048
	s_mov_b32 s16, 0
	s_brev_b32 s17, 1
	v_bfrev_b32_e32 v10, -2
	s_waitcnt lgkmcnt(0)
	v_cmp_ne_u64_e64 s[16:17], s[16:17], v[2:3]
	v_cndmask_b32_e64 v7, v10, v3, s[16:17]
	v_cndmask_b32_e64 v6, -1, v2, s[16:17]
	v_lshrrev_b64 v[6:7], s48, v[6:7]
	v_and_b32_e32 v6, s33, v6
	v_lshlrev_b32_e32 v6, 3, v6
	ds_read_b64 v[6:7], v6
	v_cmp_gt_i64_e64 s[16:17], 0, v[2:3]
	v_cndmask_b32_e64 v10, v10, 0, s[16:17]
	v_ashrrev_i32_e32 v11, 31, v3
	v_xor_b32_e32 v3, v10, v3
	s_waitcnt lgkmcnt(0)
	v_lshlrev_b64 v[6:7], 3, v[6:7]
	v_mov_b32_e32 v10, s39
	v_add_co_u32_e64 v6, s[16:17], s38, v6
	v_addc_co_u32_e64 v7, s[16:17], v10, v7, s[16:17]
	v_not_b32_e32 v11, v11
	v_add_co_u32_e64 v6, s[16:17], v6, v28
	v_xor_b32_e32 v2, v11, v2
	v_addc_co_u32_e64 v7, s[16:17], 0, v7, s[16:17]
	global_store_dwordx2 v[6:7], v[2:3], off
.LBB149_47:
	s_or_b64 exec, exec, s[18:19]
	v_or_b32_e32 v2, 0x400, v8
	v_cmp_gt_u32_e64 s[16:17], s35, v2
	v_lshlrev_b32_e32 v29, 3, v2
	s_and_saveexec_b64 s[20:21], s[16:17]
	s_cbranch_execz .LBB149_49
; %bb.48:
	ds_read_b64 v[2:3], v28 offset:10240
	s_mov_b32 s18, 0
	s_brev_b32 s19, 1
	v_bfrev_b32_e32 v10, -2
	s_waitcnt lgkmcnt(0)
	v_cmp_ne_u64_e64 s[18:19], s[18:19], v[2:3]
	v_cndmask_b32_e64 v7, v10, v3, s[18:19]
	v_cndmask_b32_e64 v6, -1, v2, s[18:19]
	v_lshrrev_b64 v[6:7], s48, v[6:7]
	v_and_b32_e32 v6, s33, v6
	v_lshlrev_b32_e32 v6, 3, v6
	ds_read_b64 v[6:7], v6
	v_cmp_gt_i64_e64 s[18:19], 0, v[2:3]
	v_cndmask_b32_e64 v10, v10, 0, s[18:19]
	v_ashrrev_i32_e32 v11, 31, v3
	v_xor_b32_e32 v3, v10, v3
	s_waitcnt lgkmcnt(0)
	v_lshlrev_b64 v[6:7], 3, v[6:7]
	v_mov_b32_e32 v10, s39
	v_add_co_u32_e64 v6, s[18:19], s38, v6
	v_addc_co_u32_e64 v7, s[18:19], v10, v7, s[18:19]
	v_not_b32_e32 v11, v11
	v_add_co_u32_e64 v6, s[18:19], v6, v29
	v_xor_b32_e32 v2, v11, v2
	v_addc_co_u32_e64 v7, s[18:19], 0, v7, s[18:19]
	global_store_dwordx2 v[6:7], v[2:3], off
.LBB149_49:
	s_or_b64 exec, exec, s[20:21]
	v_or_b32_e32 v2, 0x800, v8
	v_cmp_gt_u32_e64 s[18:19], s35, v2
	v_lshlrev_b32_e32 v30, 3, v2
	s_and_saveexec_b64 s[22:23], s[18:19]
	s_cbranch_execz .LBB149_51
; %bb.50:
	ds_read_b64 v[2:3], v28 offset:18432
	s_mov_b32 s20, 0
	s_brev_b32 s21, 1
	v_bfrev_b32_e32 v10, -2
	s_waitcnt lgkmcnt(0)
	v_cmp_ne_u64_e64 s[20:21], s[20:21], v[2:3]
	v_cndmask_b32_e64 v7, v10, v3, s[20:21]
	v_cndmask_b32_e64 v6, -1, v2, s[20:21]
	v_lshrrev_b64 v[6:7], s48, v[6:7]
	v_and_b32_e32 v6, s33, v6
	v_lshlrev_b32_e32 v6, 3, v6
	ds_read_b64 v[6:7], v6
	v_cmp_gt_i64_e64 s[20:21], 0, v[2:3]
	v_cndmask_b32_e64 v10, v10, 0, s[20:21]
	v_ashrrev_i32_e32 v11, 31, v3
	v_xor_b32_e32 v3, v10, v3
	s_waitcnt lgkmcnt(0)
	v_lshlrev_b64 v[6:7], 3, v[6:7]
	v_mov_b32_e32 v10, s39
	v_add_co_u32_e64 v6, s[20:21], s38, v6
	v_addc_co_u32_e64 v7, s[20:21], v10, v7, s[20:21]
	v_not_b32_e32 v11, v11
	v_add_co_u32_e64 v6, s[20:21], v6, v30
	v_xor_b32_e32 v2, v11, v2
	v_addc_co_u32_e64 v7, s[20:21], 0, v7, s[20:21]
	global_store_dwordx2 v[6:7], v[2:3], off
.LBB149_51:
	s_or_b64 exec, exec, s[22:23]
	v_or_b32_e32 v2, 0xc00, v8
	v_cmp_gt_u32_e64 s[20:21], s35, v2
	v_lshlrev_b32_e32 v31, 3, v2
	s_and_saveexec_b64 s[24:25], s[20:21]
	s_cbranch_execz .LBB149_53
; %bb.52:
	ds_read_b64 v[2:3], v28 offset:26624
	s_mov_b32 s22, 0
	s_brev_b32 s23, 1
	v_bfrev_b32_e32 v10, -2
	s_waitcnt lgkmcnt(0)
	v_cmp_ne_u64_e64 s[22:23], s[22:23], v[2:3]
	v_cndmask_b32_e64 v7, v10, v3, s[22:23]
	v_cndmask_b32_e64 v6, -1, v2, s[22:23]
	v_lshrrev_b64 v[6:7], s48, v[6:7]
	v_and_b32_e32 v6, s33, v6
	v_lshlrev_b32_e32 v6, 3, v6
	ds_read_b64 v[6:7], v6
	v_cmp_gt_i64_e64 s[22:23], 0, v[2:3]
	v_cndmask_b32_e64 v10, v10, 0, s[22:23]
	v_ashrrev_i32_e32 v11, 31, v3
	v_xor_b32_e32 v3, v10, v3
	s_waitcnt lgkmcnt(0)
	v_lshlrev_b64 v[6:7], 3, v[6:7]
	v_mov_b32_e32 v10, s39
	v_add_co_u32_e64 v6, s[22:23], s38, v6
	v_addc_co_u32_e64 v7, s[22:23], v10, v7, s[22:23]
	v_not_b32_e32 v11, v11
	v_add_co_u32_e64 v6, s[22:23], v6, v31
	v_xor_b32_e32 v2, v11, v2
	v_addc_co_u32_e64 v7, s[22:23], 0, v7, s[22:23]
	global_store_dwordx2 v[6:7], v[2:3], off
.LBB149_53:
	s_or_b64 exec, exec, s[24:25]
	v_or_b32_e32 v2, 0x1000, v8
	v_cmp_gt_u32_e64 s[22:23], s35, v2
	v_lshlrev_b32_e32 v32, 3, v2
	s_and_saveexec_b64 s[28:29], s[22:23]
	s_cbranch_execz .LBB149_55
; %bb.54:
	ds_read_b64 v[2:3], v28 offset:34816
	s_mov_b32 s24, 0
	s_brev_b32 s25, 1
	v_bfrev_b32_e32 v10, -2
	s_waitcnt lgkmcnt(0)
	v_cmp_ne_u64_e64 s[24:25], s[24:25], v[2:3]
	v_cndmask_b32_e64 v7, v10, v3, s[24:25]
	v_cndmask_b32_e64 v6, -1, v2, s[24:25]
	v_lshrrev_b64 v[6:7], s48, v[6:7]
	v_and_b32_e32 v6, s33, v6
	v_lshlrev_b32_e32 v6, 3, v6
	ds_read_b64 v[6:7], v6
	v_cmp_gt_i64_e64 s[24:25], 0, v[2:3]
	v_cndmask_b32_e64 v10, v10, 0, s[24:25]
	v_ashrrev_i32_e32 v11, 31, v3
	v_xor_b32_e32 v3, v10, v3
	s_waitcnt lgkmcnt(0)
	v_lshlrev_b64 v[6:7], 3, v[6:7]
	v_mov_b32_e32 v10, s39
	v_add_co_u32_e64 v6, s[24:25], s38, v6
	v_addc_co_u32_e64 v7, s[24:25], v10, v7, s[24:25]
	v_not_b32_e32 v11, v11
	v_add_co_u32_e64 v6, s[24:25], v6, v32
	v_xor_b32_e32 v2, v11, v2
	v_addc_co_u32_e64 v7, s[24:25], 0, v7, s[24:25]
	global_store_dwordx2 v[6:7], v[2:3], off
.LBB149_55:
	s_or_b64 exec, exec, s[28:29]
	v_or_b32_e32 v2, 0x1400, v8
	v_cmp_gt_u32_e64 s[24:25], s35, v2
	v_lshlrev_b32_e32 v33, 3, v2
	s_and_saveexec_b64 s[52:53], s[24:25]
	s_cbranch_execz .LBB149_57
; %bb.56:
	ds_read_b64 v[2:3], v28 offset:43008
	s_mov_b32 s28, 0
	s_brev_b32 s29, 1
	v_bfrev_b32_e32 v10, -2
	s_waitcnt lgkmcnt(0)
	v_cmp_ne_u64_e64 s[28:29], s[28:29], v[2:3]
	v_cndmask_b32_e64 v7, v10, v3, s[28:29]
	v_cndmask_b32_e64 v6, -1, v2, s[28:29]
	v_lshrrev_b64 v[6:7], s48, v[6:7]
	v_and_b32_e32 v6, s33, v6
	v_lshlrev_b32_e32 v6, 3, v6
	ds_read_b64 v[6:7], v6
	v_cmp_gt_i64_e64 s[28:29], 0, v[2:3]
	v_cndmask_b32_e64 v10, v10, 0, s[28:29]
	v_ashrrev_i32_e32 v11, 31, v3
	v_xor_b32_e32 v3, v10, v3
	s_waitcnt lgkmcnt(0)
	v_lshlrev_b64 v[6:7], 3, v[6:7]
	v_mov_b32_e32 v10, s39
	v_add_co_u32_e64 v6, s[28:29], s38, v6
	v_addc_co_u32_e64 v7, s[28:29], v10, v7, s[28:29]
	v_not_b32_e32 v11, v11
	v_add_co_u32_e64 v6, s[28:29], v6, v33
	v_xor_b32_e32 v2, v11, v2
	v_addc_co_u32_e64 v7, s[28:29], 0, v7, s[28:29]
	global_store_dwordx2 v[6:7], v[2:3], off
.LBB149_57:
	s_or_b64 exec, exec, s[52:53]
	s_add_u32 s28, s40, s50
	s_addc_u32 s29, s41, s51
	v_mov_b32_e32 v2, s29
	v_add_co_u32_e64 v3, s[28:29], s28, v9
	v_addc_co_u32_e64 v2, s[28:29], 0, v2, s[28:29]
	v_add_co_u32_e64 v18, s[28:29], v3, v20
	v_addc_co_u32_e64 v19, s[28:29], 0, v2, s[28:29]
                                        ; implicit-def: $vgpr2_vgpr3
	s_and_saveexec_b64 s[28:29], vcc
	s_xor_b64 s[28:29], exec, s[28:29]
	s_cbranch_execnz .LBB149_127
; %bb.58:
	s_or_b64 exec, exec, s[28:29]
                                        ; implicit-def: $vgpr6_vgpr7
	s_and_saveexec_b64 s[28:29], s[0:1]
	s_cbranch_execnz .LBB149_128
.LBB149_59:
	s_or_b64 exec, exec, s[28:29]
                                        ; implicit-def: $vgpr10_vgpr11
	s_and_saveexec_b64 s[0:1], s[2:3]
	s_cbranch_execnz .LBB149_129
.LBB149_60:
	s_or_b64 exec, exec, s[0:1]
                                        ; implicit-def: $vgpr12_vgpr13
	s_and_saveexec_b64 s[0:1], s[26:27]
	s_cbranch_execnz .LBB149_130
.LBB149_61:
	s_or_b64 exec, exec, s[0:1]
                                        ; implicit-def: $vgpr14_vgpr15
	s_and_saveexec_b64 s[0:1], s[8:9]
	s_cbranch_execnz .LBB149_131
.LBB149_62:
	s_or_b64 exec, exec, s[0:1]
                                        ; implicit-def: $vgpr16_vgpr17
	s_and_saveexec_b64 s[0:1], s[10:11]
	s_cbranch_execz .LBB149_64
.LBB149_63:
	global_load_dwordx2 v[16:17], v[18:19], off offset:2560
.LBB149_64:
	s_or_b64 exec, exec, s[0:1]
	v_mov_b32_e32 v9, 0
	v_mov_b32_e32 v20, 0
	s_and_saveexec_b64 s[0:1], s[14:15]
	s_cbranch_execz .LBB149_66
; %bb.65:
	ds_read_b64 v[18:19], v28 offset:2048
	s_mov_b32 s2, 0
	s_brev_b32 s3, 1
	v_bfrev_b32_e32 v20, -2
	s_waitcnt lgkmcnt(0)
	v_cmp_ne_u64_e32 vcc, s[2:3], v[18:19]
	v_cndmask_b32_e32 v19, v20, v19, vcc
	v_cndmask_b32_e32 v18, -1, v18, vcc
	v_lshrrev_b64 v[18:19], s48, v[18:19]
	v_and_b32_e32 v20, s33, v18
.LBB149_66:
	s_or_b64 exec, exec, s[0:1]
	s_and_saveexec_b64 s[0:1], s[16:17]
	s_cbranch_execz .LBB149_68
; %bb.67:
	ds_read_b64 v[18:19], v28 offset:10240
	s_mov_b32 s2, 0
	s_brev_b32 s3, 1
	v_bfrev_b32_e32 v9, -2
	s_waitcnt lgkmcnt(0)
	v_cmp_ne_u64_e32 vcc, s[2:3], v[18:19]
	v_cndmask_b32_e32 v19, v9, v19, vcc
	v_cndmask_b32_e32 v18, -1, v18, vcc
	v_lshrrev_b64 v[18:19], s48, v[18:19]
	v_and_b32_e32 v9, s33, v18
.LBB149_68:
	s_or_b64 exec, exec, s[0:1]
	v_mov_b32_e32 v18, 0
	v_mov_b32_e32 v34, 0
	s_and_saveexec_b64 s[0:1], s[18:19]
	s_cbranch_execz .LBB149_70
; %bb.69:
	ds_read_b64 v[34:35], v28 offset:18432
	s_mov_b32 s2, 0
	s_brev_b32 s3, 1
	v_bfrev_b32_e32 v19, -2
	s_waitcnt lgkmcnt(0)
	v_cmp_ne_u64_e32 vcc, s[2:3], v[34:35]
	v_cndmask_b32_e32 v35, v19, v35, vcc
	v_cndmask_b32_e32 v34, -1, v34, vcc
	v_lshrrev_b64 v[34:35], s48, v[34:35]
	v_and_b32_e32 v34, s33, v34
.LBB149_70:
	s_or_b64 exec, exec, s[0:1]
	s_and_saveexec_b64 s[0:1], s[20:21]
	s_cbranch_execz .LBB149_72
; %bb.71:
	ds_read_b64 v[18:19], v28 offset:26624
	s_mov_b32 s2, 0
	s_brev_b32 s3, 1
	v_bfrev_b32_e32 v35, -2
	s_waitcnt lgkmcnt(0)
	v_cmp_ne_u64_e32 vcc, s[2:3], v[18:19]
	v_cndmask_b32_e32 v19, v35, v19, vcc
	v_cndmask_b32_e32 v18, -1, v18, vcc
	v_lshrrev_b64 v[18:19], s48, v[18:19]
	v_and_b32_e32 v18, s33, v18
.LBB149_72:
	;; [unrolled: 32-line block ×3, first 2 shown]
	s_or_b64 exec, exec, s[0:1]
	s_barrier
	s_waitcnt vmcnt(0)
	ds_write_b64 v22, v[2:3] offset:2048
	ds_write_b64 v23, v[6:7] offset:2048
	ds_write_b64 v24, v[10:11] offset:2048
	ds_write_b64 v25, v[12:13] offset:2048
	ds_write_b64 v26, v[14:15] offset:2048
	ds_write_b64 v27, v[16:17] offset:2048
	s_waitcnt lgkmcnt(0)
	s_barrier
	s_and_saveexec_b64 s[0:1], s[14:15]
	s_cbranch_execnz .LBB149_132
; %bb.77:
	s_or_b64 exec, exec, s[0:1]
	s_and_saveexec_b64 s[0:1], s[16:17]
	s_cbranch_execnz .LBB149_133
.LBB149_78:
	s_or_b64 exec, exec, s[0:1]
	s_and_saveexec_b64 s[0:1], s[18:19]
	s_cbranch_execnz .LBB149_134
.LBB149_79:
	s_or_b64 exec, exec, s[0:1]
	s_and_saveexec_b64 s[0:1], s[20:21]
	s_cbranch_execnz .LBB149_135
.LBB149_80:
	s_or_b64 exec, exec, s[0:1]
	s_and_saveexec_b64 s[0:1], s[22:23]
	s_cbranch_execnz .LBB149_136
.LBB149_81:
	s_or_b64 exec, exec, s[0:1]
	s_and_saveexec_b64 s[0:1], s[24:25]
	s_cbranch_execz .LBB149_83
.LBB149_82:
	v_lshlrev_b32_e32 v2, 3, v19
	ds_read_b64 v[2:3], v2
	ds_read_b64 v[6:7], v28 offset:43008
	v_mov_b32_e32 v9, s43
	s_waitcnt lgkmcnt(1)
	v_lshlrev_b64 v[2:3], 3, v[2:3]
	v_add_co_u32_e32 v2, vcc, s42, v2
	v_addc_co_u32_e32 v3, vcc, v9, v3, vcc
	v_add_co_u32_e32 v2, vcc, v2, v33
	v_addc_co_u32_e32 v3, vcc, 0, v3, vcc
	s_waitcnt lgkmcnt(0)
	global_store_dwordx2 v[2:3], v[6:7], off
.LBB149_83:
	s_or_b64 exec, exec, s[0:1]
	s_add_i32 s7, s7, -1
	s_cmp_eq_u32 s6, s7
	s_cselect_b64 s[0:1], -1, 0
	s_and_b64 s[2:3], s[12:13], s[0:1]
	s_mov_b64 s[0:1], 0
	s_mov_b64 s[10:11], 0
                                        ; implicit-def: $vgpr2_vgpr3
	s_and_saveexec_b64 s[8:9], s[2:3]
	s_xor_b64 s[2:3], exec, s[8:9]
; %bb.84:
	v_add_co_u32_e32 v2, vcc, v4, v21
	s_mov_b64 s[10:11], exec
	v_mov_b32_e32 v9, 0
	v_addc_co_u32_e32 v3, vcc, 0, v5, vcc
; %bb.85:
	s_or_b64 exec, exec, s[2:3]
	s_and_b64 vcc, exec, s[0:1]
	s_cbranch_vccnz .LBB149_87
	s_branch .LBB149_124
.LBB149_86:
	s_mov_b64 s[10:11], 0
                                        ; implicit-def: $vgpr2_vgpr3
                                        ; implicit-def: $vgpr8_vgpr9
	s_cbranch_execz .LBB149_124
.LBB149_87:
	s_mov_b32 s35, 0
	s_lshl_b64 s[12:13], s[34:35], 3
	v_mbcnt_hi_u32_b32 v9, -1, v1
	s_add_u32 s0, s36, s12
	v_lshlrev_b32_e32 v18, 3, v9
	v_add_co_u32_e32 v3, vcc, s0, v18
	s_load_dword s7, s[4:5], 0x50
	s_load_dword s0, s[4:5], 0x5c
	v_and_b32_e32 v8, 0x3ff, v0
	s_addc_u32 s1, s37, s13
	v_and_b32_e32 v1, 0x3c0, v8
	v_mul_u32_u24_e32 v1, 6, v1
	v_mov_b32_e32 v2, s1
	v_addc_co_u32_e32 v2, vcc, 0, v2, vcc
	v_lshlrev_b32_e32 v19, 3, v1
	s_add_u32 s1, s4, 0x50
	v_add_co_u32_e32 v16, vcc, v3, v19
	s_addc_u32 s2, s5, 0
	s_waitcnt lgkmcnt(0)
	s_lshr_b32 s4, s0, 16
	v_addc_co_u32_e32 v17, vcc, 0, v2, vcc
	s_cmp_lt_u32 s6, s7
	global_load_dwordx2 v[24:25], v[16:17], off
	s_cselect_b32 s0, 12, 18
	s_add_u32 s0, s1, s0
	v_mov_b32_e32 v4, 0
	s_addc_u32 s1, s2, 0
	global_load_ushort v5, v4, s[0:1]
	v_mul_u32_u24_e32 v2, 5, v8
	v_lshlrev_b32_e32 v20, 2, v2
	ds_write2_b32 v20, v4, v4 offset0:16 offset1:17
	ds_write2_b32 v20, v4, v4 offset0:18 offset1:19
	ds_write_b32 v20, v4 offset:80
	global_load_dwordx2 v[2:3], v[16:17], off offset:512
	global_load_dwordx2 v[14:15], v[16:17], off offset:1024
	;; [unrolled: 1-line block ×5, first 2 shown]
	v_bfe_u32 v1, v0, 10, 10
	v_bfe_u32 v0, v0, 20, 10
	v_bfrev_b32_e32 v23, -2
	v_mad_u32_u24 v21, v0, s4, v1
	s_brev_b32 s3, 1
	s_mov_b32 s2, s35
	s_lshl_b32 s0, -1, s49
	s_not_b32 s16, s0
	s_waitcnt lgkmcnt(0)
	s_barrier
	s_waitcnt lgkmcnt(0)
	; wave barrier
	s_waitcnt vmcnt(6)
	v_cmp_gt_i64_e32 vcc, 0, v[24:25]
	v_ashrrev_i32_e32 v1, 31, v25
	v_cndmask_b32_e64 v0, v23, 0, vcc
	v_not_b32_e32 v16, v1
	v_xor_b32_e32 v1, v0, v25
	v_xor_b32_e32 v0, v16, v24
	s_waitcnt vmcnt(5)
	v_mad_u64_u32 v[16:17], s[0:1], v21, v5, v[8:9]
	v_cmp_ne_u64_e32 vcc, s[2:3], v[0:1]
	v_cndmask_b32_e32 v17, v23, v1, vcc
	v_lshrrev_b32_e32 v26, 6, v16
	v_cndmask_b32_e32 v16, -1, v0, vcc
	v_lshrrev_b64 v[16:17], s48, v[16:17]
	v_and_b32_e32 v16, s16, v16
	v_lshl_add_u32 v17, v16, 4, v16
	v_and_b32_e32 v22, 1, v16
	v_add_lshl_u32 v21, v26, v17, 2
	v_add_co_u32_e32 v17, vcc, -1, v22
	v_lshlrev_b32_e32 v5, 30, v16
	v_addc_co_u32_e64 v24, s[0:1], 0, -1, vcc
	v_cmp_ne_u32_e32 vcc, 0, v22
	v_cmp_gt_i64_e64 s[0:1], 0, v[4:5]
	v_not_b32_e32 v22, v5
	v_lshlrev_b32_e32 v5, 29, v16
	v_xor_b32_e32 v24, vcc_hi, v24
	v_xor_b32_e32 v17, vcc_lo, v17
	v_ashrrev_i32_e32 v22, 31, v22
	v_cmp_gt_i64_e32 vcc, 0, v[4:5]
	v_not_b32_e32 v25, v5
	v_lshlrev_b32_e32 v5, 28, v16
	v_and_b32_e32 v24, exec_hi, v24
	v_and_b32_e32 v17, exec_lo, v17
	v_xor_b32_e32 v27, s1, v22
	v_xor_b32_e32 v22, s0, v22
	v_ashrrev_i32_e32 v25, 31, v25
	v_cmp_gt_i64_e64 s[0:1], 0, v[4:5]
	v_not_b32_e32 v5, v5
	v_and_b32_e32 v24, v24, v27
	v_and_b32_e32 v17, v17, v22
	v_xor_b32_e32 v22, vcc_hi, v25
	v_xor_b32_e32 v25, vcc_lo, v25
	v_ashrrev_i32_e32 v5, 31, v5
	v_and_b32_e32 v22, v24, v22
	v_and_b32_e32 v17, v17, v25
	v_xor_b32_e32 v24, s1, v5
	v_xor_b32_e32 v5, s0, v5
	v_and_b32_e32 v17, v17, v5
	v_lshlrev_b32_e32 v5, 27, v16
	v_cmp_gt_i64_e32 vcc, 0, v[4:5]
	v_not_b32_e32 v5, v5
	v_ashrrev_i32_e32 v5, 31, v5
	v_and_b32_e32 v22, v22, v24
	v_xor_b32_e32 v24, vcc_hi, v5
	v_xor_b32_e32 v5, vcc_lo, v5
	v_and_b32_e32 v17, v17, v5
	v_lshlrev_b32_e32 v5, 26, v16
	v_cmp_gt_i64_e32 vcc, 0, v[4:5]
	v_not_b32_e32 v5, v5
	v_ashrrev_i32_e32 v5, 31, v5
	v_and_b32_e32 v22, v22, v24
	v_xor_b32_e32 v24, vcc_hi, v5
	v_xor_b32_e32 v5, vcc_lo, v5
	;; [unrolled: 8-line block ×3, first 2 shown]
	v_and_b32_e32 v22, v22, v24
	v_and_b32_e32 v24, v17, v5
	v_lshlrev_b32_e32 v5, 24, v16
	v_cmp_gt_i64_e32 vcc, 0, v[4:5]
	v_not_b32_e32 v5, v5
	v_ashrrev_i32_e32 v5, 31, v5
	v_xor_b32_e32 v16, vcc_hi, v5
	v_xor_b32_e32 v5, vcc_lo, v5
	v_and_b32_e32 v17, v22, v16
	v_and_b32_e32 v16, v24, v5
	v_mbcnt_lo_u32_b32 v5, v16, 0
	v_mbcnt_hi_u32_b32 v22, v17, v5
	v_cmp_eq_u32_e32 vcc, 0, v22
	v_cmp_ne_u64_e64 s[0:1], 0, v[16:17]
	s_and_b64 s[4:5], s[0:1], vcc
	s_and_saveexec_b64 s[0:1], s[4:5]
	s_cbranch_execz .LBB149_89
; %bb.88:
	v_bcnt_u32_b32 v5, v16, 0
	v_bcnt_u32_b32 v5, v17, v5
	ds_write_b32 v21, v5 offset:64
.LBB149_89:
	s_or_b64 exec, exec, s[0:1]
	s_waitcnt vmcnt(4)
	v_cmp_gt_i64_e32 vcc, 0, v[2:3]
	v_ashrrev_i32_e32 v16, 31, v3
	v_cndmask_b32_e64 v5, v23, 0, vcc
	v_not_b32_e32 v16, v16
	v_xor_b32_e32 v3, v5, v3
	v_xor_b32_e32 v2, v16, v2
	v_cmp_ne_u64_e32 vcc, s[2:3], v[2:3]
	v_cndmask_b32_e32 v17, v23, v3, vcc
	v_cndmask_b32_e32 v16, -1, v2, vcc
	v_lshrrev_b64 v[16:17], s48, v[16:17]
	v_and_b32_e32 v16, s16, v16
	v_lshl_add_u32 v5, v16, 4, v16
	v_add_lshl_u32 v24, v26, v5, 2
	v_and_b32_e32 v5, 1, v16
	v_add_co_u32_e32 v17, vcc, -1, v5
	v_addc_co_u32_e64 v25, s[0:1], 0, -1, vcc
	v_cmp_ne_u32_e32 vcc, 0, v5
	v_xor_b32_e32 v5, vcc_hi, v25
	v_and_b32_e32 v25, exec_hi, v5
	v_lshlrev_b32_e32 v5, 30, v16
	v_xor_b32_e32 v17, vcc_lo, v17
	v_cmp_gt_i64_e32 vcc, 0, v[4:5]
	v_not_b32_e32 v5, v5
	v_ashrrev_i32_e32 v5, 31, v5
	v_and_b32_e32 v17, exec_lo, v17
	v_xor_b32_e32 v27, vcc_hi, v5
	v_xor_b32_e32 v5, vcc_lo, v5
	v_and_b32_e32 v17, v17, v5
	v_lshlrev_b32_e32 v5, 29, v16
	v_cmp_gt_i64_e32 vcc, 0, v[4:5]
	v_not_b32_e32 v5, v5
	v_ashrrev_i32_e32 v5, 31, v5
	v_and_b32_e32 v25, v25, v27
	v_xor_b32_e32 v27, vcc_hi, v5
	v_xor_b32_e32 v5, vcc_lo, v5
	v_and_b32_e32 v17, v17, v5
	v_lshlrev_b32_e32 v5, 28, v16
	v_cmp_gt_i64_e32 vcc, 0, v[4:5]
	v_not_b32_e32 v5, v5
	v_ashrrev_i32_e32 v5, 31, v5
	v_and_b32_e32 v25, v25, v27
	;; [unrolled: 8-line block ×5, first 2 shown]
	v_xor_b32_e32 v27, vcc_hi, v5
	v_xor_b32_e32 v5, vcc_lo, v5
	v_and_b32_e32 v17, v17, v5
	v_lshlrev_b32_e32 v5, 24, v16
	v_cmp_gt_i64_e32 vcc, 0, v[4:5]
	v_not_b32_e32 v4, v5
	v_ashrrev_i32_e32 v4, 31, v4
	v_xor_b32_e32 v5, vcc_hi, v4
	v_xor_b32_e32 v4, vcc_lo, v4
	; wave barrier
	ds_read_b32 v23, v24 offset:64
	v_and_b32_e32 v25, v25, v27
	v_and_b32_e32 v4, v17, v4
	;; [unrolled: 1-line block ×3, first 2 shown]
	v_mbcnt_lo_u32_b32 v16, v4, 0
	v_mbcnt_hi_u32_b32 v25, v5, v16
	v_cmp_eq_u32_e32 vcc, 0, v25
	v_cmp_ne_u64_e64 s[0:1], 0, v[4:5]
	s_and_b64 s[2:3], s[0:1], vcc
	; wave barrier
	s_and_saveexec_b64 s[0:1], s[2:3]
	s_cbranch_execz .LBB149_91
; %bb.90:
	v_bcnt_u32_b32 v4, v4, 0
	v_bcnt_u32_b32 v4, v5, v4
	s_waitcnt lgkmcnt(0)
	v_add_u32_e32 v4, v23, v4
	ds_write_b32 v24, v4 offset:64
.LBB149_91:
	s_or_b64 exec, exec, s[0:1]
	v_bfrev_b32_e32 v30, -2
	s_waitcnt vmcnt(3)
	v_cmp_gt_i64_e32 vcc, 0, v[14:15]
	v_ashrrev_i32_e32 v5, 31, v15
	s_mov_b32 s2, 0
	v_cndmask_b32_e64 v4, v30, 0, vcc
	v_not_b32_e32 v17, v5
	s_brev_b32 s3, 1
	v_xor_b32_e32 v5, v4, v15
	v_xor_b32_e32 v4, v17, v14
	v_cmp_ne_u64_e32 vcc, s[2:3], v[4:5]
	v_cndmask_b32_e32 v15, v30, v5, vcc
	v_cndmask_b32_e32 v14, -1, v4, vcc
	v_lshrrev_b64 v[14:15], s48, v[14:15]
	v_and_b32_e32 v14, s16, v14
	v_lshl_add_u32 v15, v14, 4, v14
	v_add_lshl_u32 v28, v26, v15, 2
	v_and_b32_e32 v15, 1, v14
	v_add_co_u32_e32 v17, vcc, -1, v15
	v_addc_co_u32_e64 v29, s[0:1], 0, -1, vcc
	v_cmp_ne_u32_e32 vcc, 0, v15
	v_xor_b32_e32 v17, vcc_lo, v17
	v_mov_b32_e32 v16, 0
	v_xor_b32_e32 v15, vcc_hi, v29
	v_and_b32_e32 v29, exec_lo, v17
	v_lshlrev_b32_e32 v17, 30, v14
	v_cmp_gt_i64_e32 vcc, 0, v[16:17]
	v_not_b32_e32 v17, v17
	v_ashrrev_i32_e32 v17, 31, v17
	v_xor_b32_e32 v31, vcc_hi, v17
	v_xor_b32_e32 v17, vcc_lo, v17
	v_and_b32_e32 v29, v29, v17
	v_lshlrev_b32_e32 v17, 29, v14
	v_cmp_gt_i64_e32 vcc, 0, v[16:17]
	v_not_b32_e32 v17, v17
	v_and_b32_e32 v15, exec_hi, v15
	v_ashrrev_i32_e32 v17, 31, v17
	v_and_b32_e32 v15, v15, v31
	v_xor_b32_e32 v31, vcc_hi, v17
	v_xor_b32_e32 v17, vcc_lo, v17
	v_and_b32_e32 v29, v29, v17
	v_lshlrev_b32_e32 v17, 28, v14
	v_cmp_gt_i64_e32 vcc, 0, v[16:17]
	v_not_b32_e32 v17, v17
	v_ashrrev_i32_e32 v17, 31, v17
	v_and_b32_e32 v15, v15, v31
	v_xor_b32_e32 v31, vcc_hi, v17
	v_xor_b32_e32 v17, vcc_lo, v17
	v_and_b32_e32 v29, v29, v17
	v_lshlrev_b32_e32 v17, 27, v14
	v_cmp_gt_i64_e32 vcc, 0, v[16:17]
	v_not_b32_e32 v17, v17
	;; [unrolled: 8-line block ×4, first 2 shown]
	v_ashrrev_i32_e32 v17, 31, v17
	v_and_b32_e32 v15, v15, v31
	v_xor_b32_e32 v31, vcc_hi, v17
	v_xor_b32_e32 v17, vcc_lo, v17
	v_and_b32_e32 v29, v29, v17
	v_lshlrev_b32_e32 v17, 24, v14
	v_not_b32_e32 v14, v17
	v_cmp_gt_i64_e32 vcc, 0, v[16:17]
	v_ashrrev_i32_e32 v14, 31, v14
	v_xor_b32_e32 v17, vcc_hi, v14
	v_xor_b32_e32 v14, vcc_lo, v14
	; wave barrier
	ds_read_b32 v27, v28 offset:64
	v_and_b32_e32 v15, v15, v31
	v_and_b32_e32 v14, v29, v14
	;; [unrolled: 1-line block ×3, first 2 shown]
	v_mbcnt_lo_u32_b32 v17, v14, 0
	v_mbcnt_hi_u32_b32 v29, v15, v17
	v_cmp_eq_u32_e32 vcc, 0, v29
	v_cmp_ne_u64_e64 s[0:1], 0, v[14:15]
	s_and_b64 s[4:5], s[0:1], vcc
	; wave barrier
	s_and_saveexec_b64 s[0:1], s[4:5]
	s_cbranch_execz .LBB149_93
; %bb.92:
	v_bcnt_u32_b32 v14, v14, 0
	v_bcnt_u32_b32 v14, v15, v14
	s_waitcnt lgkmcnt(0)
	v_add_u32_e32 v14, v27, v14
	ds_write_b32 v28, v14 offset:64
.LBB149_93:
	s_or_b64 exec, exec, s[0:1]
	s_waitcnt vmcnt(2)
	v_cmp_gt_i64_e32 vcc, 0, v[12:13]
	v_ashrrev_i32_e32 v15, 31, v13
	v_cndmask_b32_e64 v14, v30, 0, vcc
	v_not_b32_e32 v15, v15
	v_xor_b32_e32 v13, v14, v13
	v_xor_b32_e32 v12, v15, v12
	v_cmp_ne_u64_e32 vcc, s[2:3], v[12:13]
	v_cndmask_b32_e32 v15, v30, v13, vcc
	v_cndmask_b32_e32 v14, -1, v12, vcc
	v_lshrrev_b64 v[14:15], s48, v[14:15]
	v_and_b32_e32 v14, s16, v14
	v_lshl_add_u32 v15, v14, 4, v14
	v_add_lshl_u32 v31, v26, v15, 2
	v_and_b32_e32 v15, 1, v14
	v_add_co_u32_e32 v17, vcc, -1, v15
	v_addc_co_u32_e64 v32, s[0:1], 0, -1, vcc
	v_cmp_ne_u32_e32 vcc, 0, v15
	v_xor_b32_e32 v17, vcc_lo, v17
	v_xor_b32_e32 v15, vcc_hi, v32
	v_and_b32_e32 v32, exec_lo, v17
	v_lshlrev_b32_e32 v17, 30, v14
	v_cmp_gt_i64_e32 vcc, 0, v[16:17]
	v_not_b32_e32 v17, v17
	v_ashrrev_i32_e32 v17, 31, v17
	v_xor_b32_e32 v33, vcc_hi, v17
	v_xor_b32_e32 v17, vcc_lo, v17
	v_and_b32_e32 v32, v32, v17
	v_lshlrev_b32_e32 v17, 29, v14
	v_cmp_gt_i64_e32 vcc, 0, v[16:17]
	v_not_b32_e32 v17, v17
	v_and_b32_e32 v15, exec_hi, v15
	v_ashrrev_i32_e32 v17, 31, v17
	v_and_b32_e32 v15, v15, v33
	v_xor_b32_e32 v33, vcc_hi, v17
	v_xor_b32_e32 v17, vcc_lo, v17
	v_and_b32_e32 v32, v32, v17
	v_lshlrev_b32_e32 v17, 28, v14
	v_cmp_gt_i64_e32 vcc, 0, v[16:17]
	v_not_b32_e32 v17, v17
	v_ashrrev_i32_e32 v17, 31, v17
	v_and_b32_e32 v15, v15, v33
	v_xor_b32_e32 v33, vcc_hi, v17
	v_xor_b32_e32 v17, vcc_lo, v17
	v_and_b32_e32 v32, v32, v17
	v_lshlrev_b32_e32 v17, 27, v14
	v_cmp_gt_i64_e32 vcc, 0, v[16:17]
	v_not_b32_e32 v17, v17
	;; [unrolled: 8-line block ×4, first 2 shown]
	v_ashrrev_i32_e32 v17, 31, v17
	v_and_b32_e32 v15, v15, v33
	v_xor_b32_e32 v33, vcc_hi, v17
	v_xor_b32_e32 v17, vcc_lo, v17
	v_and_b32_e32 v32, v32, v17
	v_lshlrev_b32_e32 v17, 24, v14
	v_not_b32_e32 v14, v17
	v_cmp_gt_i64_e32 vcc, 0, v[16:17]
	v_ashrrev_i32_e32 v14, 31, v14
	v_xor_b32_e32 v16, vcc_hi, v14
	v_xor_b32_e32 v14, vcc_lo, v14
	; wave barrier
	ds_read_b32 v30, v31 offset:64
	v_and_b32_e32 v15, v15, v33
	v_and_b32_e32 v14, v32, v14
	;; [unrolled: 1-line block ×3, first 2 shown]
	v_mbcnt_lo_u32_b32 v16, v14, 0
	v_mbcnt_hi_u32_b32 v32, v15, v16
	v_cmp_eq_u32_e32 vcc, 0, v32
	v_cmp_ne_u64_e64 s[0:1], 0, v[14:15]
	s_and_b64 s[2:3], s[0:1], vcc
	; wave barrier
	s_and_saveexec_b64 s[0:1], s[2:3]
	s_cbranch_execz .LBB149_95
; %bb.94:
	v_bcnt_u32_b32 v14, v14, 0
	v_bcnt_u32_b32 v14, v15, v14
	s_waitcnt lgkmcnt(0)
	v_add_u32_e32 v14, v30, v14
	ds_write_b32 v31, v14 offset:64
.LBB149_95:
	s_or_b64 exec, exec, s[0:1]
	v_bfrev_b32_e32 v37, -2
	s_waitcnt vmcnt(1)
	v_cmp_gt_i64_e32 vcc, 0, v[10:11]
	v_ashrrev_i32_e32 v15, 31, v11
	s_mov_b32 s2, 0
	v_cndmask_b32_e64 v14, v37, 0, vcc
	v_not_b32_e32 v17, v15
	s_brev_b32 s3, 1
	v_xor_b32_e32 v15, v14, v11
	v_xor_b32_e32 v14, v17, v10
	v_cmp_ne_u64_e32 vcc, s[2:3], v[14:15]
	v_cndmask_b32_e32 v11, v37, v15, vcc
	v_cndmask_b32_e32 v10, -1, v14, vcc
	v_lshrrev_b64 v[10:11], s48, v[10:11]
	v_and_b32_e32 v10, s16, v10
	v_lshl_add_u32 v11, v10, 4, v10
	v_add_lshl_u32 v34, v11, v26, 2
	v_and_b32_e32 v11, 1, v10
	v_add_co_u32_e32 v17, vcc, -1, v11
	v_addc_co_u32_e64 v35, s[0:1], 0, -1, vcc
	v_cmp_ne_u32_e32 vcc, 0, v11
	v_xor_b32_e32 v17, vcc_lo, v17
	v_mov_b32_e32 v16, 0
	v_xor_b32_e32 v11, vcc_hi, v35
	v_and_b32_e32 v35, exec_lo, v17
	v_lshlrev_b32_e32 v17, 30, v10
	v_cmp_gt_i64_e32 vcc, 0, v[16:17]
	v_not_b32_e32 v17, v17
	v_ashrrev_i32_e32 v17, 31, v17
	v_xor_b32_e32 v36, vcc_hi, v17
	v_xor_b32_e32 v17, vcc_lo, v17
	v_and_b32_e32 v35, v35, v17
	v_lshlrev_b32_e32 v17, 29, v10
	v_cmp_gt_i64_e32 vcc, 0, v[16:17]
	v_not_b32_e32 v17, v17
	v_and_b32_e32 v11, exec_hi, v11
	v_ashrrev_i32_e32 v17, 31, v17
	v_and_b32_e32 v11, v11, v36
	v_xor_b32_e32 v36, vcc_hi, v17
	v_xor_b32_e32 v17, vcc_lo, v17
	v_and_b32_e32 v35, v35, v17
	v_lshlrev_b32_e32 v17, 28, v10
	v_cmp_gt_i64_e32 vcc, 0, v[16:17]
	v_not_b32_e32 v17, v17
	v_ashrrev_i32_e32 v17, 31, v17
	v_and_b32_e32 v11, v11, v36
	v_xor_b32_e32 v36, vcc_hi, v17
	v_xor_b32_e32 v17, vcc_lo, v17
	v_and_b32_e32 v35, v35, v17
	v_lshlrev_b32_e32 v17, 27, v10
	v_cmp_gt_i64_e32 vcc, 0, v[16:17]
	v_not_b32_e32 v17, v17
	;; [unrolled: 8-line block ×4, first 2 shown]
	v_ashrrev_i32_e32 v17, 31, v17
	v_and_b32_e32 v11, v11, v36
	v_xor_b32_e32 v36, vcc_hi, v17
	v_xor_b32_e32 v17, vcc_lo, v17
	v_and_b32_e32 v35, v35, v17
	v_lshlrev_b32_e32 v17, 24, v10
	v_not_b32_e32 v10, v17
	v_cmp_gt_i64_e32 vcc, 0, v[16:17]
	v_ashrrev_i32_e32 v10, 31, v10
	v_xor_b32_e32 v17, vcc_hi, v10
	v_xor_b32_e32 v10, vcc_lo, v10
	; wave barrier
	ds_read_b32 v33, v34 offset:64
	v_and_b32_e32 v11, v11, v36
	v_and_b32_e32 v10, v35, v10
	;; [unrolled: 1-line block ×3, first 2 shown]
	v_mbcnt_lo_u32_b32 v17, v10, 0
	v_mbcnt_hi_u32_b32 v35, v11, v17
	v_cmp_eq_u32_e32 vcc, 0, v35
	v_cmp_ne_u64_e64 s[0:1], 0, v[10:11]
	s_and_b64 s[4:5], s[0:1], vcc
	; wave barrier
	s_and_saveexec_b64 s[0:1], s[4:5]
	s_cbranch_execz .LBB149_97
; %bb.96:
	v_bcnt_u32_b32 v10, v10, 0
	v_bcnt_u32_b32 v10, v11, v10
	s_waitcnt lgkmcnt(0)
	v_add_u32_e32 v10, v33, v10
	ds_write_b32 v34, v10 offset:64
.LBB149_97:
	s_or_b64 exec, exec, s[0:1]
	s_waitcnt vmcnt(0)
	v_cmp_gt_i64_e32 vcc, 0, v[6:7]
	v_ashrrev_i32_e32 v11, 31, v7
	v_cndmask_b32_e64 v10, v37, 0, vcc
	v_not_b32_e32 v11, v11
	v_xor_b32_e32 v7, v10, v7
	v_xor_b32_e32 v6, v11, v6
	v_cmp_ne_u64_e32 vcc, s[2:3], v[6:7]
	v_cndmask_b32_e32 v11, v37, v7, vcc
	v_cndmask_b32_e32 v10, -1, v6, vcc
	v_lshrrev_b64 v[10:11], s48, v[10:11]
	v_and_b32_e32 v10, s16, v10
	v_lshl_add_u32 v11, v10, 4, v10
	v_add_lshl_u32 v37, v11, v26, 2
	v_and_b32_e32 v11, 1, v10
	v_add_co_u32_e32 v17, vcc, -1, v11
	v_addc_co_u32_e64 v38, s[0:1], 0, -1, vcc
	v_cmp_ne_u32_e32 vcc, 0, v11
	v_xor_b32_e32 v17, vcc_lo, v17
	v_xor_b32_e32 v11, vcc_hi, v38
	v_and_b32_e32 v38, exec_lo, v17
	v_lshlrev_b32_e32 v17, 30, v10
	v_cmp_gt_i64_e32 vcc, 0, v[16:17]
	v_not_b32_e32 v17, v17
	v_ashrrev_i32_e32 v17, 31, v17
	v_xor_b32_e32 v39, vcc_hi, v17
	v_xor_b32_e32 v17, vcc_lo, v17
	v_and_b32_e32 v38, v38, v17
	v_lshlrev_b32_e32 v17, 29, v10
	v_cmp_gt_i64_e32 vcc, 0, v[16:17]
	v_not_b32_e32 v17, v17
	v_and_b32_e32 v11, exec_hi, v11
	v_ashrrev_i32_e32 v17, 31, v17
	v_and_b32_e32 v11, v11, v39
	v_xor_b32_e32 v39, vcc_hi, v17
	v_xor_b32_e32 v17, vcc_lo, v17
	v_and_b32_e32 v38, v38, v17
	v_lshlrev_b32_e32 v17, 28, v10
	v_cmp_gt_i64_e32 vcc, 0, v[16:17]
	v_not_b32_e32 v17, v17
	v_ashrrev_i32_e32 v17, 31, v17
	v_and_b32_e32 v11, v11, v39
	v_xor_b32_e32 v39, vcc_hi, v17
	v_xor_b32_e32 v17, vcc_lo, v17
	v_and_b32_e32 v38, v38, v17
	v_lshlrev_b32_e32 v17, 27, v10
	v_cmp_gt_i64_e32 vcc, 0, v[16:17]
	v_not_b32_e32 v17, v17
	;; [unrolled: 8-line block ×4, first 2 shown]
	v_ashrrev_i32_e32 v17, 31, v17
	v_and_b32_e32 v11, v11, v39
	v_xor_b32_e32 v39, vcc_hi, v17
	v_xor_b32_e32 v17, vcc_lo, v17
	v_and_b32_e32 v38, v38, v17
	v_lshlrev_b32_e32 v17, 24, v10
	v_not_b32_e32 v10, v17
	v_cmp_gt_i64_e32 vcc, 0, v[16:17]
	v_ashrrev_i32_e32 v10, 31, v10
	v_xor_b32_e32 v16, vcc_hi, v10
	v_xor_b32_e32 v10, vcc_lo, v10
	; wave barrier
	ds_read_b32 v26, v37 offset:64
	v_and_b32_e32 v11, v11, v39
	v_and_b32_e32 v10, v38, v10
	;; [unrolled: 1-line block ×3, first 2 shown]
	v_mbcnt_lo_u32_b32 v16, v10, 0
	v_mbcnt_hi_u32_b32 v38, v11, v16
	v_cmp_eq_u32_e32 vcc, 0, v38
	v_cmp_ne_u64_e64 s[0:1], 0, v[10:11]
	v_add_u32_e32 v36, 64, v20
	s_and_b64 s[2:3], s[0:1], vcc
	; wave barrier
	s_and_saveexec_b64 s[0:1], s[2:3]
	s_cbranch_execz .LBB149_99
; %bb.98:
	v_bcnt_u32_b32 v10, v10, 0
	v_bcnt_u32_b32 v10, v11, v10
	s_waitcnt lgkmcnt(0)
	v_add_u32_e32 v10, v26, v10
	ds_write_b32 v37, v10 offset:64
.LBB149_99:
	s_or_b64 exec, exec, s[0:1]
	; wave barrier
	s_waitcnt lgkmcnt(0)
	s_barrier
	ds_read2_b32 v[16:17], v20 offset0:16 offset1:17
	ds_read2_b32 v[10:11], v36 offset0:2 offset1:3
	ds_read_b32 v39, v36 offset:16
	v_cmp_lt_u32_e64 s[8:9], 31, v9
	s_waitcnt lgkmcnt(1)
	v_add3_u32 v40, v17, v16, v10
	s_waitcnt lgkmcnt(0)
	v_add3_u32 v39, v40, v11, v39
	v_and_b32_e32 v40, 15, v9
	v_cmp_eq_u32_e32 vcc, 0, v40
	v_mov_b32_dpp v41, v39 row_shr:1 row_mask:0xf bank_mask:0xf
	v_cndmask_b32_e64 v41, v41, 0, vcc
	v_add_u32_e32 v39, v41, v39
	v_cmp_lt_u32_e64 s[0:1], 1, v40
	v_cmp_lt_u32_e64 s[2:3], 3, v40
	v_mov_b32_dpp v41, v39 row_shr:2 row_mask:0xf bank_mask:0xf
	v_cndmask_b32_e64 v41, 0, v41, s[0:1]
	v_add_u32_e32 v39, v39, v41
	v_cmp_lt_u32_e64 s[4:5], 7, v40
	s_nop 0
	v_mov_b32_dpp v41, v39 row_shr:4 row_mask:0xf bank_mask:0xf
	v_cndmask_b32_e64 v41, 0, v41, s[2:3]
	v_add_u32_e32 v39, v39, v41
	s_nop 1
	v_mov_b32_dpp v41, v39 row_shr:8 row_mask:0xf bank_mask:0xf
	v_cndmask_b32_e64 v40, 0, v41, s[4:5]
	v_add_u32_e32 v39, v39, v40
	v_bfe_i32 v41, v9, 4, 1
	s_nop 0
	v_mov_b32_dpp v40, v39 row_bcast:15 row_mask:0xf bank_mask:0xf
	v_and_b32_e32 v40, v41, v40
	v_add_u32_e32 v39, v39, v40
	v_and_b32_e32 v41, 63, v8
	s_nop 0
	v_mov_b32_dpp v40, v39 row_bcast:31 row_mask:0xf bank_mask:0xf
	v_cndmask_b32_e64 v40, 0, v40, s[8:9]
	v_add_u32_e32 v39, v39, v40
	v_lshrrev_b32_e32 v40, 6, v8
	v_cmp_eq_u32_e64 s[8:9], 63, v41
	s_and_saveexec_b64 s[14:15], s[8:9]
	s_cbranch_execz .LBB149_101
; %bb.100:
	v_lshlrev_b32_e32 v41, 2, v40
	ds_write_b32 v41, v39
.LBB149_101:
	s_or_b64 exec, exec, s[14:15]
	v_cmp_gt_u32_e64 s[8:9], 16, v8
	s_waitcnt lgkmcnt(0)
	s_barrier
	s_and_saveexec_b64 s[14:15], s[8:9]
	s_cbranch_execz .LBB149_103
; %bb.102:
	v_lshlrev_b32_e32 v41, 2, v8
	ds_read_b32 v42, v41
	s_waitcnt lgkmcnt(0)
	s_nop 0
	v_mov_b32_dpp v43, v42 row_shr:1 row_mask:0xf bank_mask:0xf
	v_cndmask_b32_e64 v43, v43, 0, vcc
	v_add_u32_e32 v42, v43, v42
	s_nop 1
	v_mov_b32_dpp v43, v42 row_shr:2 row_mask:0xf bank_mask:0xf
	v_cndmask_b32_e64 v43, 0, v43, s[0:1]
	v_add_u32_e32 v42, v42, v43
	s_nop 1
	v_mov_b32_dpp v43, v42 row_shr:4 row_mask:0xf bank_mask:0xf
	v_cndmask_b32_e64 v43, 0, v43, s[2:3]
	;; [unrolled: 4-line block ×3, first 2 shown]
	v_add_u32_e32 v42, v42, v43
	ds_write_b32 v41, v42
.LBB149_103:
	s_or_b64 exec, exec, s[14:15]
	v_cmp_lt_u32_e32 vcc, 63, v8
	v_mov_b32_e32 v41, 0
	s_waitcnt lgkmcnt(0)
	s_barrier
	s_and_saveexec_b64 s[0:1], vcc
	s_cbranch_execz .LBB149_105
; %bb.104:
	v_lshl_add_u32 v40, v40, 2, -4
	ds_read_b32 v41, v40
.LBB149_105:
	s_or_b64 exec, exec, s[0:1]
	v_add_u32_e32 v40, -1, v9
	v_and_b32_e32 v42, 64, v9
	v_cmp_lt_i32_e32 vcc, v40, v42
	v_cndmask_b32_e32 v40, v40, v9, vcc
	s_waitcnt lgkmcnt(0)
	v_add_u32_e32 v39, v41, v39
	v_lshlrev_b32_e32 v40, 2, v40
	ds_bpermute_b32 v39, v40, v39
	v_cmp_eq_u32_e32 vcc, 0, v9
	s_movk_i32 s2, 0xff
	s_movk_i32 s3, 0x100
	v_cmp_lt_u32_e64 s[0:1], s2, v8
	s_waitcnt lgkmcnt(0)
	v_cndmask_b32_e32 v9, v39, v41, vcc
	v_cmp_ne_u32_e32 vcc, 0, v8
	v_cndmask_b32_e32 v9, 0, v9, vcc
	v_add_u32_e32 v16, v9, v16
	v_add_u32_e32 v17, v16, v17
	;; [unrolled: 1-line block ×4, first 2 shown]
	ds_write2_b32 v20, v9, v16 offset0:16 offset1:17
	ds_write2_b32 v36, v17, v10 offset0:2 offset1:3
	ds_write_b32 v36, v11 offset:16
	s_waitcnt lgkmcnt(0)
	s_barrier
	ds_read_b32 v21, v21 offset:64
	ds_read_b32 v36, v24 offset:64
	;; [unrolled: 1-line block ×6, first 2 shown]
	v_cmp_gt_u32_e32 vcc, s3, v8
	v_pk_mov_b32 v[10:11], 0, 0
                                        ; implicit-def: $vgpr20
	s_and_saveexec_b64 s[4:5], vcc
	s_cbranch_execz .LBB149_109
; %bb.106:
	v_mul_u32_u24_e32 v10, 17, v8
	v_lshlrev_b32_e32 v20, 2, v10
	ds_read_b32 v10, v20 offset:64
	v_cmp_ne_u32_e64 s[2:3], s2, v8
	v_mov_b32_e32 v11, 0x1800
	s_and_saveexec_b64 s[8:9], s[2:3]
	s_cbranch_execz .LBB149_108
; %bb.107:
	ds_read_b32 v11, v20 offset:132
.LBB149_108:
	s_or_b64 exec, exec, s[8:9]
	s_waitcnt lgkmcnt(0)
	v_sub_u32_e32 v20, v11, v10
	v_mov_b32_e32 v11, 0
.LBB149_109:
	s_or_b64 exec, exec, s[4:5]
	v_add_u32_e32 v26, v38, v26
	v_add_u32_e32 v28, v35, v33
	;; [unrolled: 1-line block ×5, first 2 shown]
	s_waitcnt lgkmcnt(5)
	v_add_lshl_u32 v21, v21, v22, 3
	s_waitcnt lgkmcnt(4)
	v_add_lshl_u32 v22, v23, v36, 3
	;; [unrolled: 2-line block ×6, first 2 shown]
	s_barrier
	ds_write_b64 v21, v[0:1] offset:2048
	ds_write_b64 v22, v[2:3] offset:2048
	;; [unrolled: 1-line block ×6, first 2 shown]
	s_waitcnt lgkmcnt(0)
	s_barrier
	s_and_saveexec_b64 s[2:3], s[0:1]
	s_xor_b64 s[0:1], exec, s[2:3]
; %bb.110:
	v_mov_b32_e32 v9, 0
; %bb.111:
	s_andn2_saveexec_b64 s[2:3], s[0:1]
	s_cbranch_execz .LBB149_121
; %bb.112:
	v_lshl_or_b32 v0, s6, 8, v8
	v_mov_b32_e32 v1, 0
	v_lshlrev_b64 v[2:3], 2, v[0:1]
	v_mov_b32_e32 v7, s31
	v_add_co_u32_e64 v2, s[0:1], s30, v2
	v_addc_co_u32_e64 v3, s[0:1], v7, v3, s[0:1]
	v_or_b32_e32 v0, 2.0, v20
	s_mov_b64 s[4:5], 0
	s_brev_b32 s17, 1
	s_mov_b32 s18, s6
	v_mov_b32_e32 v6, 0
	global_store_dword v[2:3], v0, off
                                        ; implicit-def: $sgpr0_sgpr1
	s_branch .LBB149_115
.LBB149_113:                            ;   in Loop: Header=BB149_115 Depth=1
	s_or_b64 exec, exec, s[14:15]
.LBB149_114:                            ;   in Loop: Header=BB149_115 Depth=1
	s_or_b64 exec, exec, s[8:9]
	v_and_b32_e32 v4, 0x3fffffff, v9
	v_add_u32_e32 v6, v4, v6
	v_cmp_eq_u32_e64 s[0:1], s17, v0
	s_and_b64 s[8:9], exec, s[0:1]
	s_or_b64 s[4:5], s[8:9], s[4:5]
	s_andn2_b64 exec, exec, s[4:5]
	s_cbranch_execz .LBB149_120
.LBB149_115:                            ; =>This Loop Header: Depth=1
                                        ;     Child Loop BB149_118 Depth 2
	s_or_b64 s[0:1], s[0:1], exec
	s_cmp_eq_u32 s18, 0
	s_cbranch_scc1 .LBB149_119
; %bb.116:                              ;   in Loop: Header=BB149_115 Depth=1
	s_add_i32 s18, s18, -1
	v_lshl_or_b32 v0, s18, 8, v8
	v_lshlrev_b64 v[4:5], 2, v[0:1]
	v_add_co_u32_e64 v4, s[0:1], s30, v4
	v_addc_co_u32_e64 v5, s[0:1], v7, v5, s[0:1]
	global_load_dword v9, v[4:5], off glc
	s_waitcnt vmcnt(0)
	v_and_b32_e32 v0, -2.0, v9
	v_cmp_eq_u32_e64 s[0:1], 0, v0
	s_and_saveexec_b64 s[8:9], s[0:1]
	s_cbranch_execz .LBB149_114
; %bb.117:                              ;   in Loop: Header=BB149_115 Depth=1
	s_mov_b64 s[14:15], 0
.LBB149_118:                            ;   Parent Loop BB149_115 Depth=1
                                        ; =>  This Inner Loop Header: Depth=2
	global_load_dword v9, v[4:5], off glc
	s_waitcnt vmcnt(0)
	v_and_b32_e32 v0, -2.0, v9
	v_cmp_ne_u32_e64 s[0:1], 0, v0
	s_or_b64 s[14:15], s[0:1], s[14:15]
	s_andn2_b64 exec, exec, s[14:15]
	s_cbranch_execnz .LBB149_118
	s_branch .LBB149_113
.LBB149_119:                            ;   in Loop: Header=BB149_115 Depth=1
                                        ; implicit-def: $sgpr18
	s_and_b64 s[8:9], exec, s[0:1]
	s_or_b64 s[4:5], s[8:9], s[4:5]
	s_andn2_b64 exec, exec, s[4:5]
	s_cbranch_execnz .LBB149_115
.LBB149_120:
	s_or_b64 exec, exec, s[4:5]
	v_add_u32_e32 v0, v6, v20
	v_or_b32_e32 v0, 0x80000000, v0
	global_store_dword v[2:3], v0, off
	v_lshlrev_b32_e32 v2, 3, v8
	global_load_dwordx2 v[0:1], v2, s[44:45]
	v_sub_co_u32_e64 v3, s[0:1], v6, v10
	v_subb_co_u32_e64 v4, s[0:1], 0, v11, s[0:1]
	v_mov_b32_e32 v9, 0
	s_waitcnt vmcnt(0)
	v_add_co_u32_e64 v0, s[0:1], v3, v0
	v_addc_co_u32_e64 v1, s[0:1], v4, v1, s[0:1]
	ds_write_b64 v2, v[0:1]
.LBB149_121:
	s_or_b64 exec, exec, s[2:3]
	v_lshlrev_b32_e32 v27, 3, v8
	s_waitcnt lgkmcnt(0)
	s_barrier
	v_lshlrev_b32_e32 v28, 3, v8
	ds_read2st64_b64 v[0:3], v27 offset0:20 offset1:36
	ds_read_b64 v[12:13], v28 offset:2048
	s_mov_b32 s2, 0
	ds_read2st64_b64 v[4:7], v27 offset0:52 offset1:68
	s_brev_b32 s3, 1
	v_bfrev_b32_e32 v46, -2
	s_waitcnt lgkmcnt(2)
	v_cmp_ne_u64_e64 s[0:1], s[2:3], v[2:3]
	v_cndmask_b32_e64 v15, v46, v3, s[0:1]
	v_cndmask_b32_e64 v14, -1, v2, s[0:1]
	v_lshrrev_b64 v[14:15], s48, v[14:15]
	v_and_b32_e32 v14, s16, v14
	s_waitcnt lgkmcnt(0)
	v_cmp_ne_u64_e64 s[0:1], s[2:3], v[6:7]
	v_lshlrev_b32_e32 v29, 3, v14
	v_cndmask_b32_e64 v15, v46, v7, s[0:1]
	v_cndmask_b32_e64 v14, -1, v6, s[0:1]
	v_cmp_ne_u64_e64 s[0:1], s[2:3], v[12:13]
	v_cndmask_b32_e64 v33, v46, v13, s[0:1]
	v_cndmask_b32_e64 v32, -1, v12, s[0:1]
	v_lshrrev_b64 v[14:15], s48, v[14:15]
	v_lshrrev_b64 v[32:33], s48, v[32:33]
	v_and_b32_e32 v14, s16, v14
	v_cmp_gt_i64_e64 s[0:1], 0, v[12:13]
	v_ashrrev_i32_e32 v33, 31, v13
	v_lshlrev_b32_e32 v47, 3, v14
	v_and_b32_e32 v34, s16, v32
	v_cndmask_b32_e64 v32, v46, 0, s[0:1]
	v_not_b32_e32 v35, v33
	v_cmp_ne_u64_e64 s[0:1], s[2:3], v[0:1]
	ds_read_b64 v[16:17], v47
	ds_read_b64 v[30:31], v29
	ds_read_b64 v[14:15], v27 offset:43008
	v_xor_b32_e32 v33, v32, v13
	v_xor_b32_e32 v32, v35, v12
	v_cndmask_b32_e64 v13, v46, v1, s[0:1]
	v_cndmask_b32_e64 v12, -1, v0, s[0:1]
	v_lshrrev_b64 v[12:13], s48, v[12:13]
	v_and_b32_e32 v12, s16, v12
	v_cmp_ne_u64_e64 s[0:1], s[2:3], v[4:5]
	v_lshlrev_b32_e32 v49, 3, v12
	v_cndmask_b32_e64 v13, v46, v5, s[0:1]
	v_cndmask_b32_e64 v12, -1, v4, s[0:1]
	v_lshrrev_b64 v[12:13], s48, v[12:13]
	v_and_b32_e32 v12, s16, v12
	s_waitcnt lgkmcnt(0)
	v_cmp_ne_u64_e64 s[0:1], s[2:3], v[14:15]
	v_lshlrev_b32_e32 v50, 3, v12
	v_cndmask_b32_e64 v13, v46, v15, s[0:1]
	v_cndmask_b32_e64 v12, -1, v14, s[0:1]
	v_lshlrev_b32_e32 v48, 3, v34
	v_lshrrev_b64 v[12:13], s48, v[12:13]
	v_and_b32_e32 v34, s16, v12
	ds_read_b64 v[12:13], v48
	v_mov_b32_e32 v40, s39
	v_lshlrev_b32_e32 v51, 3, v34
	ds_read_b64 v[34:35], v49
	ds_read_b64 v[36:37], v50
	;; [unrolled: 1-line block ×3, first 2 shown]
	v_or_b32_e32 v52, 0x2000, v27
	s_waitcnt lgkmcnt(3)
	v_lshlrev_b64 v[12:13], 3, v[12:13]
	v_add_co_u32_e64 v41, s[0:1], s38, v12
	v_addc_co_u32_e64 v42, s[0:1], v40, v13, s[0:1]
	v_lshlrev_b64 v[12:13], 3, v[8:9]
	v_add_co_u32_e64 v40, s[0:1], v41, v12
	v_addc_co_u32_e64 v41, s[0:1], v42, v13, s[0:1]
	global_store_dwordx2 v[40:41], v[32:33], off
	v_cmp_gt_i64_e64 s[0:1], 0, v[0:1]
	v_ashrrev_i32_e32 v33, 31, v1
	v_cndmask_b32_e64 v32, v46, 0, s[0:1]
	v_not_b32_e32 v33, v33
	v_xor_b32_e32 v1, v32, v1
	v_xor_b32_e32 v0, v33, v0
	s_waitcnt lgkmcnt(2)
	v_lshlrev_b64 v[32:33], 3, v[34:35]
	v_mov_b32_e32 v34, s39
	v_add_co_u32_e64 v32, s[0:1], s38, v32
	v_addc_co_u32_e64 v33, s[0:1], v34, v33, s[0:1]
	v_add_co_u32_e64 v32, s[0:1], v32, v52
	v_addc_co_u32_e64 v33, s[0:1], 0, v33, s[0:1]
	s_add_u32 s0, s40, s12
	s_addc_u32 s1, s41, s13
	global_store_dwordx2 v[32:33], v[0:1], off
	v_mov_b32_e32 v0, s1
	v_add_co_u32_e64 v1, s[0:1], s0, v18
	v_addc_co_u32_e64 v18, s[0:1], 0, v0, s[0:1]
	v_add_co_u32_e64 v0, s[0:1], v1, v19
	v_addc_co_u32_e64 v1, s[0:1], 0, v18, s[0:1]
	global_load_dwordx2 v[18:19], v[0:1], off
	global_load_dwordx2 v[32:33], v[0:1], off offset:512
	global_load_dwordx2 v[34:35], v[0:1], off offset:1024
	;; [unrolled: 1-line block ×5, first 2 shown]
	v_cmp_gt_i64_e64 s[0:1], 0, v[2:3]
	v_ashrrev_i32_e32 v1, 31, v3
	v_cndmask_b32_e64 v0, v46, 0, s[0:1]
	v_not_b32_e32 v53, v1
	v_xor_b32_e32 v1, v0, v3
	v_xor_b32_e32 v0, v53, v2
	v_lshlrev_b64 v[2:3], 3, v[30:31]
	v_mov_b32_e32 v30, s39
	v_add_co_u32_e64 v2, s[0:1], s38, v2
	v_addc_co_u32_e64 v3, s[0:1], v30, v3, s[0:1]
	v_or_b32_e32 v30, 0x4000, v27
	v_add_co_u32_e64 v2, s[0:1], v2, v30
	v_addc_co_u32_e64 v3, s[0:1], 0, v3, s[0:1]
	global_store_dwordx2 v[2:3], v[0:1], off
	v_cmp_gt_i64_e64 s[0:1], 0, v[4:5]
	v_ashrrev_i32_e32 v1, 31, v5
	v_cndmask_b32_e64 v0, v46, 0, s[0:1]
	v_not_b32_e32 v2, v1
	v_xor_b32_e32 v1, v0, v5
	v_xor_b32_e32 v0, v2, v4
	s_waitcnt lgkmcnt(1)
	v_lshlrev_b64 v[2:3], 3, v[36:37]
	v_mov_b32_e32 v4, s39
	v_add_co_u32_e64 v2, s[0:1], s38, v2
	v_addc_co_u32_e64 v3, s[0:1], v4, v3, s[0:1]
	v_or_b32_e32 v31, 0x6000, v27
	v_add_co_u32_e64 v2, s[0:1], v2, v31
	v_addc_co_u32_e64 v3, s[0:1], 0, v3, s[0:1]
	global_store_dwordx2 v[2:3], v[0:1], off
	v_cmp_gt_i64_e64 s[0:1], 0, v[6:7]
	v_ashrrev_i32_e32 v1, 31, v7
	v_cndmask_b32_e64 v0, v46, 0, s[0:1]
	v_not_b32_e32 v2, v1
	v_xor_b32_e32 v1, v0, v7
	v_xor_b32_e32 v0, v2, v6
	v_lshlrev_b64 v[2:3], 3, v[16:17]
	v_add_co_u32_e64 v2, s[0:1], s38, v2
	v_addc_co_u32_e64 v3, s[0:1], v4, v3, s[0:1]
	v_or_b32_e32 v36, 0x8000, v27
	v_add_co_u32_e64 v2, s[0:1], v2, v36
	v_addc_co_u32_e64 v3, s[0:1], 0, v3, s[0:1]
	global_store_dwordx2 v[2:3], v[0:1], off
	v_cmp_gt_i64_e64 s[0:1], 0, v[14:15]
	v_ashrrev_i32_e32 v1, 31, v15
	v_cndmask_b32_e64 v0, v46, 0, s[0:1]
	v_not_b32_e32 v2, v1
	v_xor_b32_e32 v1, v0, v15
	v_xor_b32_e32 v0, v2, v14
	s_waitcnt lgkmcnt(0)
	v_lshlrev_b64 v[2:3], 3, v[38:39]
	v_add_co_u32_e64 v2, s[0:1], s38, v2
	v_addc_co_u32_e64 v3, s[0:1], v4, v3, s[0:1]
	v_or_b32_e32 v37, 0xa000, v27
	v_add_co_u32_e64 v2, s[0:1], v2, v37
	v_addc_co_u32_e64 v3, s[0:1], 0, v3, s[0:1]
	global_store_dwordx2 v[2:3], v[0:1], off
	s_barrier
	s_waitcnt vmcnt(9)
	ds_write_b64 v21, v[18:19] offset:2048
	s_waitcnt vmcnt(8)
	ds_write_b64 v22, v[32:33] offset:2048
	s_waitcnt vmcnt(7)
	ds_write_b64 v23, v[34:35] offset:2048
	s_waitcnt vmcnt(6)
	ds_write_b64 v24, v[40:41] offset:2048
	s_waitcnt vmcnt(5)
	ds_write_b64 v25, v[42:43] offset:2048
	s_waitcnt vmcnt(4)
	ds_write_b64 v26, v[44:45] offset:2048
	s_waitcnt lgkmcnt(0)
	s_barrier
	ds_read_b64 v[0:1], v48
	ds_read_b64 v[2:3], v28 offset:2048
	ds_read_b64 v[4:5], v49
	ds_read_b64 v[6:7], v27 offset:43008
	v_mov_b32_e32 v14, s43
	s_waitcnt lgkmcnt(3)
	v_lshlrev_b64 v[0:1], 3, v[0:1]
	v_add_co_u32_e64 v0, s[0:1], s42, v0
	v_addc_co_u32_e64 v1, s[0:1], v14, v1, s[0:1]
	v_add_co_u32_e64 v0, s[0:1], v0, v12
	v_addc_co_u32_e64 v1, s[0:1], v1, v13, s[0:1]
	s_waitcnt lgkmcnt(1)
	v_lshlrev_b64 v[4:5], 3, v[4:5]
	v_mov_b32_e32 v12, s43
	v_add_co_u32_e64 v4, s[0:1], s42, v4
	global_store_dwordx2 v[0:1], v[2:3], off
	ds_read2st64_b64 v[0:3], v27 offset0:20 offset1:36
	v_addc_co_u32_e64 v5, s[0:1], v12, v5, s[0:1]
	ds_read_b64 v[12:13], v29
	v_add_co_u32_e64 v4, s[0:1], v4, v52
	v_addc_co_u32_e64 v5, s[0:1], 0, v5, s[0:1]
	s_waitcnt lgkmcnt(1)
	global_store_dwordx2 v[4:5], v[0:1], off
	s_waitcnt lgkmcnt(0)
	v_lshlrev_b64 v[0:1], 3, v[12:13]
	v_mov_b32_e32 v12, s43
	v_add_co_u32_e64 v0, s[0:1], s42, v0
	ds_read_b64 v[4:5], v50
	ds_read_b64 v[14:15], v47
	ds_read_b64 v[16:17], v51
	v_addc_co_u32_e64 v1, s[0:1], v12, v1, s[0:1]
	v_add_co_u32_e64 v0, s[0:1], v0, v30
	v_addc_co_u32_e64 v1, s[0:1], 0, v1, s[0:1]
	global_store_dwordx2 v[0:1], v[2:3], off
	ds_read2st64_b64 v[0:3], v27 offset0:52 offset1:68
	s_waitcnt lgkmcnt(3)
	v_lshlrev_b64 v[4:5], 3, v[4:5]
	v_add_co_u32_e64 v4, s[0:1], s42, v4
	v_addc_co_u32_e64 v5, s[0:1], v12, v5, s[0:1]
	v_add_co_u32_e64 v4, s[0:1], v4, v31
	v_addc_co_u32_e64 v5, s[0:1], 0, v5, s[0:1]
	s_waitcnt lgkmcnt(0)
	global_store_dwordx2 v[4:5], v[0:1], off
	v_lshlrev_b64 v[0:1], 3, v[14:15]
	v_mov_b32_e32 v4, s43
	v_add_co_u32_e64 v0, s[0:1], s42, v0
	v_addc_co_u32_e64 v1, s[0:1], v4, v1, s[0:1]
	v_add_co_u32_e64 v0, s[0:1], v0, v36
	v_addc_co_u32_e64 v1, s[0:1], 0, v1, s[0:1]
	global_store_dwordx2 v[0:1], v[2:3], off
	v_lshlrev_b64 v[0:1], 3, v[16:17]
	v_mov_b32_e32 v2, s43
	v_add_co_u32_e64 v0, s[0:1], s42, v0
	v_addc_co_u32_e64 v1, s[0:1], v2, v1, s[0:1]
	v_add_co_u32_e64 v0, s[0:1], v0, v37
	s_add_i32 s7, s7, -1
	v_addc_co_u32_e64 v1, s[0:1], 0, v1, s[0:1]
	s_cmp_eq_u32 s6, s7
	s_cselect_b64 s[0:1], -1, 0
	s_and_b64 s[2:3], vcc, s[0:1]
	global_store_dwordx2 v[0:1], v[6:7], off
                                        ; implicit-def: $vgpr2_vgpr3
	s_and_saveexec_b64 s[0:1], s[2:3]
; %bb.122:
	v_add_co_u32_e32 v2, vcc, v10, v20
	v_addc_co_u32_e32 v3, vcc, 0, v11, vcc
	s_or_b64 s[10:11], s[10:11], exec
; %bb.123:
	s_or_b64 exec, exec, s[0:1]
.LBB149_124:
	s_and_saveexec_b64 s[0:1], s[10:11]
	s_cbranch_execnz .LBB149_126
; %bb.125:
	s_endpgm
.LBB149_126:
	v_lshlrev_b32_e32 v4, 3, v8
	ds_read_b64 v[4:5], v4
	v_lshlrev_b64 v[0:1], 3, v[8:9]
	v_mov_b32_e32 v6, s47
	v_add_co_u32_e32 v0, vcc, s46, v0
	v_addc_co_u32_e32 v1, vcc, v6, v1, vcc
	s_waitcnt lgkmcnt(0)
	v_add_co_u32_e32 v2, vcc, v4, v2
	v_addc_co_u32_e32 v3, vcc, v5, v3, vcc
	global_store_dwordx2 v[0:1], v[2:3], off
	s_endpgm
.LBB149_127:
	global_load_dwordx2 v[2:3], v[18:19], off
	s_or_b64 exec, exec, s[28:29]
                                        ; implicit-def: $vgpr6_vgpr7
	s_and_saveexec_b64 s[28:29], s[0:1]
	s_cbranch_execz .LBB149_59
.LBB149_128:
	global_load_dwordx2 v[6:7], v[18:19], off offset:512
	s_or_b64 exec, exec, s[28:29]
                                        ; implicit-def: $vgpr10_vgpr11
	s_and_saveexec_b64 s[0:1], s[2:3]
	s_cbranch_execz .LBB149_60
.LBB149_129:
	global_load_dwordx2 v[10:11], v[18:19], off offset:1024
	s_or_b64 exec, exec, s[0:1]
                                        ; implicit-def: $vgpr12_vgpr13
	s_and_saveexec_b64 s[0:1], s[26:27]
	s_cbranch_execz .LBB149_61
.LBB149_130:
	global_load_dwordx2 v[12:13], v[18:19], off offset:1536
	s_or_b64 exec, exec, s[0:1]
                                        ; implicit-def: $vgpr14_vgpr15
	s_and_saveexec_b64 s[0:1], s[8:9]
	s_cbranch_execz .LBB149_62
.LBB149_131:
	global_load_dwordx2 v[14:15], v[18:19], off offset:2048
	s_or_b64 exec, exec, s[0:1]
                                        ; implicit-def: $vgpr16_vgpr17
	s_and_saveexec_b64 s[0:1], s[10:11]
	s_cbranch_execnz .LBB149_63
	s_branch .LBB149_64
.LBB149_132:
	v_lshlrev_b32_e32 v2, 3, v20
	ds_read_b64 v[2:3], v2
	ds_read_b64 v[6:7], v28 offset:2048
	v_mov_b32_e32 v10, s43
	s_waitcnt lgkmcnt(1)
	v_lshlrev_b64 v[2:3], 3, v[2:3]
	v_add_co_u32_e32 v2, vcc, s42, v2
	v_addc_co_u32_e32 v3, vcc, v10, v3, vcc
	v_add_co_u32_e32 v2, vcc, v2, v28
	v_addc_co_u32_e32 v3, vcc, 0, v3, vcc
	s_waitcnt lgkmcnt(0)
	global_store_dwordx2 v[2:3], v[6:7], off
	s_or_b64 exec, exec, s[0:1]
	s_and_saveexec_b64 s[0:1], s[16:17]
	s_cbranch_execz .LBB149_78
.LBB149_133:
	v_lshlrev_b32_e32 v2, 3, v9
	ds_read_b64 v[2:3], v2
	ds_read_b64 v[6:7], v28 offset:10240
	v_mov_b32_e32 v9, s43
	s_waitcnt lgkmcnt(1)
	v_lshlrev_b64 v[2:3], 3, v[2:3]
	v_add_co_u32_e32 v2, vcc, s42, v2
	v_addc_co_u32_e32 v3, vcc, v9, v3, vcc
	v_add_co_u32_e32 v2, vcc, v2, v29
	v_addc_co_u32_e32 v3, vcc, 0, v3, vcc
	s_waitcnt lgkmcnt(0)
	global_store_dwordx2 v[2:3], v[6:7], off
	s_or_b64 exec, exec, s[0:1]
	s_and_saveexec_b64 s[0:1], s[18:19]
	s_cbranch_execz .LBB149_79
.LBB149_134:
	v_lshlrev_b32_e32 v2, 3, v34
	ds_read_b64 v[2:3], v2
	ds_read_b64 v[6:7], v28 offset:18432
	v_mov_b32_e32 v9, s43
	s_waitcnt lgkmcnt(1)
	v_lshlrev_b64 v[2:3], 3, v[2:3]
	v_add_co_u32_e32 v2, vcc, s42, v2
	v_addc_co_u32_e32 v3, vcc, v9, v3, vcc
	v_add_co_u32_e32 v2, vcc, v2, v30
	v_addc_co_u32_e32 v3, vcc, 0, v3, vcc
	s_waitcnt lgkmcnt(0)
	global_store_dwordx2 v[2:3], v[6:7], off
	s_or_b64 exec, exec, s[0:1]
	s_and_saveexec_b64 s[0:1], s[20:21]
	s_cbranch_execz .LBB149_80
.LBB149_135:
	v_lshlrev_b32_e32 v2, 3, v18
	ds_read_b64 v[2:3], v2
	ds_read_b64 v[6:7], v28 offset:26624
	v_mov_b32_e32 v9, s43
	s_waitcnt lgkmcnt(1)
	v_lshlrev_b64 v[2:3], 3, v[2:3]
	v_add_co_u32_e32 v2, vcc, s42, v2
	v_addc_co_u32_e32 v3, vcc, v9, v3, vcc
	v_add_co_u32_e32 v2, vcc, v2, v31
	v_addc_co_u32_e32 v3, vcc, 0, v3, vcc
	s_waitcnt lgkmcnt(0)
	global_store_dwordx2 v[2:3], v[6:7], off
	s_or_b64 exec, exec, s[0:1]
	s_and_saveexec_b64 s[0:1], s[22:23]
	s_cbranch_execz .LBB149_81
.LBB149_136:
	v_lshlrev_b32_e32 v2, 3, v35
	ds_read_b64 v[2:3], v2
	ds_read_b64 v[6:7], v28 offset:34816
	v_mov_b32_e32 v9, s43
	s_waitcnt lgkmcnt(1)
	v_lshlrev_b64 v[2:3], 3, v[2:3]
	v_add_co_u32_e32 v2, vcc, s42, v2
	v_addc_co_u32_e32 v3, vcc, v9, v3, vcc
	v_add_co_u32_e32 v2, vcc, v2, v32
	v_addc_co_u32_e32 v3, vcc, 0, v3, vcc
	s_waitcnt lgkmcnt(0)
	global_store_dwordx2 v[2:3], v[6:7], off
	s_or_b64 exec, exec, s[0:1]
	s_and_saveexec_b64 s[0:1], s[24:25]
	s_cbranch_execnz .LBB149_82
	s_branch .LBB149_83
	.section	.rodata,"a",@progbits
	.p2align	6, 0x0
	.amdhsa_kernel _ZN7rocprim17ROCPRIM_304000_NS6detail25onesweep_iteration_kernelINS1_34wrapped_radix_sort_onesweep_configINS0_14default_configEdN2at4cuda3cub6detail10OpaqueTypeILi8EEEEELb1EPKdPdPKSA_PSA_mNS0_19identity_decomposerEEEvT1_T2_T3_T4_jPT5_SO_PNS1_23onesweep_lookback_stateET6_jjj
		.amdhsa_group_segment_fixed_size 51200
		.amdhsa_private_segment_fixed_size 0
		.amdhsa_kernarg_size 336
		.amdhsa_user_sgpr_count 6
		.amdhsa_user_sgpr_private_segment_buffer 1
		.amdhsa_user_sgpr_dispatch_ptr 0
		.amdhsa_user_sgpr_queue_ptr 0
		.amdhsa_user_sgpr_kernarg_segment_ptr 1
		.amdhsa_user_sgpr_dispatch_id 0
		.amdhsa_user_sgpr_flat_scratch_init 0
		.amdhsa_user_sgpr_kernarg_preload_length 0
		.amdhsa_user_sgpr_kernarg_preload_offset 0
		.amdhsa_user_sgpr_private_segment_size 0
		.amdhsa_uses_dynamic_stack 0
		.amdhsa_system_sgpr_private_segment_wavefront_offset 0
		.amdhsa_system_sgpr_workgroup_id_x 1
		.amdhsa_system_sgpr_workgroup_id_y 0
		.amdhsa_system_sgpr_workgroup_id_z 0
		.amdhsa_system_sgpr_workgroup_info 0
		.amdhsa_system_vgpr_workitem_id 2
		.amdhsa_next_free_vgpr 54
		.amdhsa_next_free_sgpr 54
		.amdhsa_accum_offset 56
		.amdhsa_reserve_vcc 1
		.amdhsa_reserve_flat_scratch 0
		.amdhsa_float_round_mode_32 0
		.amdhsa_float_round_mode_16_64 0
		.amdhsa_float_denorm_mode_32 3
		.amdhsa_float_denorm_mode_16_64 3
		.amdhsa_dx10_clamp 1
		.amdhsa_ieee_mode 1
		.amdhsa_fp16_overflow 0
		.amdhsa_tg_split 0
		.amdhsa_exception_fp_ieee_invalid_op 0
		.amdhsa_exception_fp_denorm_src 0
		.amdhsa_exception_fp_ieee_div_zero 0
		.amdhsa_exception_fp_ieee_overflow 0
		.amdhsa_exception_fp_ieee_underflow 0
		.amdhsa_exception_fp_ieee_inexact 0
		.amdhsa_exception_int_div_zero 0
	.end_amdhsa_kernel
	.section	.text._ZN7rocprim17ROCPRIM_304000_NS6detail25onesweep_iteration_kernelINS1_34wrapped_radix_sort_onesweep_configINS0_14default_configEdN2at4cuda3cub6detail10OpaqueTypeILi8EEEEELb1EPKdPdPKSA_PSA_mNS0_19identity_decomposerEEEvT1_T2_T3_T4_jPT5_SO_PNS1_23onesweep_lookback_stateET6_jjj,"axG",@progbits,_ZN7rocprim17ROCPRIM_304000_NS6detail25onesweep_iteration_kernelINS1_34wrapped_radix_sort_onesweep_configINS0_14default_configEdN2at4cuda3cub6detail10OpaqueTypeILi8EEEEELb1EPKdPdPKSA_PSA_mNS0_19identity_decomposerEEEvT1_T2_T3_T4_jPT5_SO_PNS1_23onesweep_lookback_stateET6_jjj,comdat
.Lfunc_end149:
	.size	_ZN7rocprim17ROCPRIM_304000_NS6detail25onesweep_iteration_kernelINS1_34wrapped_radix_sort_onesweep_configINS0_14default_configEdN2at4cuda3cub6detail10OpaqueTypeILi8EEEEELb1EPKdPdPKSA_PSA_mNS0_19identity_decomposerEEEvT1_T2_T3_T4_jPT5_SO_PNS1_23onesweep_lookback_stateET6_jjj, .Lfunc_end149-_ZN7rocprim17ROCPRIM_304000_NS6detail25onesweep_iteration_kernelINS1_34wrapped_radix_sort_onesweep_configINS0_14default_configEdN2at4cuda3cub6detail10OpaqueTypeILi8EEEEELb1EPKdPdPKSA_PSA_mNS0_19identity_decomposerEEEvT1_T2_T3_T4_jPT5_SO_PNS1_23onesweep_lookback_stateET6_jjj
                                        ; -- End function
	.section	.AMDGPU.csdata,"",@progbits
; Kernel info:
; codeLenInByte = 12732
; NumSgprs: 58
; NumVgprs: 54
; NumAgprs: 0
; TotalNumVgprs: 54
; ScratchSize: 0
; MemoryBound: 0
; FloatMode: 240
; IeeeMode: 1
; LDSByteSize: 51200 bytes/workgroup (compile time only)
; SGPRBlocks: 7
; VGPRBlocks: 6
; NumSGPRsForWavesPerEU: 58
; NumVGPRsForWavesPerEU: 54
; AccumOffset: 56
; Occupancy: 4
; WaveLimiterHint : 1
; COMPUTE_PGM_RSRC2:SCRATCH_EN: 0
; COMPUTE_PGM_RSRC2:USER_SGPR: 6
; COMPUTE_PGM_RSRC2:TRAP_HANDLER: 0
; COMPUTE_PGM_RSRC2:TGID_X_EN: 1
; COMPUTE_PGM_RSRC2:TGID_Y_EN: 0
; COMPUTE_PGM_RSRC2:TGID_Z_EN: 0
; COMPUTE_PGM_RSRC2:TIDIG_COMP_CNT: 2
; COMPUTE_PGM_RSRC3_GFX90A:ACCUM_OFFSET: 13
; COMPUTE_PGM_RSRC3_GFX90A:TG_SPLIT: 0
	.section	.text._ZN7rocprim17ROCPRIM_304000_NS6detail25onesweep_iteration_kernelINS1_34wrapped_radix_sort_onesweep_configINS0_14default_configEdN2at4cuda3cub6detail10OpaqueTypeILi8EEEEELb1EPdSC_PSA_SD_mNS0_19identity_decomposerEEEvT1_T2_T3_T4_jPT5_SK_PNS1_23onesweep_lookback_stateET6_jjj,"axG",@progbits,_ZN7rocprim17ROCPRIM_304000_NS6detail25onesweep_iteration_kernelINS1_34wrapped_radix_sort_onesweep_configINS0_14default_configEdN2at4cuda3cub6detail10OpaqueTypeILi8EEEEELb1EPdSC_PSA_SD_mNS0_19identity_decomposerEEEvT1_T2_T3_T4_jPT5_SK_PNS1_23onesweep_lookback_stateET6_jjj,comdat
	.protected	_ZN7rocprim17ROCPRIM_304000_NS6detail25onesweep_iteration_kernelINS1_34wrapped_radix_sort_onesweep_configINS0_14default_configEdN2at4cuda3cub6detail10OpaqueTypeILi8EEEEELb1EPdSC_PSA_SD_mNS0_19identity_decomposerEEEvT1_T2_T3_T4_jPT5_SK_PNS1_23onesweep_lookback_stateET6_jjj ; -- Begin function _ZN7rocprim17ROCPRIM_304000_NS6detail25onesweep_iteration_kernelINS1_34wrapped_radix_sort_onesweep_configINS0_14default_configEdN2at4cuda3cub6detail10OpaqueTypeILi8EEEEELb1EPdSC_PSA_SD_mNS0_19identity_decomposerEEEvT1_T2_T3_T4_jPT5_SK_PNS1_23onesweep_lookback_stateET6_jjj
	.globl	_ZN7rocprim17ROCPRIM_304000_NS6detail25onesweep_iteration_kernelINS1_34wrapped_radix_sort_onesweep_configINS0_14default_configEdN2at4cuda3cub6detail10OpaqueTypeILi8EEEEELb1EPdSC_PSA_SD_mNS0_19identity_decomposerEEEvT1_T2_T3_T4_jPT5_SK_PNS1_23onesweep_lookback_stateET6_jjj
	.p2align	8
	.type	_ZN7rocprim17ROCPRIM_304000_NS6detail25onesweep_iteration_kernelINS1_34wrapped_radix_sort_onesweep_configINS0_14default_configEdN2at4cuda3cub6detail10OpaqueTypeILi8EEEEELb1EPdSC_PSA_SD_mNS0_19identity_decomposerEEEvT1_T2_T3_T4_jPT5_SK_PNS1_23onesweep_lookback_stateET6_jjj,@function
_ZN7rocprim17ROCPRIM_304000_NS6detail25onesweep_iteration_kernelINS1_34wrapped_radix_sort_onesweep_configINS0_14default_configEdN2at4cuda3cub6detail10OpaqueTypeILi8EEEEELb1EPdSC_PSA_SD_mNS0_19identity_decomposerEEEvT1_T2_T3_T4_jPT5_SK_PNS1_23onesweep_lookback_stateET6_jjj: ; @_ZN7rocprim17ROCPRIM_304000_NS6detail25onesweep_iteration_kernelINS1_34wrapped_radix_sort_onesweep_configINS0_14default_configEdN2at4cuda3cub6detail10OpaqueTypeILi8EEEEELb1EPdSC_PSA_SD_mNS0_19identity_decomposerEEEvT1_T2_T3_T4_jPT5_SK_PNS1_23onesweep_lookback_stateET6_jjj
; %bb.0:
	s_load_dwordx4 s[48:51], s[4:5], 0x44
	s_load_dwordx8 s[36:43], s[4:5], 0x0
	s_load_dwordx4 s[44:47], s[4:5], 0x28
	s_load_dwordx2 s[30:31], s[4:5], 0x38
	s_mul_i32 s34, s6, 0x1800
	s_waitcnt lgkmcnt(0)
	s_cmp_ge_u32 s6, s50
	v_mbcnt_lo_u32_b32 v1, -1, 0
	s_cbranch_scc0 .LBB150_86
; %bb.1:
	s_load_dword s0, s[4:5], 0x20
	s_mul_i32 s1, s50, 0xffffe800
	s_mov_b32 s35, 0
	s_lshl_b64 s[50:51], s[34:35], 3
	v_and_b32_e32 v8, 0x3ff, v0
	s_waitcnt lgkmcnt(0)
	s_add_i32 s35, s1, s0
	s_add_u32 s0, s36, s50
	v_mbcnt_hi_u32_b32 v21, -1, v1
	s_addc_u32 s1, s37, s51
	v_and_b32_e32 v2, 0x3c0, v8
	v_lshlrev_b32_e32 v9, 3, v21
	v_mul_u32_u24_e32 v2, 6, v2
	v_mov_b32_e32 v3, s1
	v_add_co_u32_e32 v4, vcc, s0, v9
	v_addc_co_u32_e32 v3, vcc, 0, v3, vcc
	v_lshlrev_b32_e32 v20, 3, v2
	v_add_co_u32_e32 v16, vcc, v4, v20
	v_addc_co_u32_e32 v17, vcc, 0, v3, vcc
	v_or_b32_e32 v18, v21, v2
	v_pk_mov_b32 v[6:7], -1, -1
	v_cmp_gt_u32_e32 vcc, s35, v18
	v_pk_mov_b32 v[2:3], v[6:7], v[6:7] op_sel:[0,1]
	s_and_saveexec_b64 s[0:1], vcc
	s_cbranch_execz .LBB150_3
; %bb.2:
	global_load_dwordx2 v[2:3], v[16:17], off
.LBB150_3:
	s_or_b64 exec, exec, s[0:1]
	v_add_u32_e32 v4, 64, v18
	v_cmp_gt_u32_e64 s[0:1], s35, v4
	s_and_saveexec_b64 s[2:3], s[0:1]
	s_cbranch_execz .LBB150_5
; %bb.4:
	global_load_dwordx2 v[6:7], v[16:17], off offset:512
.LBB150_5:
	s_or_b64 exec, exec, s[2:3]
	v_add_u32_e32 v4, 0x80, v18
	v_pk_mov_b32 v[14:15], -1, -1
	v_cmp_gt_u32_e64 s[2:3], s35, v4
	v_pk_mov_b32 v[10:11], v[14:15], v[14:15] op_sel:[0,1]
	s_and_saveexec_b64 s[8:9], s[2:3]
	s_cbranch_execz .LBB150_7
; %bb.6:
	global_load_dwordx2 v[10:11], v[16:17], off offset:1024
.LBB150_7:
	s_or_b64 exec, exec, s[8:9]
	v_add_u32_e32 v4, 0xc0, v18
	v_cmp_gt_u32_e64 s[26:27], s35, v4
	s_and_saveexec_b64 s[8:9], s[26:27]
	s_cbranch_execz .LBB150_9
; %bb.8:
	global_load_dwordx2 v[14:15], v[16:17], off offset:1536
.LBB150_9:
	s_or_b64 exec, exec, s[8:9]
	v_add_u32_e32 v4, 0x100, v18
	v_cmp_gt_u32_e64 s[8:9], s35, v4
	v_pk_mov_b32 v[4:5], -1, -1
	v_pk_mov_b32 v[12:13], v[4:5], v[4:5] op_sel:[0,1]
	s_and_saveexec_b64 s[10:11], s[8:9]
	s_cbranch_execz .LBB150_11
; %bb.10:
	global_load_dwordx2 v[12:13], v[16:17], off offset:2048
.LBB150_11:
	s_or_b64 exec, exec, s[10:11]
	v_add_u32_e32 v18, 0x140, v18
	v_cmp_gt_u32_e64 s[10:11], s35, v18
	s_and_saveexec_b64 s[12:13], s[10:11]
	s_cbranch_execz .LBB150_13
; %bb.12:
	global_load_dwordx2 v[4:5], v[16:17], off offset:2560
.LBB150_13:
	s_or_b64 exec, exec, s[12:13]
	s_load_dword s12, s[4:5], 0x5c
	s_load_dword s7, s[4:5], 0x50
	s_add_u32 s13, s4, 0x50
	s_addc_u32 s14, s5, 0
	v_mov_b32_e32 v16, 0
	s_waitcnt lgkmcnt(0)
	s_lshr_b32 s15, s12, 16
	s_cmp_lt_u32 s6, s7
	s_cselect_b32 s12, 12, 18
	s_add_u32 s12, s13, s12
	s_addc_u32 s13, s14, 0
	global_load_ushort v23, v16, s[12:13]
	v_bfrev_b32_e32 v25, -2
	s_waitcnt vmcnt(1)
	v_ashrrev_i32_e32 v17, 31, v3
	v_cmp_gt_i64_e64 s[12:13], 0, v[2:3]
	s_mov_b32 s16, 0
	v_cndmask_b32_e64 v19, v25, 0, s[12:13]
	v_not_b32_e32 v17, v17
	s_brev_b32 s17, 1
	v_xor_b32_e32 v3, v19, v3
	v_xor_b32_e32 v2, v17, v2
	v_mul_u32_u24_e32 v18, 5, v8
	v_cmp_ne_u64_e64 s[12:13], s[16:17], v[2:3]
	v_lshlrev_b32_e32 v22, 2, v18
	v_cndmask_b32_e64 v19, v25, v3, s[12:13]
	v_cndmask_b32_e64 v18, -1, v2, s[12:13]
	s_lshl_b32 s12, -1, s49
	v_bfe_u32 v24, v0, 10, 10
	v_bfe_u32 v26, v0, 20, 10
	v_lshrrev_b64 v[18:19], s48, v[18:19]
	s_not_b32 s33, s12
	v_mad_u32_u24 v19, v26, s15, v24
	v_and_b32_e32 v26, s33, v18
	v_and_b32_e32 v18, 1, v26
	v_add_co_u32_e64 v27, s[12:13], -1, v18
	v_lshlrev_b32_e32 v17, 30, v26
	v_addc_co_u32_e64 v28, s[12:13], 0, -1, s[12:13]
	v_cmp_ne_u32_e64 s[12:13], 0, v18
	v_cmp_gt_i64_e64 s[14:15], 0, v[16:17]
	v_not_b32_e32 v18, v17
	v_lshlrev_b32_e32 v17, 29, v26
	v_xor_b32_e32 v28, s13, v28
	v_xor_b32_e32 v27, s12, v27
	v_ashrrev_i32_e32 v18, 31, v18
	v_cmp_gt_i64_e64 s[12:13], 0, v[16:17]
	v_not_b32_e32 v29, v17
	v_lshlrev_b32_e32 v17, 28, v26
	v_and_b32_e32 v28, exec_hi, v28
	v_and_b32_e32 v27, exec_lo, v27
	v_xor_b32_e32 v30, s15, v18
	v_xor_b32_e32 v18, s14, v18
	v_ashrrev_i32_e32 v29, 31, v29
	v_cmp_gt_i64_e64 s[14:15], 0, v[16:17]
	v_not_b32_e32 v31, v17
	v_lshlrev_b32_e32 v17, 27, v26
	v_and_b32_e32 v28, v28, v30
	v_and_b32_e32 v18, v27, v18
	v_xor_b32_e32 v27, s13, v29
	v_xor_b32_e32 v29, s12, v29
	v_ashrrev_i32_e32 v30, 31, v31
	v_cmp_gt_i64_e64 s[12:13], 0, v[16:17]
	v_not_b32_e32 v31, v17
	v_lshlrev_b32_e32 v17, 26, v26
	v_and_b32_e32 v27, v28, v27
	v_and_b32_e32 v18, v18, v29
	v_xor_b32_e32 v28, s15, v30
	v_xor_b32_e32 v29, s14, v30
	v_ashrrev_i32_e32 v30, 31, v31
	v_cmp_gt_i64_e64 s[14:15], 0, v[16:17]
	v_not_b32_e32 v17, v17
	v_and_b32_e32 v27, v27, v28
	v_and_b32_e32 v18, v18, v29
	v_xor_b32_e32 v28, s13, v30
	v_xor_b32_e32 v29, s12, v30
	v_ashrrev_i32_e32 v17, 31, v17
	v_and_b32_e32 v27, v27, v28
	v_and_b32_e32 v18, v18, v29
	v_xor_b32_e32 v28, s15, v17
	v_xor_b32_e32 v17, s14, v17
	v_and_b32_e32 v27, v27, v28
	v_and_b32_e32 v28, v18, v17
	v_lshlrev_b32_e32 v17, 25, v26
	v_lshl_add_u32 v24, v26, 4, v26
	ds_write2_b32 v22, v16, v16 offset0:16 offset1:17
	ds_write2_b32 v22, v16, v16 offset0:18 offset1:19
	ds_write_b32 v22, v16 offset:80
	s_waitcnt lgkmcnt(0)
	s_barrier
	s_waitcnt lgkmcnt(0)
	; wave barrier
	s_waitcnt vmcnt(0)
	v_mad_u64_u32 v[18:19], s[12:13], v19, v23, v[8:9]
	v_cmp_gt_i64_e64 s[12:13], 0, v[16:17]
	v_not_b32_e32 v17, v17
	v_ashrrev_i32_e32 v17, 31, v17
	v_lshrrev_b32_e32 v30, 6, v18
	v_xor_b32_e32 v18, s13, v17
	v_xor_b32_e32 v17, s12, v17
	v_and_b32_e32 v23, v28, v17
	v_lshlrev_b32_e32 v17, 24, v26
	v_cmp_gt_i64_e64 s[12:13], 0, v[16:17]
	v_not_b32_e32 v17, v17
	v_ashrrev_i32_e32 v17, 31, v17
	v_and_b32_e32 v18, v27, v18
	v_xor_b32_e32 v19, s13, v17
	v_xor_b32_e32 v17, s12, v17
	v_and_b32_e32 v19, v18, v19
	v_and_b32_e32 v18, v23, v17
	v_mbcnt_lo_u32_b32 v17, v18, 0
	v_mbcnt_hi_u32_b32 v23, v19, v17
	v_cmp_eq_u32_e64 s[12:13], 0, v23
	v_cmp_ne_u64_e64 s[14:15], 0, v[18:19]
	v_add_lshl_u32 v24, v30, v24, 2
	s_and_b64 s[14:15], s[14:15], s[12:13]
	s_and_saveexec_b64 s[12:13], s[14:15]
	s_cbranch_execz .LBB150_15
; %bb.14:
	v_bcnt_u32_b32 v17, v18, 0
	v_bcnt_u32_b32 v17, v19, v17
	ds_write_b32 v24, v17 offset:64
.LBB150_15:
	s_or_b64 exec, exec, s[12:13]
	v_cmp_gt_i64_e64 s[12:13], 0, v[6:7]
	v_ashrrev_i32_e32 v18, 31, v7
	v_cndmask_b32_e64 v17, v25, 0, s[12:13]
	v_not_b32_e32 v18, v18
	v_xor_b32_e32 v7, v17, v7
	v_xor_b32_e32 v6, v18, v6
	v_cmp_ne_u64_e64 s[12:13], s[16:17], v[6:7]
	v_cndmask_b32_e64 v19, v25, v7, s[12:13]
	v_cndmask_b32_e64 v18, -1, v6, s[12:13]
	v_lshrrev_b64 v[18:19], s48, v[18:19]
	v_and_b32_e32 v18, s33, v18
	v_lshl_add_u32 v17, v18, 4, v18
	v_add_lshl_u32 v26, v30, v17, 2
	v_and_b32_e32 v17, 1, v18
	v_add_co_u32_e64 v19, s[12:13], -1, v17
	v_addc_co_u32_e64 v27, s[12:13], 0, -1, s[12:13]
	v_cmp_ne_u32_e64 s[12:13], 0, v17
	v_xor_b32_e32 v17, s13, v27
	v_and_b32_e32 v27, exec_hi, v17
	v_lshlrev_b32_e32 v17, 30, v18
	v_xor_b32_e32 v19, s12, v19
	v_cmp_gt_i64_e64 s[12:13], 0, v[16:17]
	v_not_b32_e32 v17, v17
	v_ashrrev_i32_e32 v17, 31, v17
	v_and_b32_e32 v19, exec_lo, v19
	v_xor_b32_e32 v28, s13, v17
	v_xor_b32_e32 v17, s12, v17
	v_and_b32_e32 v19, v19, v17
	v_lshlrev_b32_e32 v17, 29, v18
	v_cmp_gt_i64_e64 s[12:13], 0, v[16:17]
	v_not_b32_e32 v17, v17
	v_ashrrev_i32_e32 v17, 31, v17
	v_and_b32_e32 v27, v27, v28
	v_xor_b32_e32 v28, s13, v17
	v_xor_b32_e32 v17, s12, v17
	v_and_b32_e32 v19, v19, v17
	v_lshlrev_b32_e32 v17, 28, v18
	v_cmp_gt_i64_e64 s[12:13], 0, v[16:17]
	v_not_b32_e32 v17, v17
	v_ashrrev_i32_e32 v17, 31, v17
	v_and_b32_e32 v27, v27, v28
	v_xor_b32_e32 v28, s13, v17
	v_xor_b32_e32 v17, s12, v17
	v_and_b32_e32 v19, v19, v17
	v_lshlrev_b32_e32 v17, 27, v18
	v_cmp_gt_i64_e64 s[12:13], 0, v[16:17]
	v_not_b32_e32 v17, v17
	v_ashrrev_i32_e32 v17, 31, v17
	v_and_b32_e32 v27, v27, v28
	v_xor_b32_e32 v28, s13, v17
	v_xor_b32_e32 v17, s12, v17
	v_and_b32_e32 v19, v19, v17
	v_lshlrev_b32_e32 v17, 26, v18
	v_cmp_gt_i64_e64 s[12:13], 0, v[16:17]
	v_not_b32_e32 v17, v17
	v_ashrrev_i32_e32 v17, 31, v17
	v_and_b32_e32 v27, v27, v28
	v_xor_b32_e32 v28, s13, v17
	v_xor_b32_e32 v17, s12, v17
	v_and_b32_e32 v19, v19, v17
	v_lshlrev_b32_e32 v17, 25, v18
	v_cmp_gt_i64_e64 s[12:13], 0, v[16:17]
	v_not_b32_e32 v17, v17
	v_ashrrev_i32_e32 v17, 31, v17
	v_and_b32_e32 v27, v27, v28
	v_xor_b32_e32 v28, s13, v17
	v_xor_b32_e32 v17, s12, v17
	v_and_b32_e32 v19, v19, v17
	v_lshlrev_b32_e32 v17, 24, v18
	v_cmp_gt_i64_e64 s[12:13], 0, v[16:17]
	v_not_b32_e32 v16, v17
	v_ashrrev_i32_e32 v16, 31, v16
	v_xor_b32_e32 v17, s13, v16
	v_xor_b32_e32 v16, s12, v16
	; wave barrier
	ds_read_b32 v25, v26 offset:64
	v_and_b32_e32 v27, v27, v28
	v_and_b32_e32 v16, v19, v16
	;; [unrolled: 1-line block ×3, first 2 shown]
	v_mbcnt_lo_u32_b32 v18, v16, 0
	v_mbcnt_hi_u32_b32 v27, v17, v18
	v_cmp_eq_u32_e64 s[12:13], 0, v27
	v_cmp_ne_u64_e64 s[14:15], 0, v[16:17]
	s_and_b64 s[14:15], s[14:15], s[12:13]
	; wave barrier
	s_and_saveexec_b64 s[12:13], s[14:15]
	s_cbranch_execz .LBB150_17
; %bb.16:
	v_bcnt_u32_b32 v16, v16, 0
	v_bcnt_u32_b32 v16, v17, v16
	s_waitcnt lgkmcnt(0)
	v_add_u32_e32 v16, v25, v16
	ds_write_b32 v26, v16 offset:64
.LBB150_17:
	s_or_b64 exec, exec, s[12:13]
	v_bfrev_b32_e32 v32, -2
	v_cmp_gt_i64_e64 s[12:13], 0, v[10:11]
	v_ashrrev_i32_e32 v18, 31, v11
	v_cndmask_b32_e64 v17, v32, 0, s[12:13]
	v_not_b32_e32 v18, v18
	v_xor_b32_e32 v11, v17, v11
	v_xor_b32_e32 v10, v18, v10
	v_cmp_ne_u64_e64 s[12:13], s[16:17], v[10:11]
	v_cndmask_b32_e64 v19, v32, v11, s[12:13]
	v_cndmask_b32_e64 v18, -1, v10, s[12:13]
	v_lshrrev_b64 v[18:19], s48, v[18:19]
	v_and_b32_e32 v18, s33, v18
	v_lshl_add_u32 v17, v18, 4, v18
	v_add_lshl_u32 v29, v30, v17, 2
	v_and_b32_e32 v17, 1, v18
	v_add_co_u32_e64 v19, s[12:13], -1, v17
	v_addc_co_u32_e64 v31, s[12:13], 0, -1, s[12:13]
	v_cmp_ne_u32_e64 s[12:13], 0, v17
	v_xor_b32_e32 v17, s13, v31
	v_mov_b32_e32 v16, 0
	v_and_b32_e32 v31, exec_hi, v17
	v_lshlrev_b32_e32 v17, 30, v18
	v_xor_b32_e32 v19, s12, v19
	v_cmp_gt_i64_e64 s[12:13], 0, v[16:17]
	v_not_b32_e32 v17, v17
	v_ashrrev_i32_e32 v17, 31, v17
	v_and_b32_e32 v19, exec_lo, v19
	v_xor_b32_e32 v33, s13, v17
	v_xor_b32_e32 v17, s12, v17
	v_and_b32_e32 v19, v19, v17
	v_lshlrev_b32_e32 v17, 29, v18
	v_cmp_gt_i64_e64 s[12:13], 0, v[16:17]
	v_not_b32_e32 v17, v17
	v_ashrrev_i32_e32 v17, 31, v17
	v_and_b32_e32 v31, v31, v33
	v_xor_b32_e32 v33, s13, v17
	v_xor_b32_e32 v17, s12, v17
	v_and_b32_e32 v19, v19, v17
	v_lshlrev_b32_e32 v17, 28, v18
	v_cmp_gt_i64_e64 s[12:13], 0, v[16:17]
	v_not_b32_e32 v17, v17
	v_ashrrev_i32_e32 v17, 31, v17
	v_and_b32_e32 v31, v31, v33
	;; [unrolled: 8-line block ×5, first 2 shown]
	v_xor_b32_e32 v33, s13, v17
	v_xor_b32_e32 v17, s12, v17
	v_and_b32_e32 v31, v31, v33
	v_and_b32_e32 v33, v19, v17
	v_lshlrev_b32_e32 v17, 24, v18
	v_cmp_gt_i64_e64 s[12:13], 0, v[16:17]
	v_not_b32_e32 v17, v17
	v_ashrrev_i32_e32 v17, 31, v17
	v_xor_b32_e32 v18, s13, v17
	v_xor_b32_e32 v17, s12, v17
	; wave barrier
	ds_read_b32 v28, v29 offset:64
	v_and_b32_e32 v19, v31, v18
	v_and_b32_e32 v18, v33, v17
	v_mbcnt_lo_u32_b32 v17, v18, 0
	v_mbcnt_hi_u32_b32 v31, v19, v17
	v_cmp_eq_u32_e64 s[12:13], 0, v31
	v_cmp_ne_u64_e64 s[14:15], 0, v[18:19]
	s_and_b64 s[14:15], s[14:15], s[12:13]
	; wave barrier
	s_and_saveexec_b64 s[12:13], s[14:15]
	s_cbranch_execz .LBB150_19
; %bb.18:
	v_bcnt_u32_b32 v17, v18, 0
	v_bcnt_u32_b32 v17, v19, v17
	s_waitcnt lgkmcnt(0)
	v_add_u32_e32 v17, v28, v17
	ds_write_b32 v29, v17 offset:64
.LBB150_19:
	s_or_b64 exec, exec, s[12:13]
	v_cmp_gt_i64_e64 s[12:13], 0, v[14:15]
	v_ashrrev_i32_e32 v18, 31, v15
	v_cndmask_b32_e64 v17, v32, 0, s[12:13]
	v_not_b32_e32 v18, v18
	v_xor_b32_e32 v15, v17, v15
	v_xor_b32_e32 v14, v18, v14
	v_cmp_ne_u64_e64 s[12:13], s[16:17], v[14:15]
	v_cndmask_b32_e64 v19, v32, v15, s[12:13]
	v_cndmask_b32_e64 v18, -1, v14, s[12:13]
	v_lshrrev_b64 v[18:19], s48, v[18:19]
	v_and_b32_e32 v18, s33, v18
	v_lshl_add_u32 v17, v18, 4, v18
	v_add_lshl_u32 v33, v30, v17, 2
	v_and_b32_e32 v17, 1, v18
	v_add_co_u32_e64 v19, s[12:13], -1, v17
	v_addc_co_u32_e64 v34, s[12:13], 0, -1, s[12:13]
	v_cmp_ne_u32_e64 s[12:13], 0, v17
	v_xor_b32_e32 v17, s13, v34
	v_and_b32_e32 v34, exec_hi, v17
	v_lshlrev_b32_e32 v17, 30, v18
	v_xor_b32_e32 v19, s12, v19
	v_cmp_gt_i64_e64 s[12:13], 0, v[16:17]
	v_not_b32_e32 v17, v17
	v_ashrrev_i32_e32 v17, 31, v17
	v_and_b32_e32 v19, exec_lo, v19
	v_xor_b32_e32 v35, s13, v17
	v_xor_b32_e32 v17, s12, v17
	v_and_b32_e32 v19, v19, v17
	v_lshlrev_b32_e32 v17, 29, v18
	v_cmp_gt_i64_e64 s[12:13], 0, v[16:17]
	v_not_b32_e32 v17, v17
	v_ashrrev_i32_e32 v17, 31, v17
	v_and_b32_e32 v34, v34, v35
	v_xor_b32_e32 v35, s13, v17
	v_xor_b32_e32 v17, s12, v17
	v_and_b32_e32 v19, v19, v17
	v_lshlrev_b32_e32 v17, 28, v18
	v_cmp_gt_i64_e64 s[12:13], 0, v[16:17]
	v_not_b32_e32 v17, v17
	v_ashrrev_i32_e32 v17, 31, v17
	v_and_b32_e32 v34, v34, v35
	;; [unrolled: 8-line block ×5, first 2 shown]
	v_xor_b32_e32 v35, s13, v17
	v_xor_b32_e32 v17, s12, v17
	v_and_b32_e32 v19, v19, v17
	v_lshlrev_b32_e32 v17, 24, v18
	v_cmp_gt_i64_e64 s[12:13], 0, v[16:17]
	v_not_b32_e32 v16, v17
	v_ashrrev_i32_e32 v16, 31, v16
	v_xor_b32_e32 v17, s13, v16
	v_xor_b32_e32 v16, s12, v16
	; wave barrier
	ds_read_b32 v32, v33 offset:64
	v_and_b32_e32 v34, v34, v35
	v_and_b32_e32 v16, v19, v16
	;; [unrolled: 1-line block ×3, first 2 shown]
	v_mbcnt_lo_u32_b32 v18, v16, 0
	v_mbcnt_hi_u32_b32 v34, v17, v18
	v_cmp_eq_u32_e64 s[12:13], 0, v34
	v_cmp_ne_u64_e64 s[14:15], 0, v[16:17]
	s_and_b64 s[14:15], s[14:15], s[12:13]
	; wave barrier
	s_and_saveexec_b64 s[12:13], s[14:15]
	s_cbranch_execz .LBB150_21
; %bb.20:
	v_bcnt_u32_b32 v16, v16, 0
	v_bcnt_u32_b32 v16, v17, v16
	s_waitcnt lgkmcnt(0)
	v_add_u32_e32 v16, v32, v16
	ds_write_b32 v33, v16 offset:64
.LBB150_21:
	s_or_b64 exec, exec, s[12:13]
	v_bfrev_b32_e32 v39, -2
	v_cmp_gt_i64_e64 s[12:13], 0, v[12:13]
	v_ashrrev_i32_e32 v17, 31, v13
	v_cndmask_b32_e64 v16, v39, 0, s[12:13]
	v_not_b32_e32 v17, v17
	v_xor_b32_e32 v13, v16, v13
	v_xor_b32_e32 v12, v17, v12
	v_cmp_ne_u64_e64 s[12:13], s[16:17], v[12:13]
	v_cndmask_b32_e64 v17, v39, v13, s[12:13]
	v_cndmask_b32_e64 v16, -1, v12, s[12:13]
	v_lshrrev_b64 v[16:17], s48, v[16:17]
	v_and_b32_e32 v16, s33, v16
	v_lshl_add_u32 v17, v16, 4, v16
	v_add_lshl_u32 v36, v30, v17, 2
	v_and_b32_e32 v17, 1, v16
	v_add_co_u32_e64 v19, s[12:13], -1, v17
	v_addc_co_u32_e64 v37, s[12:13], 0, -1, s[12:13]
	v_cmp_ne_u32_e64 s[12:13], 0, v17
	v_xor_b32_e32 v19, s12, v19
	v_mov_b32_e32 v18, 0
	v_xor_b32_e32 v17, s13, v37
	v_and_b32_e32 v37, exec_lo, v19
	v_lshlrev_b32_e32 v19, 30, v16
	v_cmp_gt_i64_e64 s[12:13], 0, v[18:19]
	v_not_b32_e32 v19, v19
	v_ashrrev_i32_e32 v19, 31, v19
	v_xor_b32_e32 v38, s13, v19
	v_xor_b32_e32 v19, s12, v19
	v_and_b32_e32 v37, v37, v19
	v_lshlrev_b32_e32 v19, 29, v16
	v_cmp_gt_i64_e64 s[12:13], 0, v[18:19]
	v_not_b32_e32 v19, v19
	v_and_b32_e32 v17, exec_hi, v17
	v_ashrrev_i32_e32 v19, 31, v19
	v_and_b32_e32 v17, v17, v38
	v_xor_b32_e32 v38, s13, v19
	v_xor_b32_e32 v19, s12, v19
	v_and_b32_e32 v37, v37, v19
	v_lshlrev_b32_e32 v19, 28, v16
	v_cmp_gt_i64_e64 s[12:13], 0, v[18:19]
	v_not_b32_e32 v19, v19
	v_ashrrev_i32_e32 v19, 31, v19
	v_and_b32_e32 v17, v17, v38
	v_xor_b32_e32 v38, s13, v19
	v_xor_b32_e32 v19, s12, v19
	v_and_b32_e32 v37, v37, v19
	v_lshlrev_b32_e32 v19, 27, v16
	v_cmp_gt_i64_e64 s[12:13], 0, v[18:19]
	v_not_b32_e32 v19, v19
	;; [unrolled: 8-line block ×4, first 2 shown]
	v_ashrrev_i32_e32 v19, 31, v19
	v_and_b32_e32 v17, v17, v38
	v_xor_b32_e32 v38, s13, v19
	v_xor_b32_e32 v19, s12, v19
	v_and_b32_e32 v37, v37, v19
	v_lshlrev_b32_e32 v19, 24, v16
	v_not_b32_e32 v16, v19
	v_cmp_gt_i64_e64 s[12:13], 0, v[18:19]
	v_ashrrev_i32_e32 v16, 31, v16
	v_xor_b32_e32 v19, s13, v16
	v_xor_b32_e32 v16, s12, v16
	; wave barrier
	ds_read_b32 v35, v36 offset:64
	v_and_b32_e32 v17, v17, v38
	v_and_b32_e32 v16, v37, v16
	v_and_b32_e32 v17, v17, v19
	v_mbcnt_lo_u32_b32 v19, v16, 0
	v_mbcnt_hi_u32_b32 v37, v17, v19
	v_cmp_eq_u32_e64 s[12:13], 0, v37
	v_cmp_ne_u64_e64 s[14:15], 0, v[16:17]
	s_and_b64 s[14:15], s[14:15], s[12:13]
	; wave barrier
	s_and_saveexec_b64 s[12:13], s[14:15]
	s_cbranch_execz .LBB150_23
; %bb.22:
	v_bcnt_u32_b32 v16, v16, 0
	v_bcnt_u32_b32 v16, v17, v16
	s_waitcnt lgkmcnt(0)
	v_add_u32_e32 v16, v35, v16
	ds_write_b32 v36, v16 offset:64
.LBB150_23:
	s_or_b64 exec, exec, s[12:13]
	v_cmp_gt_i64_e64 s[12:13], 0, v[4:5]
	v_ashrrev_i32_e32 v17, 31, v5
	v_cndmask_b32_e64 v16, v39, 0, s[12:13]
	v_not_b32_e32 v19, v17
	v_xor_b32_e32 v17, v16, v5
	v_xor_b32_e32 v16, v19, v4
	v_cmp_ne_u64_e64 s[12:13], s[16:17], v[16:17]
	v_cndmask_b32_e64 v5, v39, v17, s[12:13]
	v_cndmask_b32_e64 v4, -1, v16, s[12:13]
	v_lshrrev_b64 v[4:5], s48, v[4:5]
	v_and_b32_e32 v4, s33, v4
	v_lshl_add_u32 v5, v4, 4, v4
	v_add_lshl_u32 v39, v5, v30, 2
	v_and_b32_e32 v5, 1, v4
	v_add_co_u32_e64 v19, s[12:13], -1, v5
	v_addc_co_u32_e64 v40, s[12:13], 0, -1, s[12:13]
	v_cmp_ne_u32_e64 s[12:13], 0, v5
	v_xor_b32_e32 v19, s12, v19
	v_xor_b32_e32 v5, s13, v40
	v_and_b32_e32 v40, exec_lo, v19
	v_lshlrev_b32_e32 v19, 30, v4
	v_cmp_gt_i64_e64 s[12:13], 0, v[18:19]
	v_not_b32_e32 v19, v19
	v_ashrrev_i32_e32 v19, 31, v19
	v_xor_b32_e32 v41, s13, v19
	v_xor_b32_e32 v19, s12, v19
	v_and_b32_e32 v40, v40, v19
	v_lshlrev_b32_e32 v19, 29, v4
	v_cmp_gt_i64_e64 s[12:13], 0, v[18:19]
	v_not_b32_e32 v19, v19
	v_and_b32_e32 v5, exec_hi, v5
	v_ashrrev_i32_e32 v19, 31, v19
	v_and_b32_e32 v5, v5, v41
	v_xor_b32_e32 v41, s13, v19
	v_xor_b32_e32 v19, s12, v19
	v_and_b32_e32 v40, v40, v19
	v_lshlrev_b32_e32 v19, 28, v4
	v_cmp_gt_i64_e64 s[12:13], 0, v[18:19]
	v_not_b32_e32 v19, v19
	v_ashrrev_i32_e32 v19, 31, v19
	v_and_b32_e32 v5, v5, v41
	v_xor_b32_e32 v41, s13, v19
	v_xor_b32_e32 v19, s12, v19
	v_and_b32_e32 v40, v40, v19
	v_lshlrev_b32_e32 v19, 27, v4
	v_cmp_gt_i64_e64 s[12:13], 0, v[18:19]
	v_not_b32_e32 v19, v19
	;; [unrolled: 8-line block ×4, first 2 shown]
	v_ashrrev_i32_e32 v19, 31, v19
	v_and_b32_e32 v5, v5, v41
	v_xor_b32_e32 v41, s13, v19
	v_xor_b32_e32 v19, s12, v19
	v_and_b32_e32 v40, v40, v19
	v_lshlrev_b32_e32 v19, 24, v4
	v_not_b32_e32 v4, v19
	v_cmp_gt_i64_e64 s[12:13], 0, v[18:19]
	v_ashrrev_i32_e32 v4, 31, v4
	v_xor_b32_e32 v18, s13, v4
	v_xor_b32_e32 v4, s12, v4
	; wave barrier
	ds_read_b32 v30, v39 offset:64
	v_and_b32_e32 v5, v5, v41
	v_and_b32_e32 v4, v40, v4
	;; [unrolled: 1-line block ×3, first 2 shown]
	v_mbcnt_lo_u32_b32 v18, v4, 0
	v_mbcnt_hi_u32_b32 v40, v5, v18
	v_cmp_eq_u32_e64 s[12:13], 0, v40
	v_cmp_ne_u64_e64 s[14:15], 0, v[4:5]
	v_add_u32_e32 v38, 64, v22
	s_and_b64 s[14:15], s[14:15], s[12:13]
	; wave barrier
	s_and_saveexec_b64 s[12:13], s[14:15]
	s_cbranch_execz .LBB150_25
; %bb.24:
	v_bcnt_u32_b32 v4, v4, 0
	v_bcnt_u32_b32 v4, v5, v4
	s_waitcnt lgkmcnt(0)
	v_add_u32_e32 v4, v30, v4
	ds_write_b32 v39, v4 offset:64
.LBB150_25:
	s_or_b64 exec, exec, s[12:13]
	; wave barrier
	s_waitcnt lgkmcnt(0)
	s_barrier
	ds_read2_b32 v[18:19], v22 offset0:16 offset1:17
	ds_read2_b32 v[4:5], v38 offset0:2 offset1:3
	ds_read_b32 v41, v38 offset:16
	v_cmp_lt_u32_e64 s[20:21], 31, v21
	s_waitcnt lgkmcnt(1)
	v_add3_u32 v42, v19, v18, v4
	s_waitcnt lgkmcnt(0)
	v_add3_u32 v41, v42, v5, v41
	v_and_b32_e32 v42, 15, v21
	v_cmp_eq_u32_e64 s[12:13], 0, v42
	v_mov_b32_dpp v43, v41 row_shr:1 row_mask:0xf bank_mask:0xf
	v_cndmask_b32_e64 v43, v43, 0, s[12:13]
	v_add_u32_e32 v41, v43, v41
	v_cmp_lt_u32_e64 s[14:15], 1, v42
	v_cmp_lt_u32_e64 s[16:17], 3, v42
	v_mov_b32_dpp v43, v41 row_shr:2 row_mask:0xf bank_mask:0xf
	v_cndmask_b32_e64 v43, 0, v43, s[14:15]
	v_add_u32_e32 v41, v41, v43
	v_cmp_lt_u32_e64 s[18:19], 7, v42
	s_nop 0
	v_mov_b32_dpp v43, v41 row_shr:4 row_mask:0xf bank_mask:0xf
	v_cndmask_b32_e64 v43, 0, v43, s[16:17]
	v_add_u32_e32 v41, v41, v43
	s_nop 1
	v_mov_b32_dpp v43, v41 row_shr:8 row_mask:0xf bank_mask:0xf
	v_cndmask_b32_e64 v42, 0, v43, s[18:19]
	v_add_u32_e32 v41, v41, v42
	v_bfe_i32 v43, v21, 4, 1
	s_nop 0
	v_mov_b32_dpp v42, v41 row_bcast:15 row_mask:0xf bank_mask:0xf
	v_and_b32_e32 v42, v43, v42
	v_add_u32_e32 v41, v41, v42
	v_and_b32_e32 v43, 63, v8
	s_nop 0
	v_mov_b32_dpp v42, v41 row_bcast:31 row_mask:0xf bank_mask:0xf
	v_cndmask_b32_e64 v42, 0, v42, s[20:21]
	v_add_u32_e32 v41, v41, v42
	v_lshrrev_b32_e32 v42, 6, v8
	v_cmp_eq_u32_e64 s[20:21], 63, v43
	s_and_saveexec_b64 s[22:23], s[20:21]
	s_cbranch_execz .LBB150_27
; %bb.26:
	v_lshlrev_b32_e32 v43, 2, v42
	ds_write_b32 v43, v41
.LBB150_27:
	s_or_b64 exec, exec, s[22:23]
	v_cmp_gt_u32_e64 s[20:21], 16, v8
	s_waitcnt lgkmcnt(0)
	s_barrier
	s_and_saveexec_b64 s[22:23], s[20:21]
	s_cbranch_execz .LBB150_29
; %bb.28:
	v_lshlrev_b32_e32 v43, 2, v8
	ds_read_b32 v44, v43
	s_waitcnt lgkmcnt(0)
	s_nop 0
	v_mov_b32_dpp v45, v44 row_shr:1 row_mask:0xf bank_mask:0xf
	v_cndmask_b32_e64 v45, v45, 0, s[12:13]
	v_add_u32_e32 v44, v45, v44
	s_nop 1
	v_mov_b32_dpp v45, v44 row_shr:2 row_mask:0xf bank_mask:0xf
	v_cndmask_b32_e64 v45, 0, v45, s[14:15]
	v_add_u32_e32 v44, v44, v45
	;; [unrolled: 4-line block ×4, first 2 shown]
	ds_write_b32 v43, v44
.LBB150_29:
	s_or_b64 exec, exec, s[22:23]
	v_cmp_lt_u32_e64 s[12:13], 63, v8
	v_mov_b32_e32 v43, 0
	s_waitcnt lgkmcnt(0)
	s_barrier
	s_and_saveexec_b64 s[14:15], s[12:13]
	s_cbranch_execz .LBB150_31
; %bb.30:
	v_lshl_add_u32 v42, v42, 2, -4
	ds_read_b32 v43, v42
.LBB150_31:
	s_or_b64 exec, exec, s[14:15]
	v_add_u32_e32 v42, -1, v21
	v_and_b32_e32 v44, 64, v21
	v_cmp_lt_i32_e64 s[12:13], v42, v44
	v_cndmask_b32_e64 v42, v42, v21, s[12:13]
	s_waitcnt lgkmcnt(0)
	v_add_u32_e32 v41, v43, v41
	v_lshlrev_b32_e32 v42, 2, v42
	ds_bpermute_b32 v41, v42, v41
	v_cmp_eq_u32_e64 s[12:13], 0, v21
	s_waitcnt lgkmcnt(0)
	v_cndmask_b32_e64 v21, v41, v43, s[12:13]
	v_cmp_ne_u32_e64 s[12:13], 0, v8
	v_cndmask_b32_e64 v21, 0, v21, s[12:13]
	v_add_u32_e32 v18, v21, v18
	v_add_u32_e32 v19, v18, v19
	;; [unrolled: 1-line block ×4, first 2 shown]
	ds_write2_b32 v22, v21, v18 offset0:16 offset1:17
	ds_write2_b32 v38, v19, v4 offset0:2 offset1:3
	ds_write_b32 v38, v5 offset:16
	s_waitcnt lgkmcnt(0)
	s_barrier
	ds_read_b32 v22, v24 offset:64
	ds_read_b32 v38, v26 offset:64
	;; [unrolled: 1-line block ×6, first 2 shown]
	s_movk_i32 s12, 0x100
	v_cmp_gt_u32_e64 s[12:13], s12, v8
	v_pk_mov_b32 v[4:5], 0, 0
                                        ; implicit-def: $vgpr21
	s_and_saveexec_b64 s[16:17], s[12:13]
	s_cbranch_execz .LBB150_35
; %bb.32:
	v_mul_u32_u24_e32 v4, 17, v8
	v_lshlrev_b32_e32 v21, 2, v4
	ds_read_b32 v4, v21 offset:64
	s_movk_i32 s14, 0xff
	v_cmp_ne_u32_e64 s[14:15], s14, v8
	v_mov_b32_e32 v5, 0x1800
	s_and_saveexec_b64 s[18:19], s[14:15]
	s_cbranch_execz .LBB150_34
; %bb.33:
	ds_read_b32 v5, v21 offset:132
.LBB150_34:
	s_or_b64 exec, exec, s[18:19]
	s_waitcnt lgkmcnt(0)
	v_sub_u32_e32 v21, v5, v4
	v_mov_b32_e32 v5, 0
.LBB150_35:
	s_or_b64 exec, exec, s[16:17]
	v_add_u32_e32 v29, v40, v30
	v_add_u32_e32 v30, v37, v35
	;; [unrolled: 1-line block ×5, first 2 shown]
	s_waitcnt lgkmcnt(5)
	v_add_lshl_u32 v22, v22, v23, 3
	s_waitcnt lgkmcnt(4)
	v_add_lshl_u32 v23, v25, v38, 3
	;; [unrolled: 2-line block ×6, first 2 shown]
	s_barrier
	ds_write_b64 v22, v[2:3] offset:2048
	ds_write_b64 v23, v[6:7] offset:2048
	;; [unrolled: 1-line block ×6, first 2 shown]
	s_waitcnt lgkmcnt(0)
	s_barrier
	s_and_saveexec_b64 s[16:17], s[12:13]
	s_cbranch_execz .LBB150_45
; %bb.36:
	v_lshl_or_b32 v2, s6, 8, v8
	v_mov_b32_e32 v3, 0
	v_lshlrev_b64 v[6:7], 2, v[2:3]
	v_mov_b32_e32 v12, s31
	v_add_co_u32_e64 v6, s[14:15], s30, v6
	v_addc_co_u32_e64 v7, s[14:15], v12, v7, s[14:15]
	v_or_b32_e32 v2, 2.0, v21
	s_mov_b64 s[18:19], 0
	s_brev_b32 s24, 1
	s_mov_b32 s25, s6
	v_mov_b32_e32 v13, 0
	global_store_dword v[6:7], v2, off
                                        ; implicit-def: $sgpr14_sgpr15
	s_branch .LBB150_38
.LBB150_37:                             ;   in Loop: Header=BB150_38 Depth=1
	s_or_b64 exec, exec, s[20:21]
	v_and_b32_e32 v10, 0x3fffffff, v14
	v_add_u32_e32 v13, v10, v13
	v_cmp_eq_u32_e64 s[14:15], s24, v2
	s_and_b64 s[20:21], exec, s[14:15]
	s_or_b64 s[18:19], s[20:21], s[18:19]
	s_andn2_b64 exec, exec, s[18:19]
	s_cbranch_execz .LBB150_44
.LBB150_38:                             ; =>This Loop Header: Depth=1
                                        ;     Child Loop BB150_41 Depth 2
	s_or_b64 s[14:15], s[14:15], exec
	s_cmp_eq_u32 s25, 0
	s_cbranch_scc1 .LBB150_43
; %bb.39:                               ;   in Loop: Header=BB150_38 Depth=1
	s_add_i32 s25, s25, -1
	v_lshl_or_b32 v2, s25, 8, v8
	v_lshlrev_b64 v[10:11], 2, v[2:3]
	v_add_co_u32_e64 v10, s[14:15], s30, v10
	v_addc_co_u32_e64 v11, s[14:15], v12, v11, s[14:15]
	global_load_dword v14, v[10:11], off glc
	s_waitcnt vmcnt(0)
	v_and_b32_e32 v2, -2.0, v14
	v_cmp_eq_u32_e64 s[14:15], 0, v2
	s_and_saveexec_b64 s[20:21], s[14:15]
	s_cbranch_execz .LBB150_37
; %bb.40:                               ;   in Loop: Header=BB150_38 Depth=1
	s_mov_b64 s[22:23], 0
.LBB150_41:                             ;   Parent Loop BB150_38 Depth=1
                                        ; =>  This Inner Loop Header: Depth=2
	global_load_dword v14, v[10:11], off glc
	s_waitcnt vmcnt(0)
	v_and_b32_e32 v2, -2.0, v14
	v_cmp_ne_u32_e64 s[14:15], 0, v2
	s_or_b64 s[22:23], s[14:15], s[22:23]
	s_andn2_b64 exec, exec, s[22:23]
	s_cbranch_execnz .LBB150_41
; %bb.42:                               ;   in Loop: Header=BB150_38 Depth=1
	s_or_b64 exec, exec, s[22:23]
	s_branch .LBB150_37
.LBB150_43:                             ;   in Loop: Header=BB150_38 Depth=1
                                        ; implicit-def: $sgpr25
	s_and_b64 s[20:21], exec, s[14:15]
	s_or_b64 s[18:19], s[20:21], s[18:19]
	s_andn2_b64 exec, exec, s[18:19]
	s_cbranch_execnz .LBB150_38
.LBB150_44:
	s_or_b64 exec, exec, s[18:19]
	v_add_u32_e32 v2, v13, v21
	v_or_b32_e32 v2, 0x80000000, v2
	global_store_dword v[6:7], v2, off
	v_lshlrev_b32_e32 v6, 3, v8
	global_load_dwordx2 v[2:3], v6, s[44:45]
	v_sub_co_u32_e64 v7, s[14:15], v13, v4
	v_subb_co_u32_e64 v10, s[14:15], 0, v5, s[14:15]
	s_waitcnt vmcnt(0)
	v_add_co_u32_e64 v2, s[14:15], v7, v2
	v_addc_co_u32_e64 v3, s[14:15], v10, v3, s[14:15]
	ds_write_b64 v6, v[2:3]
.LBB150_45:
	s_or_b64 exec, exec, s[16:17]
	v_cmp_gt_u32_e64 s[14:15], s35, v8
	v_lshlrev_b32_e32 v28, 3, v8
	s_waitcnt lgkmcnt(0)
	s_barrier
	s_and_saveexec_b64 s[18:19], s[14:15]
	s_cbranch_execz .LBB150_47
; %bb.46:
	ds_read_b64 v[2:3], v28 offset:2048
	s_mov_b32 s16, 0
	s_brev_b32 s17, 1
	v_bfrev_b32_e32 v10, -2
	s_waitcnt lgkmcnt(0)
	v_cmp_ne_u64_e64 s[16:17], s[16:17], v[2:3]
	v_cndmask_b32_e64 v7, v10, v3, s[16:17]
	v_cndmask_b32_e64 v6, -1, v2, s[16:17]
	v_lshrrev_b64 v[6:7], s48, v[6:7]
	v_and_b32_e32 v6, s33, v6
	v_lshlrev_b32_e32 v6, 3, v6
	ds_read_b64 v[6:7], v6
	v_cmp_gt_i64_e64 s[16:17], 0, v[2:3]
	v_cndmask_b32_e64 v10, v10, 0, s[16:17]
	v_ashrrev_i32_e32 v11, 31, v3
	v_xor_b32_e32 v3, v10, v3
	s_waitcnt lgkmcnt(0)
	v_lshlrev_b64 v[6:7], 3, v[6:7]
	v_mov_b32_e32 v10, s39
	v_add_co_u32_e64 v6, s[16:17], s38, v6
	v_addc_co_u32_e64 v7, s[16:17], v10, v7, s[16:17]
	v_not_b32_e32 v11, v11
	v_add_co_u32_e64 v6, s[16:17], v6, v28
	v_xor_b32_e32 v2, v11, v2
	v_addc_co_u32_e64 v7, s[16:17], 0, v7, s[16:17]
	global_store_dwordx2 v[6:7], v[2:3], off
.LBB150_47:
	s_or_b64 exec, exec, s[18:19]
	v_or_b32_e32 v2, 0x400, v8
	v_cmp_gt_u32_e64 s[16:17], s35, v2
	v_lshlrev_b32_e32 v29, 3, v2
	s_and_saveexec_b64 s[20:21], s[16:17]
	s_cbranch_execz .LBB150_49
; %bb.48:
	ds_read_b64 v[2:3], v28 offset:10240
	s_mov_b32 s18, 0
	s_brev_b32 s19, 1
	v_bfrev_b32_e32 v10, -2
	s_waitcnt lgkmcnt(0)
	v_cmp_ne_u64_e64 s[18:19], s[18:19], v[2:3]
	v_cndmask_b32_e64 v7, v10, v3, s[18:19]
	v_cndmask_b32_e64 v6, -1, v2, s[18:19]
	v_lshrrev_b64 v[6:7], s48, v[6:7]
	v_and_b32_e32 v6, s33, v6
	v_lshlrev_b32_e32 v6, 3, v6
	ds_read_b64 v[6:7], v6
	v_cmp_gt_i64_e64 s[18:19], 0, v[2:3]
	v_cndmask_b32_e64 v10, v10, 0, s[18:19]
	v_ashrrev_i32_e32 v11, 31, v3
	v_xor_b32_e32 v3, v10, v3
	s_waitcnt lgkmcnt(0)
	v_lshlrev_b64 v[6:7], 3, v[6:7]
	v_mov_b32_e32 v10, s39
	v_add_co_u32_e64 v6, s[18:19], s38, v6
	v_addc_co_u32_e64 v7, s[18:19], v10, v7, s[18:19]
	v_not_b32_e32 v11, v11
	v_add_co_u32_e64 v6, s[18:19], v6, v29
	v_xor_b32_e32 v2, v11, v2
	v_addc_co_u32_e64 v7, s[18:19], 0, v7, s[18:19]
	global_store_dwordx2 v[6:7], v[2:3], off
.LBB150_49:
	s_or_b64 exec, exec, s[20:21]
	v_or_b32_e32 v2, 0x800, v8
	v_cmp_gt_u32_e64 s[18:19], s35, v2
	v_lshlrev_b32_e32 v30, 3, v2
	;; [unrolled: 34-line block ×5, first 2 shown]
	s_and_saveexec_b64 s[52:53], s[24:25]
	s_cbranch_execz .LBB150_57
; %bb.56:
	ds_read_b64 v[2:3], v28 offset:43008
	s_mov_b32 s28, 0
	s_brev_b32 s29, 1
	v_bfrev_b32_e32 v10, -2
	s_waitcnt lgkmcnt(0)
	v_cmp_ne_u64_e64 s[28:29], s[28:29], v[2:3]
	v_cndmask_b32_e64 v7, v10, v3, s[28:29]
	v_cndmask_b32_e64 v6, -1, v2, s[28:29]
	v_lshrrev_b64 v[6:7], s48, v[6:7]
	v_and_b32_e32 v6, s33, v6
	v_lshlrev_b32_e32 v6, 3, v6
	ds_read_b64 v[6:7], v6
	v_cmp_gt_i64_e64 s[28:29], 0, v[2:3]
	v_cndmask_b32_e64 v10, v10, 0, s[28:29]
	v_ashrrev_i32_e32 v11, 31, v3
	v_xor_b32_e32 v3, v10, v3
	s_waitcnt lgkmcnt(0)
	v_lshlrev_b64 v[6:7], 3, v[6:7]
	v_mov_b32_e32 v10, s39
	v_add_co_u32_e64 v6, s[28:29], s38, v6
	v_addc_co_u32_e64 v7, s[28:29], v10, v7, s[28:29]
	v_not_b32_e32 v11, v11
	v_add_co_u32_e64 v6, s[28:29], v6, v33
	v_xor_b32_e32 v2, v11, v2
	v_addc_co_u32_e64 v7, s[28:29], 0, v7, s[28:29]
	global_store_dwordx2 v[6:7], v[2:3], off
.LBB150_57:
	s_or_b64 exec, exec, s[52:53]
	s_add_u32 s28, s40, s50
	s_addc_u32 s29, s41, s51
	v_mov_b32_e32 v2, s29
	v_add_co_u32_e64 v3, s[28:29], s28, v9
	v_addc_co_u32_e64 v2, s[28:29], 0, v2, s[28:29]
	v_add_co_u32_e64 v18, s[28:29], v3, v20
	v_addc_co_u32_e64 v19, s[28:29], 0, v2, s[28:29]
                                        ; implicit-def: $vgpr2_vgpr3
	s_and_saveexec_b64 s[28:29], vcc
	s_xor_b64 s[28:29], exec, s[28:29]
	s_cbranch_execnz .LBB150_127
; %bb.58:
	s_or_b64 exec, exec, s[28:29]
                                        ; implicit-def: $vgpr6_vgpr7
	s_and_saveexec_b64 s[28:29], s[0:1]
	s_cbranch_execnz .LBB150_128
.LBB150_59:
	s_or_b64 exec, exec, s[28:29]
                                        ; implicit-def: $vgpr10_vgpr11
	s_and_saveexec_b64 s[0:1], s[2:3]
	s_cbranch_execnz .LBB150_129
.LBB150_60:
	s_or_b64 exec, exec, s[0:1]
                                        ; implicit-def: $vgpr12_vgpr13
	s_and_saveexec_b64 s[0:1], s[26:27]
	s_cbranch_execnz .LBB150_130
.LBB150_61:
	s_or_b64 exec, exec, s[0:1]
                                        ; implicit-def: $vgpr14_vgpr15
	s_and_saveexec_b64 s[0:1], s[8:9]
	s_cbranch_execnz .LBB150_131
.LBB150_62:
	s_or_b64 exec, exec, s[0:1]
                                        ; implicit-def: $vgpr16_vgpr17
	s_and_saveexec_b64 s[0:1], s[10:11]
	s_cbranch_execz .LBB150_64
.LBB150_63:
	global_load_dwordx2 v[16:17], v[18:19], off offset:2560
.LBB150_64:
	s_or_b64 exec, exec, s[0:1]
	v_mov_b32_e32 v9, 0
	v_mov_b32_e32 v20, 0
	s_and_saveexec_b64 s[0:1], s[14:15]
	s_cbranch_execz .LBB150_66
; %bb.65:
	ds_read_b64 v[18:19], v28 offset:2048
	s_mov_b32 s2, 0
	s_brev_b32 s3, 1
	v_bfrev_b32_e32 v20, -2
	s_waitcnt lgkmcnt(0)
	v_cmp_ne_u64_e32 vcc, s[2:3], v[18:19]
	v_cndmask_b32_e32 v19, v20, v19, vcc
	v_cndmask_b32_e32 v18, -1, v18, vcc
	v_lshrrev_b64 v[18:19], s48, v[18:19]
	v_and_b32_e32 v20, s33, v18
.LBB150_66:
	s_or_b64 exec, exec, s[0:1]
	s_and_saveexec_b64 s[0:1], s[16:17]
	s_cbranch_execz .LBB150_68
; %bb.67:
	ds_read_b64 v[18:19], v28 offset:10240
	s_mov_b32 s2, 0
	s_brev_b32 s3, 1
	v_bfrev_b32_e32 v9, -2
	s_waitcnt lgkmcnt(0)
	v_cmp_ne_u64_e32 vcc, s[2:3], v[18:19]
	v_cndmask_b32_e32 v19, v9, v19, vcc
	v_cndmask_b32_e32 v18, -1, v18, vcc
	v_lshrrev_b64 v[18:19], s48, v[18:19]
	v_and_b32_e32 v9, s33, v18
.LBB150_68:
	s_or_b64 exec, exec, s[0:1]
	v_mov_b32_e32 v18, 0
	v_mov_b32_e32 v34, 0
	s_and_saveexec_b64 s[0:1], s[18:19]
	s_cbranch_execz .LBB150_70
; %bb.69:
	ds_read_b64 v[34:35], v28 offset:18432
	s_mov_b32 s2, 0
	s_brev_b32 s3, 1
	v_bfrev_b32_e32 v19, -2
	s_waitcnt lgkmcnt(0)
	v_cmp_ne_u64_e32 vcc, s[2:3], v[34:35]
	v_cndmask_b32_e32 v35, v19, v35, vcc
	v_cndmask_b32_e32 v34, -1, v34, vcc
	v_lshrrev_b64 v[34:35], s48, v[34:35]
	v_and_b32_e32 v34, s33, v34
.LBB150_70:
	s_or_b64 exec, exec, s[0:1]
	s_and_saveexec_b64 s[0:1], s[20:21]
	s_cbranch_execz .LBB150_72
; %bb.71:
	ds_read_b64 v[18:19], v28 offset:26624
	s_mov_b32 s2, 0
	s_brev_b32 s3, 1
	v_bfrev_b32_e32 v35, -2
	s_waitcnt lgkmcnt(0)
	v_cmp_ne_u64_e32 vcc, s[2:3], v[18:19]
	v_cndmask_b32_e32 v19, v35, v19, vcc
	v_cndmask_b32_e32 v18, -1, v18, vcc
	v_lshrrev_b64 v[18:19], s48, v[18:19]
	v_and_b32_e32 v18, s33, v18
.LBB150_72:
	;; [unrolled: 32-line block ×3, first 2 shown]
	s_or_b64 exec, exec, s[0:1]
	s_barrier
	s_waitcnt vmcnt(0)
	ds_write_b64 v22, v[2:3] offset:2048
	ds_write_b64 v23, v[6:7] offset:2048
	;; [unrolled: 1-line block ×6, first 2 shown]
	s_waitcnt lgkmcnt(0)
	s_barrier
	s_and_saveexec_b64 s[0:1], s[14:15]
	s_cbranch_execnz .LBB150_132
; %bb.77:
	s_or_b64 exec, exec, s[0:1]
	s_and_saveexec_b64 s[0:1], s[16:17]
	s_cbranch_execnz .LBB150_133
.LBB150_78:
	s_or_b64 exec, exec, s[0:1]
	s_and_saveexec_b64 s[0:1], s[18:19]
	s_cbranch_execnz .LBB150_134
.LBB150_79:
	s_or_b64 exec, exec, s[0:1]
	s_and_saveexec_b64 s[0:1], s[20:21]
	s_cbranch_execnz .LBB150_135
.LBB150_80:
	s_or_b64 exec, exec, s[0:1]
	s_and_saveexec_b64 s[0:1], s[22:23]
	s_cbranch_execnz .LBB150_136
.LBB150_81:
	s_or_b64 exec, exec, s[0:1]
	s_and_saveexec_b64 s[0:1], s[24:25]
	s_cbranch_execz .LBB150_83
.LBB150_82:
	v_lshlrev_b32_e32 v2, 3, v19
	ds_read_b64 v[2:3], v2
	ds_read_b64 v[6:7], v28 offset:43008
	v_mov_b32_e32 v9, s43
	s_waitcnt lgkmcnt(1)
	v_lshlrev_b64 v[2:3], 3, v[2:3]
	v_add_co_u32_e32 v2, vcc, s42, v2
	v_addc_co_u32_e32 v3, vcc, v9, v3, vcc
	v_add_co_u32_e32 v2, vcc, v2, v33
	v_addc_co_u32_e32 v3, vcc, 0, v3, vcc
	s_waitcnt lgkmcnt(0)
	global_store_dwordx2 v[2:3], v[6:7], off
.LBB150_83:
	s_or_b64 exec, exec, s[0:1]
	s_add_i32 s7, s7, -1
	s_cmp_eq_u32 s6, s7
	s_cselect_b64 s[0:1], -1, 0
	s_and_b64 s[2:3], s[12:13], s[0:1]
	s_mov_b64 s[0:1], 0
	s_mov_b64 s[10:11], 0
                                        ; implicit-def: $vgpr2_vgpr3
	s_and_saveexec_b64 s[8:9], s[2:3]
	s_xor_b64 s[2:3], exec, s[8:9]
; %bb.84:
	v_add_co_u32_e32 v2, vcc, v4, v21
	s_mov_b64 s[10:11], exec
	v_mov_b32_e32 v9, 0
	v_addc_co_u32_e32 v3, vcc, 0, v5, vcc
; %bb.85:
	s_or_b64 exec, exec, s[2:3]
	s_and_b64 vcc, exec, s[0:1]
	s_cbranch_vccnz .LBB150_87
	s_branch .LBB150_124
.LBB150_86:
	s_mov_b64 s[10:11], 0
                                        ; implicit-def: $vgpr2_vgpr3
                                        ; implicit-def: $vgpr8_vgpr9
	s_cbranch_execz .LBB150_124
.LBB150_87:
	s_mov_b32 s35, 0
	s_lshl_b64 s[12:13], s[34:35], 3
	v_mbcnt_hi_u32_b32 v9, -1, v1
	s_add_u32 s0, s36, s12
	v_lshlrev_b32_e32 v18, 3, v9
	v_add_co_u32_e32 v3, vcc, s0, v18
	s_load_dword s7, s[4:5], 0x50
	s_load_dword s0, s[4:5], 0x5c
	v_and_b32_e32 v8, 0x3ff, v0
	s_addc_u32 s1, s37, s13
	v_and_b32_e32 v1, 0x3c0, v8
	v_mul_u32_u24_e32 v1, 6, v1
	v_mov_b32_e32 v2, s1
	v_addc_co_u32_e32 v2, vcc, 0, v2, vcc
	v_lshlrev_b32_e32 v19, 3, v1
	s_add_u32 s1, s4, 0x50
	v_add_co_u32_e32 v16, vcc, v3, v19
	s_addc_u32 s2, s5, 0
	s_waitcnt lgkmcnt(0)
	s_lshr_b32 s4, s0, 16
	v_addc_co_u32_e32 v17, vcc, 0, v2, vcc
	s_cmp_lt_u32 s6, s7
	global_load_dwordx2 v[24:25], v[16:17], off
	s_cselect_b32 s0, 12, 18
	s_add_u32 s0, s1, s0
	v_mov_b32_e32 v4, 0
	s_addc_u32 s1, s2, 0
	global_load_ushort v5, v4, s[0:1]
	v_mul_u32_u24_e32 v2, 5, v8
	v_lshlrev_b32_e32 v20, 2, v2
	ds_write2_b32 v20, v4, v4 offset0:16 offset1:17
	ds_write2_b32 v20, v4, v4 offset0:18 offset1:19
	ds_write_b32 v20, v4 offset:80
	global_load_dwordx2 v[2:3], v[16:17], off offset:512
	global_load_dwordx2 v[14:15], v[16:17], off offset:1024
	;; [unrolled: 1-line block ×5, first 2 shown]
	v_bfe_u32 v1, v0, 10, 10
	v_bfe_u32 v0, v0, 20, 10
	v_bfrev_b32_e32 v23, -2
	v_mad_u32_u24 v21, v0, s4, v1
	s_brev_b32 s3, 1
	s_mov_b32 s2, s35
	s_lshl_b32 s0, -1, s49
	s_not_b32 s16, s0
	s_waitcnt lgkmcnt(0)
	s_barrier
	s_waitcnt lgkmcnt(0)
	; wave barrier
	s_waitcnt vmcnt(6)
	v_cmp_gt_i64_e32 vcc, 0, v[24:25]
	v_ashrrev_i32_e32 v1, 31, v25
	v_cndmask_b32_e64 v0, v23, 0, vcc
	v_not_b32_e32 v16, v1
	v_xor_b32_e32 v1, v0, v25
	v_xor_b32_e32 v0, v16, v24
	s_waitcnt vmcnt(5)
	v_mad_u64_u32 v[16:17], s[0:1], v21, v5, v[8:9]
	v_cmp_ne_u64_e32 vcc, s[2:3], v[0:1]
	v_cndmask_b32_e32 v17, v23, v1, vcc
	v_lshrrev_b32_e32 v26, 6, v16
	v_cndmask_b32_e32 v16, -1, v0, vcc
	v_lshrrev_b64 v[16:17], s48, v[16:17]
	v_and_b32_e32 v16, s16, v16
	v_lshl_add_u32 v17, v16, 4, v16
	v_and_b32_e32 v22, 1, v16
	v_add_lshl_u32 v21, v26, v17, 2
	v_add_co_u32_e32 v17, vcc, -1, v22
	v_lshlrev_b32_e32 v5, 30, v16
	v_addc_co_u32_e64 v24, s[0:1], 0, -1, vcc
	v_cmp_ne_u32_e32 vcc, 0, v22
	v_cmp_gt_i64_e64 s[0:1], 0, v[4:5]
	v_not_b32_e32 v22, v5
	v_lshlrev_b32_e32 v5, 29, v16
	v_xor_b32_e32 v24, vcc_hi, v24
	v_xor_b32_e32 v17, vcc_lo, v17
	v_ashrrev_i32_e32 v22, 31, v22
	v_cmp_gt_i64_e32 vcc, 0, v[4:5]
	v_not_b32_e32 v25, v5
	v_lshlrev_b32_e32 v5, 28, v16
	v_and_b32_e32 v24, exec_hi, v24
	v_and_b32_e32 v17, exec_lo, v17
	v_xor_b32_e32 v27, s1, v22
	v_xor_b32_e32 v22, s0, v22
	v_ashrrev_i32_e32 v25, 31, v25
	v_cmp_gt_i64_e64 s[0:1], 0, v[4:5]
	v_not_b32_e32 v5, v5
	v_and_b32_e32 v24, v24, v27
	v_and_b32_e32 v17, v17, v22
	v_xor_b32_e32 v22, vcc_hi, v25
	v_xor_b32_e32 v25, vcc_lo, v25
	v_ashrrev_i32_e32 v5, 31, v5
	v_and_b32_e32 v22, v24, v22
	v_and_b32_e32 v17, v17, v25
	v_xor_b32_e32 v24, s1, v5
	v_xor_b32_e32 v5, s0, v5
	v_and_b32_e32 v17, v17, v5
	v_lshlrev_b32_e32 v5, 27, v16
	v_cmp_gt_i64_e32 vcc, 0, v[4:5]
	v_not_b32_e32 v5, v5
	v_ashrrev_i32_e32 v5, 31, v5
	v_and_b32_e32 v22, v22, v24
	v_xor_b32_e32 v24, vcc_hi, v5
	v_xor_b32_e32 v5, vcc_lo, v5
	v_and_b32_e32 v17, v17, v5
	v_lshlrev_b32_e32 v5, 26, v16
	v_cmp_gt_i64_e32 vcc, 0, v[4:5]
	v_not_b32_e32 v5, v5
	v_ashrrev_i32_e32 v5, 31, v5
	v_and_b32_e32 v22, v22, v24
	v_xor_b32_e32 v24, vcc_hi, v5
	v_xor_b32_e32 v5, vcc_lo, v5
	;; [unrolled: 8-line block ×3, first 2 shown]
	v_and_b32_e32 v22, v22, v24
	v_and_b32_e32 v24, v17, v5
	v_lshlrev_b32_e32 v5, 24, v16
	v_cmp_gt_i64_e32 vcc, 0, v[4:5]
	v_not_b32_e32 v5, v5
	v_ashrrev_i32_e32 v5, 31, v5
	v_xor_b32_e32 v16, vcc_hi, v5
	v_xor_b32_e32 v5, vcc_lo, v5
	v_and_b32_e32 v17, v22, v16
	v_and_b32_e32 v16, v24, v5
	v_mbcnt_lo_u32_b32 v5, v16, 0
	v_mbcnt_hi_u32_b32 v22, v17, v5
	v_cmp_eq_u32_e32 vcc, 0, v22
	v_cmp_ne_u64_e64 s[0:1], 0, v[16:17]
	s_and_b64 s[4:5], s[0:1], vcc
	s_and_saveexec_b64 s[0:1], s[4:5]
	s_cbranch_execz .LBB150_89
; %bb.88:
	v_bcnt_u32_b32 v5, v16, 0
	v_bcnt_u32_b32 v5, v17, v5
	ds_write_b32 v21, v5 offset:64
.LBB150_89:
	s_or_b64 exec, exec, s[0:1]
	s_waitcnt vmcnt(4)
	v_cmp_gt_i64_e32 vcc, 0, v[2:3]
	v_ashrrev_i32_e32 v16, 31, v3
	v_cndmask_b32_e64 v5, v23, 0, vcc
	v_not_b32_e32 v16, v16
	v_xor_b32_e32 v3, v5, v3
	v_xor_b32_e32 v2, v16, v2
	v_cmp_ne_u64_e32 vcc, s[2:3], v[2:3]
	v_cndmask_b32_e32 v17, v23, v3, vcc
	v_cndmask_b32_e32 v16, -1, v2, vcc
	v_lshrrev_b64 v[16:17], s48, v[16:17]
	v_and_b32_e32 v16, s16, v16
	v_lshl_add_u32 v5, v16, 4, v16
	v_add_lshl_u32 v24, v26, v5, 2
	v_and_b32_e32 v5, 1, v16
	v_add_co_u32_e32 v17, vcc, -1, v5
	v_addc_co_u32_e64 v25, s[0:1], 0, -1, vcc
	v_cmp_ne_u32_e32 vcc, 0, v5
	v_xor_b32_e32 v5, vcc_hi, v25
	v_and_b32_e32 v25, exec_hi, v5
	v_lshlrev_b32_e32 v5, 30, v16
	v_xor_b32_e32 v17, vcc_lo, v17
	v_cmp_gt_i64_e32 vcc, 0, v[4:5]
	v_not_b32_e32 v5, v5
	v_ashrrev_i32_e32 v5, 31, v5
	v_and_b32_e32 v17, exec_lo, v17
	v_xor_b32_e32 v27, vcc_hi, v5
	v_xor_b32_e32 v5, vcc_lo, v5
	v_and_b32_e32 v17, v17, v5
	v_lshlrev_b32_e32 v5, 29, v16
	v_cmp_gt_i64_e32 vcc, 0, v[4:5]
	v_not_b32_e32 v5, v5
	v_ashrrev_i32_e32 v5, 31, v5
	v_and_b32_e32 v25, v25, v27
	v_xor_b32_e32 v27, vcc_hi, v5
	v_xor_b32_e32 v5, vcc_lo, v5
	v_and_b32_e32 v17, v17, v5
	v_lshlrev_b32_e32 v5, 28, v16
	v_cmp_gt_i64_e32 vcc, 0, v[4:5]
	v_not_b32_e32 v5, v5
	v_ashrrev_i32_e32 v5, 31, v5
	v_and_b32_e32 v25, v25, v27
	v_xor_b32_e32 v27, vcc_hi, v5
	v_xor_b32_e32 v5, vcc_lo, v5
	v_and_b32_e32 v17, v17, v5
	v_lshlrev_b32_e32 v5, 27, v16
	v_cmp_gt_i64_e32 vcc, 0, v[4:5]
	v_not_b32_e32 v5, v5
	v_ashrrev_i32_e32 v5, 31, v5
	v_and_b32_e32 v25, v25, v27
	v_xor_b32_e32 v27, vcc_hi, v5
	v_xor_b32_e32 v5, vcc_lo, v5
	v_and_b32_e32 v17, v17, v5
	v_lshlrev_b32_e32 v5, 26, v16
	v_cmp_gt_i64_e32 vcc, 0, v[4:5]
	v_not_b32_e32 v5, v5
	v_ashrrev_i32_e32 v5, 31, v5
	v_and_b32_e32 v25, v25, v27
	v_xor_b32_e32 v27, vcc_hi, v5
	v_xor_b32_e32 v5, vcc_lo, v5
	v_and_b32_e32 v17, v17, v5
	v_lshlrev_b32_e32 v5, 25, v16
	v_cmp_gt_i64_e32 vcc, 0, v[4:5]
	v_not_b32_e32 v5, v5
	v_ashrrev_i32_e32 v5, 31, v5
	v_and_b32_e32 v25, v25, v27
	v_xor_b32_e32 v27, vcc_hi, v5
	v_xor_b32_e32 v5, vcc_lo, v5
	v_and_b32_e32 v17, v17, v5
	v_lshlrev_b32_e32 v5, 24, v16
	v_cmp_gt_i64_e32 vcc, 0, v[4:5]
	v_not_b32_e32 v4, v5
	v_ashrrev_i32_e32 v4, 31, v4
	v_xor_b32_e32 v5, vcc_hi, v4
	v_xor_b32_e32 v4, vcc_lo, v4
	; wave barrier
	ds_read_b32 v23, v24 offset:64
	v_and_b32_e32 v25, v25, v27
	v_and_b32_e32 v4, v17, v4
	;; [unrolled: 1-line block ×3, first 2 shown]
	v_mbcnt_lo_u32_b32 v16, v4, 0
	v_mbcnt_hi_u32_b32 v25, v5, v16
	v_cmp_eq_u32_e32 vcc, 0, v25
	v_cmp_ne_u64_e64 s[0:1], 0, v[4:5]
	s_and_b64 s[2:3], s[0:1], vcc
	; wave barrier
	s_and_saveexec_b64 s[0:1], s[2:3]
	s_cbranch_execz .LBB150_91
; %bb.90:
	v_bcnt_u32_b32 v4, v4, 0
	v_bcnt_u32_b32 v4, v5, v4
	s_waitcnt lgkmcnt(0)
	v_add_u32_e32 v4, v23, v4
	ds_write_b32 v24, v4 offset:64
.LBB150_91:
	s_or_b64 exec, exec, s[0:1]
	v_bfrev_b32_e32 v30, -2
	s_waitcnt vmcnt(3)
	v_cmp_gt_i64_e32 vcc, 0, v[14:15]
	v_ashrrev_i32_e32 v5, 31, v15
	s_mov_b32 s2, 0
	v_cndmask_b32_e64 v4, v30, 0, vcc
	v_not_b32_e32 v17, v5
	s_brev_b32 s3, 1
	v_xor_b32_e32 v5, v4, v15
	v_xor_b32_e32 v4, v17, v14
	v_cmp_ne_u64_e32 vcc, s[2:3], v[4:5]
	v_cndmask_b32_e32 v15, v30, v5, vcc
	v_cndmask_b32_e32 v14, -1, v4, vcc
	v_lshrrev_b64 v[14:15], s48, v[14:15]
	v_and_b32_e32 v14, s16, v14
	v_lshl_add_u32 v15, v14, 4, v14
	v_add_lshl_u32 v28, v26, v15, 2
	v_and_b32_e32 v15, 1, v14
	v_add_co_u32_e32 v17, vcc, -1, v15
	v_addc_co_u32_e64 v29, s[0:1], 0, -1, vcc
	v_cmp_ne_u32_e32 vcc, 0, v15
	v_xor_b32_e32 v17, vcc_lo, v17
	v_mov_b32_e32 v16, 0
	v_xor_b32_e32 v15, vcc_hi, v29
	v_and_b32_e32 v29, exec_lo, v17
	v_lshlrev_b32_e32 v17, 30, v14
	v_cmp_gt_i64_e32 vcc, 0, v[16:17]
	v_not_b32_e32 v17, v17
	v_ashrrev_i32_e32 v17, 31, v17
	v_xor_b32_e32 v31, vcc_hi, v17
	v_xor_b32_e32 v17, vcc_lo, v17
	v_and_b32_e32 v29, v29, v17
	v_lshlrev_b32_e32 v17, 29, v14
	v_cmp_gt_i64_e32 vcc, 0, v[16:17]
	v_not_b32_e32 v17, v17
	v_and_b32_e32 v15, exec_hi, v15
	v_ashrrev_i32_e32 v17, 31, v17
	v_and_b32_e32 v15, v15, v31
	v_xor_b32_e32 v31, vcc_hi, v17
	v_xor_b32_e32 v17, vcc_lo, v17
	v_and_b32_e32 v29, v29, v17
	v_lshlrev_b32_e32 v17, 28, v14
	v_cmp_gt_i64_e32 vcc, 0, v[16:17]
	v_not_b32_e32 v17, v17
	v_ashrrev_i32_e32 v17, 31, v17
	v_and_b32_e32 v15, v15, v31
	v_xor_b32_e32 v31, vcc_hi, v17
	v_xor_b32_e32 v17, vcc_lo, v17
	v_and_b32_e32 v29, v29, v17
	v_lshlrev_b32_e32 v17, 27, v14
	v_cmp_gt_i64_e32 vcc, 0, v[16:17]
	v_not_b32_e32 v17, v17
	;; [unrolled: 8-line block ×4, first 2 shown]
	v_ashrrev_i32_e32 v17, 31, v17
	v_and_b32_e32 v15, v15, v31
	v_xor_b32_e32 v31, vcc_hi, v17
	v_xor_b32_e32 v17, vcc_lo, v17
	v_and_b32_e32 v29, v29, v17
	v_lshlrev_b32_e32 v17, 24, v14
	v_not_b32_e32 v14, v17
	v_cmp_gt_i64_e32 vcc, 0, v[16:17]
	v_ashrrev_i32_e32 v14, 31, v14
	v_xor_b32_e32 v17, vcc_hi, v14
	v_xor_b32_e32 v14, vcc_lo, v14
	; wave barrier
	ds_read_b32 v27, v28 offset:64
	v_and_b32_e32 v15, v15, v31
	v_and_b32_e32 v14, v29, v14
	;; [unrolled: 1-line block ×3, first 2 shown]
	v_mbcnt_lo_u32_b32 v17, v14, 0
	v_mbcnt_hi_u32_b32 v29, v15, v17
	v_cmp_eq_u32_e32 vcc, 0, v29
	v_cmp_ne_u64_e64 s[0:1], 0, v[14:15]
	s_and_b64 s[4:5], s[0:1], vcc
	; wave barrier
	s_and_saveexec_b64 s[0:1], s[4:5]
	s_cbranch_execz .LBB150_93
; %bb.92:
	v_bcnt_u32_b32 v14, v14, 0
	v_bcnt_u32_b32 v14, v15, v14
	s_waitcnt lgkmcnt(0)
	v_add_u32_e32 v14, v27, v14
	ds_write_b32 v28, v14 offset:64
.LBB150_93:
	s_or_b64 exec, exec, s[0:1]
	s_waitcnt vmcnt(2)
	v_cmp_gt_i64_e32 vcc, 0, v[12:13]
	v_ashrrev_i32_e32 v15, 31, v13
	v_cndmask_b32_e64 v14, v30, 0, vcc
	v_not_b32_e32 v15, v15
	v_xor_b32_e32 v13, v14, v13
	v_xor_b32_e32 v12, v15, v12
	v_cmp_ne_u64_e32 vcc, s[2:3], v[12:13]
	v_cndmask_b32_e32 v15, v30, v13, vcc
	v_cndmask_b32_e32 v14, -1, v12, vcc
	v_lshrrev_b64 v[14:15], s48, v[14:15]
	v_and_b32_e32 v14, s16, v14
	v_lshl_add_u32 v15, v14, 4, v14
	v_add_lshl_u32 v31, v26, v15, 2
	v_and_b32_e32 v15, 1, v14
	v_add_co_u32_e32 v17, vcc, -1, v15
	v_addc_co_u32_e64 v32, s[0:1], 0, -1, vcc
	v_cmp_ne_u32_e32 vcc, 0, v15
	v_xor_b32_e32 v17, vcc_lo, v17
	v_xor_b32_e32 v15, vcc_hi, v32
	v_and_b32_e32 v32, exec_lo, v17
	v_lshlrev_b32_e32 v17, 30, v14
	v_cmp_gt_i64_e32 vcc, 0, v[16:17]
	v_not_b32_e32 v17, v17
	v_ashrrev_i32_e32 v17, 31, v17
	v_xor_b32_e32 v33, vcc_hi, v17
	v_xor_b32_e32 v17, vcc_lo, v17
	v_and_b32_e32 v32, v32, v17
	v_lshlrev_b32_e32 v17, 29, v14
	v_cmp_gt_i64_e32 vcc, 0, v[16:17]
	v_not_b32_e32 v17, v17
	v_and_b32_e32 v15, exec_hi, v15
	v_ashrrev_i32_e32 v17, 31, v17
	v_and_b32_e32 v15, v15, v33
	v_xor_b32_e32 v33, vcc_hi, v17
	v_xor_b32_e32 v17, vcc_lo, v17
	v_and_b32_e32 v32, v32, v17
	v_lshlrev_b32_e32 v17, 28, v14
	v_cmp_gt_i64_e32 vcc, 0, v[16:17]
	v_not_b32_e32 v17, v17
	v_ashrrev_i32_e32 v17, 31, v17
	v_and_b32_e32 v15, v15, v33
	v_xor_b32_e32 v33, vcc_hi, v17
	v_xor_b32_e32 v17, vcc_lo, v17
	v_and_b32_e32 v32, v32, v17
	v_lshlrev_b32_e32 v17, 27, v14
	v_cmp_gt_i64_e32 vcc, 0, v[16:17]
	v_not_b32_e32 v17, v17
	;; [unrolled: 8-line block ×4, first 2 shown]
	v_ashrrev_i32_e32 v17, 31, v17
	v_and_b32_e32 v15, v15, v33
	v_xor_b32_e32 v33, vcc_hi, v17
	v_xor_b32_e32 v17, vcc_lo, v17
	v_and_b32_e32 v32, v32, v17
	v_lshlrev_b32_e32 v17, 24, v14
	v_not_b32_e32 v14, v17
	v_cmp_gt_i64_e32 vcc, 0, v[16:17]
	v_ashrrev_i32_e32 v14, 31, v14
	v_xor_b32_e32 v16, vcc_hi, v14
	v_xor_b32_e32 v14, vcc_lo, v14
	; wave barrier
	ds_read_b32 v30, v31 offset:64
	v_and_b32_e32 v15, v15, v33
	v_and_b32_e32 v14, v32, v14
	v_and_b32_e32 v15, v15, v16
	v_mbcnt_lo_u32_b32 v16, v14, 0
	v_mbcnt_hi_u32_b32 v32, v15, v16
	v_cmp_eq_u32_e32 vcc, 0, v32
	v_cmp_ne_u64_e64 s[0:1], 0, v[14:15]
	s_and_b64 s[2:3], s[0:1], vcc
	; wave barrier
	s_and_saveexec_b64 s[0:1], s[2:3]
	s_cbranch_execz .LBB150_95
; %bb.94:
	v_bcnt_u32_b32 v14, v14, 0
	v_bcnt_u32_b32 v14, v15, v14
	s_waitcnt lgkmcnt(0)
	v_add_u32_e32 v14, v30, v14
	ds_write_b32 v31, v14 offset:64
.LBB150_95:
	s_or_b64 exec, exec, s[0:1]
	v_bfrev_b32_e32 v37, -2
	s_waitcnt vmcnt(1)
	v_cmp_gt_i64_e32 vcc, 0, v[10:11]
	v_ashrrev_i32_e32 v15, 31, v11
	s_mov_b32 s2, 0
	v_cndmask_b32_e64 v14, v37, 0, vcc
	v_not_b32_e32 v17, v15
	s_brev_b32 s3, 1
	v_xor_b32_e32 v15, v14, v11
	v_xor_b32_e32 v14, v17, v10
	v_cmp_ne_u64_e32 vcc, s[2:3], v[14:15]
	v_cndmask_b32_e32 v11, v37, v15, vcc
	v_cndmask_b32_e32 v10, -1, v14, vcc
	v_lshrrev_b64 v[10:11], s48, v[10:11]
	v_and_b32_e32 v10, s16, v10
	v_lshl_add_u32 v11, v10, 4, v10
	v_add_lshl_u32 v34, v11, v26, 2
	v_and_b32_e32 v11, 1, v10
	v_add_co_u32_e32 v17, vcc, -1, v11
	v_addc_co_u32_e64 v35, s[0:1], 0, -1, vcc
	v_cmp_ne_u32_e32 vcc, 0, v11
	v_xor_b32_e32 v17, vcc_lo, v17
	v_mov_b32_e32 v16, 0
	v_xor_b32_e32 v11, vcc_hi, v35
	v_and_b32_e32 v35, exec_lo, v17
	v_lshlrev_b32_e32 v17, 30, v10
	v_cmp_gt_i64_e32 vcc, 0, v[16:17]
	v_not_b32_e32 v17, v17
	v_ashrrev_i32_e32 v17, 31, v17
	v_xor_b32_e32 v36, vcc_hi, v17
	v_xor_b32_e32 v17, vcc_lo, v17
	v_and_b32_e32 v35, v35, v17
	v_lshlrev_b32_e32 v17, 29, v10
	v_cmp_gt_i64_e32 vcc, 0, v[16:17]
	v_not_b32_e32 v17, v17
	v_and_b32_e32 v11, exec_hi, v11
	v_ashrrev_i32_e32 v17, 31, v17
	v_and_b32_e32 v11, v11, v36
	v_xor_b32_e32 v36, vcc_hi, v17
	v_xor_b32_e32 v17, vcc_lo, v17
	v_and_b32_e32 v35, v35, v17
	v_lshlrev_b32_e32 v17, 28, v10
	v_cmp_gt_i64_e32 vcc, 0, v[16:17]
	v_not_b32_e32 v17, v17
	v_ashrrev_i32_e32 v17, 31, v17
	v_and_b32_e32 v11, v11, v36
	v_xor_b32_e32 v36, vcc_hi, v17
	v_xor_b32_e32 v17, vcc_lo, v17
	v_and_b32_e32 v35, v35, v17
	v_lshlrev_b32_e32 v17, 27, v10
	v_cmp_gt_i64_e32 vcc, 0, v[16:17]
	v_not_b32_e32 v17, v17
	;; [unrolled: 8-line block ×4, first 2 shown]
	v_ashrrev_i32_e32 v17, 31, v17
	v_and_b32_e32 v11, v11, v36
	v_xor_b32_e32 v36, vcc_hi, v17
	v_xor_b32_e32 v17, vcc_lo, v17
	v_and_b32_e32 v35, v35, v17
	v_lshlrev_b32_e32 v17, 24, v10
	v_not_b32_e32 v10, v17
	v_cmp_gt_i64_e32 vcc, 0, v[16:17]
	v_ashrrev_i32_e32 v10, 31, v10
	v_xor_b32_e32 v17, vcc_hi, v10
	v_xor_b32_e32 v10, vcc_lo, v10
	; wave barrier
	ds_read_b32 v33, v34 offset:64
	v_and_b32_e32 v11, v11, v36
	v_and_b32_e32 v10, v35, v10
	;; [unrolled: 1-line block ×3, first 2 shown]
	v_mbcnt_lo_u32_b32 v17, v10, 0
	v_mbcnt_hi_u32_b32 v35, v11, v17
	v_cmp_eq_u32_e32 vcc, 0, v35
	v_cmp_ne_u64_e64 s[0:1], 0, v[10:11]
	s_and_b64 s[4:5], s[0:1], vcc
	; wave barrier
	s_and_saveexec_b64 s[0:1], s[4:5]
	s_cbranch_execz .LBB150_97
; %bb.96:
	v_bcnt_u32_b32 v10, v10, 0
	v_bcnt_u32_b32 v10, v11, v10
	s_waitcnt lgkmcnt(0)
	v_add_u32_e32 v10, v33, v10
	ds_write_b32 v34, v10 offset:64
.LBB150_97:
	s_or_b64 exec, exec, s[0:1]
	s_waitcnt vmcnt(0)
	v_cmp_gt_i64_e32 vcc, 0, v[6:7]
	v_ashrrev_i32_e32 v11, 31, v7
	v_cndmask_b32_e64 v10, v37, 0, vcc
	v_not_b32_e32 v11, v11
	v_xor_b32_e32 v7, v10, v7
	v_xor_b32_e32 v6, v11, v6
	v_cmp_ne_u64_e32 vcc, s[2:3], v[6:7]
	v_cndmask_b32_e32 v11, v37, v7, vcc
	v_cndmask_b32_e32 v10, -1, v6, vcc
	v_lshrrev_b64 v[10:11], s48, v[10:11]
	v_and_b32_e32 v10, s16, v10
	v_lshl_add_u32 v11, v10, 4, v10
	v_add_lshl_u32 v37, v11, v26, 2
	v_and_b32_e32 v11, 1, v10
	v_add_co_u32_e32 v17, vcc, -1, v11
	v_addc_co_u32_e64 v38, s[0:1], 0, -1, vcc
	v_cmp_ne_u32_e32 vcc, 0, v11
	v_xor_b32_e32 v17, vcc_lo, v17
	v_xor_b32_e32 v11, vcc_hi, v38
	v_and_b32_e32 v38, exec_lo, v17
	v_lshlrev_b32_e32 v17, 30, v10
	v_cmp_gt_i64_e32 vcc, 0, v[16:17]
	v_not_b32_e32 v17, v17
	v_ashrrev_i32_e32 v17, 31, v17
	v_xor_b32_e32 v39, vcc_hi, v17
	v_xor_b32_e32 v17, vcc_lo, v17
	v_and_b32_e32 v38, v38, v17
	v_lshlrev_b32_e32 v17, 29, v10
	v_cmp_gt_i64_e32 vcc, 0, v[16:17]
	v_not_b32_e32 v17, v17
	v_and_b32_e32 v11, exec_hi, v11
	v_ashrrev_i32_e32 v17, 31, v17
	v_and_b32_e32 v11, v11, v39
	v_xor_b32_e32 v39, vcc_hi, v17
	v_xor_b32_e32 v17, vcc_lo, v17
	v_and_b32_e32 v38, v38, v17
	v_lshlrev_b32_e32 v17, 28, v10
	v_cmp_gt_i64_e32 vcc, 0, v[16:17]
	v_not_b32_e32 v17, v17
	v_ashrrev_i32_e32 v17, 31, v17
	v_and_b32_e32 v11, v11, v39
	v_xor_b32_e32 v39, vcc_hi, v17
	v_xor_b32_e32 v17, vcc_lo, v17
	v_and_b32_e32 v38, v38, v17
	v_lshlrev_b32_e32 v17, 27, v10
	v_cmp_gt_i64_e32 vcc, 0, v[16:17]
	v_not_b32_e32 v17, v17
	;; [unrolled: 8-line block ×4, first 2 shown]
	v_ashrrev_i32_e32 v17, 31, v17
	v_and_b32_e32 v11, v11, v39
	v_xor_b32_e32 v39, vcc_hi, v17
	v_xor_b32_e32 v17, vcc_lo, v17
	v_and_b32_e32 v38, v38, v17
	v_lshlrev_b32_e32 v17, 24, v10
	v_not_b32_e32 v10, v17
	v_cmp_gt_i64_e32 vcc, 0, v[16:17]
	v_ashrrev_i32_e32 v10, 31, v10
	v_xor_b32_e32 v16, vcc_hi, v10
	v_xor_b32_e32 v10, vcc_lo, v10
	; wave barrier
	ds_read_b32 v26, v37 offset:64
	v_and_b32_e32 v11, v11, v39
	v_and_b32_e32 v10, v38, v10
	;; [unrolled: 1-line block ×3, first 2 shown]
	v_mbcnt_lo_u32_b32 v16, v10, 0
	v_mbcnt_hi_u32_b32 v38, v11, v16
	v_cmp_eq_u32_e32 vcc, 0, v38
	v_cmp_ne_u64_e64 s[0:1], 0, v[10:11]
	v_add_u32_e32 v36, 64, v20
	s_and_b64 s[2:3], s[0:1], vcc
	; wave barrier
	s_and_saveexec_b64 s[0:1], s[2:3]
	s_cbranch_execz .LBB150_99
; %bb.98:
	v_bcnt_u32_b32 v10, v10, 0
	v_bcnt_u32_b32 v10, v11, v10
	s_waitcnt lgkmcnt(0)
	v_add_u32_e32 v10, v26, v10
	ds_write_b32 v37, v10 offset:64
.LBB150_99:
	s_or_b64 exec, exec, s[0:1]
	; wave barrier
	s_waitcnt lgkmcnt(0)
	s_barrier
	ds_read2_b32 v[16:17], v20 offset0:16 offset1:17
	ds_read2_b32 v[10:11], v36 offset0:2 offset1:3
	ds_read_b32 v39, v36 offset:16
	v_cmp_lt_u32_e64 s[8:9], 31, v9
	s_waitcnt lgkmcnt(1)
	v_add3_u32 v40, v17, v16, v10
	s_waitcnt lgkmcnt(0)
	v_add3_u32 v39, v40, v11, v39
	v_and_b32_e32 v40, 15, v9
	v_cmp_eq_u32_e32 vcc, 0, v40
	v_mov_b32_dpp v41, v39 row_shr:1 row_mask:0xf bank_mask:0xf
	v_cndmask_b32_e64 v41, v41, 0, vcc
	v_add_u32_e32 v39, v41, v39
	v_cmp_lt_u32_e64 s[0:1], 1, v40
	v_cmp_lt_u32_e64 s[2:3], 3, v40
	v_mov_b32_dpp v41, v39 row_shr:2 row_mask:0xf bank_mask:0xf
	v_cndmask_b32_e64 v41, 0, v41, s[0:1]
	v_add_u32_e32 v39, v39, v41
	v_cmp_lt_u32_e64 s[4:5], 7, v40
	s_nop 0
	v_mov_b32_dpp v41, v39 row_shr:4 row_mask:0xf bank_mask:0xf
	v_cndmask_b32_e64 v41, 0, v41, s[2:3]
	v_add_u32_e32 v39, v39, v41
	s_nop 1
	v_mov_b32_dpp v41, v39 row_shr:8 row_mask:0xf bank_mask:0xf
	v_cndmask_b32_e64 v40, 0, v41, s[4:5]
	v_add_u32_e32 v39, v39, v40
	v_bfe_i32 v41, v9, 4, 1
	s_nop 0
	v_mov_b32_dpp v40, v39 row_bcast:15 row_mask:0xf bank_mask:0xf
	v_and_b32_e32 v40, v41, v40
	v_add_u32_e32 v39, v39, v40
	v_and_b32_e32 v41, 63, v8
	s_nop 0
	v_mov_b32_dpp v40, v39 row_bcast:31 row_mask:0xf bank_mask:0xf
	v_cndmask_b32_e64 v40, 0, v40, s[8:9]
	v_add_u32_e32 v39, v39, v40
	v_lshrrev_b32_e32 v40, 6, v8
	v_cmp_eq_u32_e64 s[8:9], 63, v41
	s_and_saveexec_b64 s[14:15], s[8:9]
	s_cbranch_execz .LBB150_101
; %bb.100:
	v_lshlrev_b32_e32 v41, 2, v40
	ds_write_b32 v41, v39
.LBB150_101:
	s_or_b64 exec, exec, s[14:15]
	v_cmp_gt_u32_e64 s[8:9], 16, v8
	s_waitcnt lgkmcnt(0)
	s_barrier
	s_and_saveexec_b64 s[14:15], s[8:9]
	s_cbranch_execz .LBB150_103
; %bb.102:
	v_lshlrev_b32_e32 v41, 2, v8
	ds_read_b32 v42, v41
	s_waitcnt lgkmcnt(0)
	s_nop 0
	v_mov_b32_dpp v43, v42 row_shr:1 row_mask:0xf bank_mask:0xf
	v_cndmask_b32_e64 v43, v43, 0, vcc
	v_add_u32_e32 v42, v43, v42
	s_nop 1
	v_mov_b32_dpp v43, v42 row_shr:2 row_mask:0xf bank_mask:0xf
	v_cndmask_b32_e64 v43, 0, v43, s[0:1]
	v_add_u32_e32 v42, v42, v43
	s_nop 1
	v_mov_b32_dpp v43, v42 row_shr:4 row_mask:0xf bank_mask:0xf
	v_cndmask_b32_e64 v43, 0, v43, s[2:3]
	;; [unrolled: 4-line block ×3, first 2 shown]
	v_add_u32_e32 v42, v42, v43
	ds_write_b32 v41, v42
.LBB150_103:
	s_or_b64 exec, exec, s[14:15]
	v_cmp_lt_u32_e32 vcc, 63, v8
	v_mov_b32_e32 v41, 0
	s_waitcnt lgkmcnt(0)
	s_barrier
	s_and_saveexec_b64 s[0:1], vcc
	s_cbranch_execz .LBB150_105
; %bb.104:
	v_lshl_add_u32 v40, v40, 2, -4
	ds_read_b32 v41, v40
.LBB150_105:
	s_or_b64 exec, exec, s[0:1]
	v_add_u32_e32 v40, -1, v9
	v_and_b32_e32 v42, 64, v9
	v_cmp_lt_i32_e32 vcc, v40, v42
	v_cndmask_b32_e32 v40, v40, v9, vcc
	s_waitcnt lgkmcnt(0)
	v_add_u32_e32 v39, v41, v39
	v_lshlrev_b32_e32 v40, 2, v40
	ds_bpermute_b32 v39, v40, v39
	v_cmp_eq_u32_e32 vcc, 0, v9
	s_movk_i32 s2, 0xff
	s_movk_i32 s3, 0x100
	v_cmp_lt_u32_e64 s[0:1], s2, v8
	s_waitcnt lgkmcnt(0)
	v_cndmask_b32_e32 v9, v39, v41, vcc
	v_cmp_ne_u32_e32 vcc, 0, v8
	v_cndmask_b32_e32 v9, 0, v9, vcc
	v_add_u32_e32 v16, v9, v16
	v_add_u32_e32 v17, v16, v17
	;; [unrolled: 1-line block ×4, first 2 shown]
	ds_write2_b32 v20, v9, v16 offset0:16 offset1:17
	ds_write2_b32 v36, v17, v10 offset0:2 offset1:3
	ds_write_b32 v36, v11 offset:16
	s_waitcnt lgkmcnt(0)
	s_barrier
	ds_read_b32 v21, v21 offset:64
	ds_read_b32 v36, v24 offset:64
	;; [unrolled: 1-line block ×6, first 2 shown]
	v_cmp_gt_u32_e32 vcc, s3, v8
	v_pk_mov_b32 v[10:11], 0, 0
                                        ; implicit-def: $vgpr20
	s_and_saveexec_b64 s[4:5], vcc
	s_cbranch_execz .LBB150_109
; %bb.106:
	v_mul_u32_u24_e32 v10, 17, v8
	v_lshlrev_b32_e32 v20, 2, v10
	ds_read_b32 v10, v20 offset:64
	v_cmp_ne_u32_e64 s[2:3], s2, v8
	v_mov_b32_e32 v11, 0x1800
	s_and_saveexec_b64 s[8:9], s[2:3]
	s_cbranch_execz .LBB150_108
; %bb.107:
	ds_read_b32 v11, v20 offset:132
.LBB150_108:
	s_or_b64 exec, exec, s[8:9]
	s_waitcnt lgkmcnt(0)
	v_sub_u32_e32 v20, v11, v10
	v_mov_b32_e32 v11, 0
.LBB150_109:
	s_or_b64 exec, exec, s[4:5]
	v_add_u32_e32 v26, v38, v26
	v_add_u32_e32 v28, v35, v33
	;; [unrolled: 1-line block ×5, first 2 shown]
	s_waitcnt lgkmcnt(5)
	v_add_lshl_u32 v21, v21, v22, 3
	s_waitcnt lgkmcnt(4)
	v_add_lshl_u32 v22, v23, v36, 3
	;; [unrolled: 2-line block ×6, first 2 shown]
	s_barrier
	ds_write_b64 v21, v[0:1] offset:2048
	ds_write_b64 v22, v[2:3] offset:2048
	ds_write_b64 v23, v[4:5] offset:2048
	ds_write_b64 v24, v[12:13] offset:2048
	ds_write_b64 v25, v[14:15] offset:2048
	ds_write_b64 v26, v[6:7] offset:2048
	s_waitcnt lgkmcnt(0)
	s_barrier
	s_and_saveexec_b64 s[2:3], s[0:1]
	s_xor_b64 s[0:1], exec, s[2:3]
; %bb.110:
	v_mov_b32_e32 v9, 0
; %bb.111:
	s_andn2_saveexec_b64 s[2:3], s[0:1]
	s_cbranch_execz .LBB150_121
; %bb.112:
	v_lshl_or_b32 v0, s6, 8, v8
	v_mov_b32_e32 v1, 0
	v_lshlrev_b64 v[2:3], 2, v[0:1]
	v_mov_b32_e32 v7, s31
	v_add_co_u32_e64 v2, s[0:1], s30, v2
	v_addc_co_u32_e64 v3, s[0:1], v7, v3, s[0:1]
	v_or_b32_e32 v0, 2.0, v20
	s_mov_b64 s[4:5], 0
	s_brev_b32 s17, 1
	s_mov_b32 s18, s6
	v_mov_b32_e32 v6, 0
	global_store_dword v[2:3], v0, off
                                        ; implicit-def: $sgpr0_sgpr1
	s_branch .LBB150_115
.LBB150_113:                            ;   in Loop: Header=BB150_115 Depth=1
	s_or_b64 exec, exec, s[14:15]
.LBB150_114:                            ;   in Loop: Header=BB150_115 Depth=1
	s_or_b64 exec, exec, s[8:9]
	v_and_b32_e32 v4, 0x3fffffff, v9
	v_add_u32_e32 v6, v4, v6
	v_cmp_eq_u32_e64 s[0:1], s17, v0
	s_and_b64 s[8:9], exec, s[0:1]
	s_or_b64 s[4:5], s[8:9], s[4:5]
	s_andn2_b64 exec, exec, s[4:5]
	s_cbranch_execz .LBB150_120
.LBB150_115:                            ; =>This Loop Header: Depth=1
                                        ;     Child Loop BB150_118 Depth 2
	s_or_b64 s[0:1], s[0:1], exec
	s_cmp_eq_u32 s18, 0
	s_cbranch_scc1 .LBB150_119
; %bb.116:                              ;   in Loop: Header=BB150_115 Depth=1
	s_add_i32 s18, s18, -1
	v_lshl_or_b32 v0, s18, 8, v8
	v_lshlrev_b64 v[4:5], 2, v[0:1]
	v_add_co_u32_e64 v4, s[0:1], s30, v4
	v_addc_co_u32_e64 v5, s[0:1], v7, v5, s[0:1]
	global_load_dword v9, v[4:5], off glc
	s_waitcnt vmcnt(0)
	v_and_b32_e32 v0, -2.0, v9
	v_cmp_eq_u32_e64 s[0:1], 0, v0
	s_and_saveexec_b64 s[8:9], s[0:1]
	s_cbranch_execz .LBB150_114
; %bb.117:                              ;   in Loop: Header=BB150_115 Depth=1
	s_mov_b64 s[14:15], 0
.LBB150_118:                            ;   Parent Loop BB150_115 Depth=1
                                        ; =>  This Inner Loop Header: Depth=2
	global_load_dword v9, v[4:5], off glc
	s_waitcnt vmcnt(0)
	v_and_b32_e32 v0, -2.0, v9
	v_cmp_ne_u32_e64 s[0:1], 0, v0
	s_or_b64 s[14:15], s[0:1], s[14:15]
	s_andn2_b64 exec, exec, s[14:15]
	s_cbranch_execnz .LBB150_118
	s_branch .LBB150_113
.LBB150_119:                            ;   in Loop: Header=BB150_115 Depth=1
                                        ; implicit-def: $sgpr18
	s_and_b64 s[8:9], exec, s[0:1]
	s_or_b64 s[4:5], s[8:9], s[4:5]
	s_andn2_b64 exec, exec, s[4:5]
	s_cbranch_execnz .LBB150_115
.LBB150_120:
	s_or_b64 exec, exec, s[4:5]
	v_add_u32_e32 v0, v6, v20
	v_or_b32_e32 v0, 0x80000000, v0
	global_store_dword v[2:3], v0, off
	v_lshlrev_b32_e32 v2, 3, v8
	global_load_dwordx2 v[0:1], v2, s[44:45]
	v_sub_co_u32_e64 v3, s[0:1], v6, v10
	v_subb_co_u32_e64 v4, s[0:1], 0, v11, s[0:1]
	v_mov_b32_e32 v9, 0
	s_waitcnt vmcnt(0)
	v_add_co_u32_e64 v0, s[0:1], v3, v0
	v_addc_co_u32_e64 v1, s[0:1], v4, v1, s[0:1]
	ds_write_b64 v2, v[0:1]
.LBB150_121:
	s_or_b64 exec, exec, s[2:3]
	v_lshlrev_b32_e32 v27, 3, v8
	s_waitcnt lgkmcnt(0)
	s_barrier
	v_lshlrev_b32_e32 v28, 3, v8
	ds_read2st64_b64 v[0:3], v27 offset0:20 offset1:36
	ds_read_b64 v[12:13], v28 offset:2048
	s_mov_b32 s2, 0
	ds_read2st64_b64 v[4:7], v27 offset0:52 offset1:68
	s_brev_b32 s3, 1
	v_bfrev_b32_e32 v46, -2
	s_waitcnt lgkmcnt(2)
	v_cmp_ne_u64_e64 s[0:1], s[2:3], v[2:3]
	v_cndmask_b32_e64 v15, v46, v3, s[0:1]
	v_cndmask_b32_e64 v14, -1, v2, s[0:1]
	v_lshrrev_b64 v[14:15], s48, v[14:15]
	v_and_b32_e32 v14, s16, v14
	s_waitcnt lgkmcnt(0)
	v_cmp_ne_u64_e64 s[0:1], s[2:3], v[6:7]
	v_lshlrev_b32_e32 v29, 3, v14
	v_cndmask_b32_e64 v15, v46, v7, s[0:1]
	v_cndmask_b32_e64 v14, -1, v6, s[0:1]
	v_cmp_ne_u64_e64 s[0:1], s[2:3], v[12:13]
	v_cndmask_b32_e64 v33, v46, v13, s[0:1]
	v_cndmask_b32_e64 v32, -1, v12, s[0:1]
	v_lshrrev_b64 v[14:15], s48, v[14:15]
	v_lshrrev_b64 v[32:33], s48, v[32:33]
	v_and_b32_e32 v14, s16, v14
	v_cmp_gt_i64_e64 s[0:1], 0, v[12:13]
	v_ashrrev_i32_e32 v33, 31, v13
	v_lshlrev_b32_e32 v47, 3, v14
	v_and_b32_e32 v34, s16, v32
	v_cndmask_b32_e64 v32, v46, 0, s[0:1]
	v_not_b32_e32 v35, v33
	v_cmp_ne_u64_e64 s[0:1], s[2:3], v[0:1]
	ds_read_b64 v[16:17], v47
	ds_read_b64 v[30:31], v29
	ds_read_b64 v[14:15], v27 offset:43008
	v_xor_b32_e32 v33, v32, v13
	v_xor_b32_e32 v32, v35, v12
	v_cndmask_b32_e64 v13, v46, v1, s[0:1]
	v_cndmask_b32_e64 v12, -1, v0, s[0:1]
	v_lshrrev_b64 v[12:13], s48, v[12:13]
	v_and_b32_e32 v12, s16, v12
	v_cmp_ne_u64_e64 s[0:1], s[2:3], v[4:5]
	v_lshlrev_b32_e32 v49, 3, v12
	v_cndmask_b32_e64 v13, v46, v5, s[0:1]
	v_cndmask_b32_e64 v12, -1, v4, s[0:1]
	v_lshrrev_b64 v[12:13], s48, v[12:13]
	v_and_b32_e32 v12, s16, v12
	s_waitcnt lgkmcnt(0)
	v_cmp_ne_u64_e64 s[0:1], s[2:3], v[14:15]
	v_lshlrev_b32_e32 v50, 3, v12
	v_cndmask_b32_e64 v13, v46, v15, s[0:1]
	v_cndmask_b32_e64 v12, -1, v14, s[0:1]
	v_lshlrev_b32_e32 v48, 3, v34
	v_lshrrev_b64 v[12:13], s48, v[12:13]
	v_and_b32_e32 v34, s16, v12
	ds_read_b64 v[12:13], v48
	v_mov_b32_e32 v40, s39
	v_lshlrev_b32_e32 v51, 3, v34
	ds_read_b64 v[34:35], v49
	ds_read_b64 v[36:37], v50
	;; [unrolled: 1-line block ×3, first 2 shown]
	v_or_b32_e32 v52, 0x2000, v27
	s_waitcnt lgkmcnt(3)
	v_lshlrev_b64 v[12:13], 3, v[12:13]
	v_add_co_u32_e64 v41, s[0:1], s38, v12
	v_addc_co_u32_e64 v42, s[0:1], v40, v13, s[0:1]
	v_lshlrev_b64 v[12:13], 3, v[8:9]
	v_add_co_u32_e64 v40, s[0:1], v41, v12
	v_addc_co_u32_e64 v41, s[0:1], v42, v13, s[0:1]
	global_store_dwordx2 v[40:41], v[32:33], off
	v_cmp_gt_i64_e64 s[0:1], 0, v[0:1]
	v_ashrrev_i32_e32 v33, 31, v1
	v_cndmask_b32_e64 v32, v46, 0, s[0:1]
	v_not_b32_e32 v33, v33
	v_xor_b32_e32 v1, v32, v1
	v_xor_b32_e32 v0, v33, v0
	s_waitcnt lgkmcnt(2)
	v_lshlrev_b64 v[32:33], 3, v[34:35]
	v_mov_b32_e32 v34, s39
	v_add_co_u32_e64 v32, s[0:1], s38, v32
	v_addc_co_u32_e64 v33, s[0:1], v34, v33, s[0:1]
	v_add_co_u32_e64 v32, s[0:1], v32, v52
	v_addc_co_u32_e64 v33, s[0:1], 0, v33, s[0:1]
	s_add_u32 s0, s40, s12
	s_addc_u32 s1, s41, s13
	global_store_dwordx2 v[32:33], v[0:1], off
	v_mov_b32_e32 v0, s1
	v_add_co_u32_e64 v1, s[0:1], s0, v18
	v_addc_co_u32_e64 v18, s[0:1], 0, v0, s[0:1]
	v_add_co_u32_e64 v0, s[0:1], v1, v19
	v_addc_co_u32_e64 v1, s[0:1], 0, v18, s[0:1]
	global_load_dwordx2 v[18:19], v[0:1], off
	global_load_dwordx2 v[32:33], v[0:1], off offset:512
	global_load_dwordx2 v[34:35], v[0:1], off offset:1024
	;; [unrolled: 1-line block ×5, first 2 shown]
	v_cmp_gt_i64_e64 s[0:1], 0, v[2:3]
	v_ashrrev_i32_e32 v1, 31, v3
	v_cndmask_b32_e64 v0, v46, 0, s[0:1]
	v_not_b32_e32 v53, v1
	v_xor_b32_e32 v1, v0, v3
	v_xor_b32_e32 v0, v53, v2
	v_lshlrev_b64 v[2:3], 3, v[30:31]
	v_mov_b32_e32 v30, s39
	v_add_co_u32_e64 v2, s[0:1], s38, v2
	v_addc_co_u32_e64 v3, s[0:1], v30, v3, s[0:1]
	v_or_b32_e32 v30, 0x4000, v27
	v_add_co_u32_e64 v2, s[0:1], v2, v30
	v_addc_co_u32_e64 v3, s[0:1], 0, v3, s[0:1]
	global_store_dwordx2 v[2:3], v[0:1], off
	v_cmp_gt_i64_e64 s[0:1], 0, v[4:5]
	v_ashrrev_i32_e32 v1, 31, v5
	v_cndmask_b32_e64 v0, v46, 0, s[0:1]
	v_not_b32_e32 v2, v1
	v_xor_b32_e32 v1, v0, v5
	v_xor_b32_e32 v0, v2, v4
	s_waitcnt lgkmcnt(1)
	v_lshlrev_b64 v[2:3], 3, v[36:37]
	v_mov_b32_e32 v4, s39
	v_add_co_u32_e64 v2, s[0:1], s38, v2
	v_addc_co_u32_e64 v3, s[0:1], v4, v3, s[0:1]
	v_or_b32_e32 v31, 0x6000, v27
	v_add_co_u32_e64 v2, s[0:1], v2, v31
	v_addc_co_u32_e64 v3, s[0:1], 0, v3, s[0:1]
	global_store_dwordx2 v[2:3], v[0:1], off
	v_cmp_gt_i64_e64 s[0:1], 0, v[6:7]
	v_ashrrev_i32_e32 v1, 31, v7
	v_cndmask_b32_e64 v0, v46, 0, s[0:1]
	v_not_b32_e32 v2, v1
	v_xor_b32_e32 v1, v0, v7
	v_xor_b32_e32 v0, v2, v6
	v_lshlrev_b64 v[2:3], 3, v[16:17]
	v_add_co_u32_e64 v2, s[0:1], s38, v2
	v_addc_co_u32_e64 v3, s[0:1], v4, v3, s[0:1]
	v_or_b32_e32 v36, 0x8000, v27
	v_add_co_u32_e64 v2, s[0:1], v2, v36
	v_addc_co_u32_e64 v3, s[0:1], 0, v3, s[0:1]
	global_store_dwordx2 v[2:3], v[0:1], off
	v_cmp_gt_i64_e64 s[0:1], 0, v[14:15]
	v_ashrrev_i32_e32 v1, 31, v15
	v_cndmask_b32_e64 v0, v46, 0, s[0:1]
	v_not_b32_e32 v2, v1
	v_xor_b32_e32 v1, v0, v15
	v_xor_b32_e32 v0, v2, v14
	s_waitcnt lgkmcnt(0)
	v_lshlrev_b64 v[2:3], 3, v[38:39]
	v_add_co_u32_e64 v2, s[0:1], s38, v2
	v_addc_co_u32_e64 v3, s[0:1], v4, v3, s[0:1]
	v_or_b32_e32 v37, 0xa000, v27
	v_add_co_u32_e64 v2, s[0:1], v2, v37
	v_addc_co_u32_e64 v3, s[0:1], 0, v3, s[0:1]
	global_store_dwordx2 v[2:3], v[0:1], off
	s_barrier
	s_waitcnt vmcnt(9)
	ds_write_b64 v21, v[18:19] offset:2048
	s_waitcnt vmcnt(8)
	ds_write_b64 v22, v[32:33] offset:2048
	;; [unrolled: 2-line block ×6, first 2 shown]
	s_waitcnt lgkmcnt(0)
	s_barrier
	ds_read_b64 v[0:1], v48
	ds_read_b64 v[2:3], v28 offset:2048
	ds_read_b64 v[4:5], v49
	ds_read_b64 v[6:7], v27 offset:43008
	v_mov_b32_e32 v14, s43
	s_waitcnt lgkmcnt(3)
	v_lshlrev_b64 v[0:1], 3, v[0:1]
	v_add_co_u32_e64 v0, s[0:1], s42, v0
	v_addc_co_u32_e64 v1, s[0:1], v14, v1, s[0:1]
	v_add_co_u32_e64 v0, s[0:1], v0, v12
	v_addc_co_u32_e64 v1, s[0:1], v1, v13, s[0:1]
	s_waitcnt lgkmcnt(1)
	v_lshlrev_b64 v[4:5], 3, v[4:5]
	v_mov_b32_e32 v12, s43
	v_add_co_u32_e64 v4, s[0:1], s42, v4
	global_store_dwordx2 v[0:1], v[2:3], off
	ds_read2st64_b64 v[0:3], v27 offset0:20 offset1:36
	v_addc_co_u32_e64 v5, s[0:1], v12, v5, s[0:1]
	ds_read_b64 v[12:13], v29
	v_add_co_u32_e64 v4, s[0:1], v4, v52
	v_addc_co_u32_e64 v5, s[0:1], 0, v5, s[0:1]
	s_waitcnt lgkmcnt(1)
	global_store_dwordx2 v[4:5], v[0:1], off
	s_waitcnt lgkmcnt(0)
	v_lshlrev_b64 v[0:1], 3, v[12:13]
	v_mov_b32_e32 v12, s43
	v_add_co_u32_e64 v0, s[0:1], s42, v0
	ds_read_b64 v[4:5], v50
	ds_read_b64 v[14:15], v47
	;; [unrolled: 1-line block ×3, first 2 shown]
	v_addc_co_u32_e64 v1, s[0:1], v12, v1, s[0:1]
	v_add_co_u32_e64 v0, s[0:1], v0, v30
	v_addc_co_u32_e64 v1, s[0:1], 0, v1, s[0:1]
	global_store_dwordx2 v[0:1], v[2:3], off
	ds_read2st64_b64 v[0:3], v27 offset0:52 offset1:68
	s_waitcnt lgkmcnt(3)
	v_lshlrev_b64 v[4:5], 3, v[4:5]
	v_add_co_u32_e64 v4, s[0:1], s42, v4
	v_addc_co_u32_e64 v5, s[0:1], v12, v5, s[0:1]
	v_add_co_u32_e64 v4, s[0:1], v4, v31
	v_addc_co_u32_e64 v5, s[0:1], 0, v5, s[0:1]
	s_waitcnt lgkmcnt(0)
	global_store_dwordx2 v[4:5], v[0:1], off
	v_lshlrev_b64 v[0:1], 3, v[14:15]
	v_mov_b32_e32 v4, s43
	v_add_co_u32_e64 v0, s[0:1], s42, v0
	v_addc_co_u32_e64 v1, s[0:1], v4, v1, s[0:1]
	v_add_co_u32_e64 v0, s[0:1], v0, v36
	v_addc_co_u32_e64 v1, s[0:1], 0, v1, s[0:1]
	global_store_dwordx2 v[0:1], v[2:3], off
	v_lshlrev_b64 v[0:1], 3, v[16:17]
	v_mov_b32_e32 v2, s43
	v_add_co_u32_e64 v0, s[0:1], s42, v0
	v_addc_co_u32_e64 v1, s[0:1], v2, v1, s[0:1]
	v_add_co_u32_e64 v0, s[0:1], v0, v37
	s_add_i32 s7, s7, -1
	v_addc_co_u32_e64 v1, s[0:1], 0, v1, s[0:1]
	s_cmp_eq_u32 s6, s7
	s_cselect_b64 s[0:1], -1, 0
	s_and_b64 s[2:3], vcc, s[0:1]
	global_store_dwordx2 v[0:1], v[6:7], off
                                        ; implicit-def: $vgpr2_vgpr3
	s_and_saveexec_b64 s[0:1], s[2:3]
; %bb.122:
	v_add_co_u32_e32 v2, vcc, v10, v20
	v_addc_co_u32_e32 v3, vcc, 0, v11, vcc
	s_or_b64 s[10:11], s[10:11], exec
; %bb.123:
	s_or_b64 exec, exec, s[0:1]
.LBB150_124:
	s_and_saveexec_b64 s[0:1], s[10:11]
	s_cbranch_execnz .LBB150_126
; %bb.125:
	s_endpgm
.LBB150_126:
	v_lshlrev_b32_e32 v4, 3, v8
	ds_read_b64 v[4:5], v4
	v_lshlrev_b64 v[0:1], 3, v[8:9]
	v_mov_b32_e32 v6, s47
	v_add_co_u32_e32 v0, vcc, s46, v0
	v_addc_co_u32_e32 v1, vcc, v6, v1, vcc
	s_waitcnt lgkmcnt(0)
	v_add_co_u32_e32 v2, vcc, v4, v2
	v_addc_co_u32_e32 v3, vcc, v5, v3, vcc
	global_store_dwordx2 v[0:1], v[2:3], off
	s_endpgm
.LBB150_127:
	global_load_dwordx2 v[2:3], v[18:19], off
	s_or_b64 exec, exec, s[28:29]
                                        ; implicit-def: $vgpr6_vgpr7
	s_and_saveexec_b64 s[28:29], s[0:1]
	s_cbranch_execz .LBB150_59
.LBB150_128:
	global_load_dwordx2 v[6:7], v[18:19], off offset:512
	s_or_b64 exec, exec, s[28:29]
                                        ; implicit-def: $vgpr10_vgpr11
	s_and_saveexec_b64 s[0:1], s[2:3]
	s_cbranch_execz .LBB150_60
.LBB150_129:
	global_load_dwordx2 v[10:11], v[18:19], off offset:1024
	s_or_b64 exec, exec, s[0:1]
                                        ; implicit-def: $vgpr12_vgpr13
	s_and_saveexec_b64 s[0:1], s[26:27]
	s_cbranch_execz .LBB150_61
.LBB150_130:
	global_load_dwordx2 v[12:13], v[18:19], off offset:1536
	s_or_b64 exec, exec, s[0:1]
                                        ; implicit-def: $vgpr14_vgpr15
	s_and_saveexec_b64 s[0:1], s[8:9]
	s_cbranch_execz .LBB150_62
.LBB150_131:
	global_load_dwordx2 v[14:15], v[18:19], off offset:2048
	s_or_b64 exec, exec, s[0:1]
                                        ; implicit-def: $vgpr16_vgpr17
	s_and_saveexec_b64 s[0:1], s[10:11]
	s_cbranch_execnz .LBB150_63
	s_branch .LBB150_64
.LBB150_132:
	v_lshlrev_b32_e32 v2, 3, v20
	ds_read_b64 v[2:3], v2
	ds_read_b64 v[6:7], v28 offset:2048
	v_mov_b32_e32 v10, s43
	s_waitcnt lgkmcnt(1)
	v_lshlrev_b64 v[2:3], 3, v[2:3]
	v_add_co_u32_e32 v2, vcc, s42, v2
	v_addc_co_u32_e32 v3, vcc, v10, v3, vcc
	v_add_co_u32_e32 v2, vcc, v2, v28
	v_addc_co_u32_e32 v3, vcc, 0, v3, vcc
	s_waitcnt lgkmcnt(0)
	global_store_dwordx2 v[2:3], v[6:7], off
	s_or_b64 exec, exec, s[0:1]
	s_and_saveexec_b64 s[0:1], s[16:17]
	s_cbranch_execz .LBB150_78
.LBB150_133:
	v_lshlrev_b32_e32 v2, 3, v9
	ds_read_b64 v[2:3], v2
	ds_read_b64 v[6:7], v28 offset:10240
	v_mov_b32_e32 v9, s43
	s_waitcnt lgkmcnt(1)
	v_lshlrev_b64 v[2:3], 3, v[2:3]
	v_add_co_u32_e32 v2, vcc, s42, v2
	v_addc_co_u32_e32 v3, vcc, v9, v3, vcc
	v_add_co_u32_e32 v2, vcc, v2, v29
	v_addc_co_u32_e32 v3, vcc, 0, v3, vcc
	s_waitcnt lgkmcnt(0)
	global_store_dwordx2 v[2:3], v[6:7], off
	s_or_b64 exec, exec, s[0:1]
	s_and_saveexec_b64 s[0:1], s[18:19]
	s_cbranch_execz .LBB150_79
.LBB150_134:
	v_lshlrev_b32_e32 v2, 3, v34
	ds_read_b64 v[2:3], v2
	ds_read_b64 v[6:7], v28 offset:18432
	v_mov_b32_e32 v9, s43
	s_waitcnt lgkmcnt(1)
	v_lshlrev_b64 v[2:3], 3, v[2:3]
	v_add_co_u32_e32 v2, vcc, s42, v2
	v_addc_co_u32_e32 v3, vcc, v9, v3, vcc
	v_add_co_u32_e32 v2, vcc, v2, v30
	v_addc_co_u32_e32 v3, vcc, 0, v3, vcc
	s_waitcnt lgkmcnt(0)
	global_store_dwordx2 v[2:3], v[6:7], off
	s_or_b64 exec, exec, s[0:1]
	s_and_saveexec_b64 s[0:1], s[20:21]
	s_cbranch_execz .LBB150_80
.LBB150_135:
	v_lshlrev_b32_e32 v2, 3, v18
	ds_read_b64 v[2:3], v2
	ds_read_b64 v[6:7], v28 offset:26624
	v_mov_b32_e32 v9, s43
	s_waitcnt lgkmcnt(1)
	v_lshlrev_b64 v[2:3], 3, v[2:3]
	v_add_co_u32_e32 v2, vcc, s42, v2
	v_addc_co_u32_e32 v3, vcc, v9, v3, vcc
	v_add_co_u32_e32 v2, vcc, v2, v31
	v_addc_co_u32_e32 v3, vcc, 0, v3, vcc
	s_waitcnt lgkmcnt(0)
	global_store_dwordx2 v[2:3], v[6:7], off
	s_or_b64 exec, exec, s[0:1]
	s_and_saveexec_b64 s[0:1], s[22:23]
	s_cbranch_execz .LBB150_81
.LBB150_136:
	v_lshlrev_b32_e32 v2, 3, v35
	ds_read_b64 v[2:3], v2
	ds_read_b64 v[6:7], v28 offset:34816
	v_mov_b32_e32 v9, s43
	s_waitcnt lgkmcnt(1)
	v_lshlrev_b64 v[2:3], 3, v[2:3]
	v_add_co_u32_e32 v2, vcc, s42, v2
	v_addc_co_u32_e32 v3, vcc, v9, v3, vcc
	v_add_co_u32_e32 v2, vcc, v2, v32
	v_addc_co_u32_e32 v3, vcc, 0, v3, vcc
	s_waitcnt lgkmcnt(0)
	global_store_dwordx2 v[2:3], v[6:7], off
	s_or_b64 exec, exec, s[0:1]
	s_and_saveexec_b64 s[0:1], s[24:25]
	s_cbranch_execnz .LBB150_82
	s_branch .LBB150_83
	.section	.rodata,"a",@progbits
	.p2align	6, 0x0
	.amdhsa_kernel _ZN7rocprim17ROCPRIM_304000_NS6detail25onesweep_iteration_kernelINS1_34wrapped_radix_sort_onesweep_configINS0_14default_configEdN2at4cuda3cub6detail10OpaqueTypeILi8EEEEELb1EPdSC_PSA_SD_mNS0_19identity_decomposerEEEvT1_T2_T3_T4_jPT5_SK_PNS1_23onesweep_lookback_stateET6_jjj
		.amdhsa_group_segment_fixed_size 51200
		.amdhsa_private_segment_fixed_size 0
		.amdhsa_kernarg_size 336
		.amdhsa_user_sgpr_count 6
		.amdhsa_user_sgpr_private_segment_buffer 1
		.amdhsa_user_sgpr_dispatch_ptr 0
		.amdhsa_user_sgpr_queue_ptr 0
		.amdhsa_user_sgpr_kernarg_segment_ptr 1
		.amdhsa_user_sgpr_dispatch_id 0
		.amdhsa_user_sgpr_flat_scratch_init 0
		.amdhsa_user_sgpr_kernarg_preload_length 0
		.amdhsa_user_sgpr_kernarg_preload_offset 0
		.amdhsa_user_sgpr_private_segment_size 0
		.amdhsa_uses_dynamic_stack 0
		.amdhsa_system_sgpr_private_segment_wavefront_offset 0
		.amdhsa_system_sgpr_workgroup_id_x 1
		.amdhsa_system_sgpr_workgroup_id_y 0
		.amdhsa_system_sgpr_workgroup_id_z 0
		.amdhsa_system_sgpr_workgroup_info 0
		.amdhsa_system_vgpr_workitem_id 2
		.amdhsa_next_free_vgpr 54
		.amdhsa_next_free_sgpr 54
		.amdhsa_accum_offset 56
		.amdhsa_reserve_vcc 1
		.amdhsa_reserve_flat_scratch 0
		.amdhsa_float_round_mode_32 0
		.amdhsa_float_round_mode_16_64 0
		.amdhsa_float_denorm_mode_32 3
		.amdhsa_float_denorm_mode_16_64 3
		.amdhsa_dx10_clamp 1
		.amdhsa_ieee_mode 1
		.amdhsa_fp16_overflow 0
		.amdhsa_tg_split 0
		.amdhsa_exception_fp_ieee_invalid_op 0
		.amdhsa_exception_fp_denorm_src 0
		.amdhsa_exception_fp_ieee_div_zero 0
		.amdhsa_exception_fp_ieee_overflow 0
		.amdhsa_exception_fp_ieee_underflow 0
		.amdhsa_exception_fp_ieee_inexact 0
		.amdhsa_exception_int_div_zero 0
	.end_amdhsa_kernel
	.section	.text._ZN7rocprim17ROCPRIM_304000_NS6detail25onesweep_iteration_kernelINS1_34wrapped_radix_sort_onesweep_configINS0_14default_configEdN2at4cuda3cub6detail10OpaqueTypeILi8EEEEELb1EPdSC_PSA_SD_mNS0_19identity_decomposerEEEvT1_T2_T3_T4_jPT5_SK_PNS1_23onesweep_lookback_stateET6_jjj,"axG",@progbits,_ZN7rocprim17ROCPRIM_304000_NS6detail25onesweep_iteration_kernelINS1_34wrapped_radix_sort_onesweep_configINS0_14default_configEdN2at4cuda3cub6detail10OpaqueTypeILi8EEEEELb1EPdSC_PSA_SD_mNS0_19identity_decomposerEEEvT1_T2_T3_T4_jPT5_SK_PNS1_23onesweep_lookback_stateET6_jjj,comdat
.Lfunc_end150:
	.size	_ZN7rocprim17ROCPRIM_304000_NS6detail25onesweep_iteration_kernelINS1_34wrapped_radix_sort_onesweep_configINS0_14default_configEdN2at4cuda3cub6detail10OpaqueTypeILi8EEEEELb1EPdSC_PSA_SD_mNS0_19identity_decomposerEEEvT1_T2_T3_T4_jPT5_SK_PNS1_23onesweep_lookback_stateET6_jjj, .Lfunc_end150-_ZN7rocprim17ROCPRIM_304000_NS6detail25onesweep_iteration_kernelINS1_34wrapped_radix_sort_onesweep_configINS0_14default_configEdN2at4cuda3cub6detail10OpaqueTypeILi8EEEEELb1EPdSC_PSA_SD_mNS0_19identity_decomposerEEEvT1_T2_T3_T4_jPT5_SK_PNS1_23onesweep_lookback_stateET6_jjj
                                        ; -- End function
	.section	.AMDGPU.csdata,"",@progbits
; Kernel info:
; codeLenInByte = 12732
; NumSgprs: 58
; NumVgprs: 54
; NumAgprs: 0
; TotalNumVgprs: 54
; ScratchSize: 0
; MemoryBound: 0
; FloatMode: 240
; IeeeMode: 1
; LDSByteSize: 51200 bytes/workgroup (compile time only)
; SGPRBlocks: 7
; VGPRBlocks: 6
; NumSGPRsForWavesPerEU: 58
; NumVGPRsForWavesPerEU: 54
; AccumOffset: 56
; Occupancy: 4
; WaveLimiterHint : 1
; COMPUTE_PGM_RSRC2:SCRATCH_EN: 0
; COMPUTE_PGM_RSRC2:USER_SGPR: 6
; COMPUTE_PGM_RSRC2:TRAP_HANDLER: 0
; COMPUTE_PGM_RSRC2:TGID_X_EN: 1
; COMPUTE_PGM_RSRC2:TGID_Y_EN: 0
; COMPUTE_PGM_RSRC2:TGID_Z_EN: 0
; COMPUTE_PGM_RSRC2:TIDIG_COMP_CNT: 2
; COMPUTE_PGM_RSRC3_GFX90A:ACCUM_OFFSET: 13
; COMPUTE_PGM_RSRC3_GFX90A:TG_SPLIT: 0
	.section	.text._ZN7rocprim17ROCPRIM_304000_NS6detail28radix_sort_block_sort_kernelINS1_36wrapped_radix_sort_block_sort_configINS0_13kernel_configILj256ELj4ELj4294967295EEEdN2at4cuda3cub6detail10OpaqueTypeILi8EEEEELb0EPKdPdPKSB_PSB_NS0_19identity_decomposerEEEvT1_T2_T3_T4_jT5_jj,"axG",@progbits,_ZN7rocprim17ROCPRIM_304000_NS6detail28radix_sort_block_sort_kernelINS1_36wrapped_radix_sort_block_sort_configINS0_13kernel_configILj256ELj4ELj4294967295EEEdN2at4cuda3cub6detail10OpaqueTypeILi8EEEEELb0EPKdPdPKSB_PSB_NS0_19identity_decomposerEEEvT1_T2_T3_T4_jT5_jj,comdat
	.protected	_ZN7rocprim17ROCPRIM_304000_NS6detail28radix_sort_block_sort_kernelINS1_36wrapped_radix_sort_block_sort_configINS0_13kernel_configILj256ELj4ELj4294967295EEEdN2at4cuda3cub6detail10OpaqueTypeILi8EEEEELb0EPKdPdPKSB_PSB_NS0_19identity_decomposerEEEvT1_T2_T3_T4_jT5_jj ; -- Begin function _ZN7rocprim17ROCPRIM_304000_NS6detail28radix_sort_block_sort_kernelINS1_36wrapped_radix_sort_block_sort_configINS0_13kernel_configILj256ELj4ELj4294967295EEEdN2at4cuda3cub6detail10OpaqueTypeILi8EEEEELb0EPKdPdPKSB_PSB_NS0_19identity_decomposerEEEvT1_T2_T3_T4_jT5_jj
	.globl	_ZN7rocprim17ROCPRIM_304000_NS6detail28radix_sort_block_sort_kernelINS1_36wrapped_radix_sort_block_sort_configINS0_13kernel_configILj256ELj4ELj4294967295EEEdN2at4cuda3cub6detail10OpaqueTypeILi8EEEEELb0EPKdPdPKSB_PSB_NS0_19identity_decomposerEEEvT1_T2_T3_T4_jT5_jj
	.p2align	8
	.type	_ZN7rocprim17ROCPRIM_304000_NS6detail28radix_sort_block_sort_kernelINS1_36wrapped_radix_sort_block_sort_configINS0_13kernel_configILj256ELj4ELj4294967295EEEdN2at4cuda3cub6detail10OpaqueTypeILi8EEEEELb0EPKdPdPKSB_PSB_NS0_19identity_decomposerEEEvT1_T2_T3_T4_jT5_jj,@function
_ZN7rocprim17ROCPRIM_304000_NS6detail28radix_sort_block_sort_kernelINS1_36wrapped_radix_sort_block_sort_configINS0_13kernel_configILj256ELj4ELj4294967295EEEdN2at4cuda3cub6detail10OpaqueTypeILi8EEEEELb0EPKdPdPKSB_PSB_NS0_19identity_decomposerEEEvT1_T2_T3_T4_jT5_jj: ; @_ZN7rocprim17ROCPRIM_304000_NS6detail28radix_sort_block_sort_kernelINS1_36wrapped_radix_sort_block_sort_configINS0_13kernel_configILj256ELj4ELj4294967295EEEdN2at4cuda3cub6detail10OpaqueTypeILi8EEEEELb0EPKdPdPKSB_PSB_NS0_19identity_decomposerEEEvT1_T2_T3_T4_jT5_jj
; %bb.0:
	s_load_dword s7, s[4:5], 0x20
	s_load_dwordx8 s[36:43], s[4:5], 0x0
	s_lshl_b32 s0, s6, 10
	s_mov_b32 s1, 0
	v_mbcnt_lo_u32_b32 v1, -1, 0
	s_waitcnt lgkmcnt(0)
	s_lshr_b32 s2, s7, 10
	s_cmp_lg_u32 s6, s2
	s_cselect_b64 s[30:31], -1, 0
	s_lshl_b64 s[28:29], s[0:1], 3
	v_and_b32_e32 v10, 0x3ff, v0
	s_add_u32 s1, s36, s28
	v_mbcnt_hi_u32_b32 v1, -1, v1
	s_addc_u32 s3, s37, s29
	v_lshlrev_b32_e32 v14, 2, v10
	v_lshlrev_b32_e32 v18, 3, v1
	v_and_b32_e32 v15, 0x300, v14
	v_mov_b32_e32 v2, s3
	v_add_co_u32_e32 v3, vcc, s1, v18
	v_addc_co_u32_e32 v2, vcc, 0, v2, vcc
	v_lshlrev_b32_e32 v19, 3, v15
	v_add_co_u32_e32 v12, vcc, v3, v19
	s_cmp_eq_u32 s6, s2
	v_addc_co_u32_e32 v13, vcc, 0, v2, vcc
	v_add_u32_e32 v11, v1, v15
	s_cbranch_scc1 .LBB151_2
; %bb.1:
	s_add_u32 s1, s40, s28
	s_addc_u32 s2, s41, s29
	v_mov_b32_e32 v16, s2
	v_add_co_u32_e32 v17, vcc, s1, v18
	v_addc_co_u32_e32 v20, vcc, 0, v16, vcc
	v_add_co_u32_e32 v16, vcc, v17, v19
	v_addc_co_u32_e32 v17, vcc, 0, v20, vcc
	global_load_dwordx2 v[2:3], v[12:13], off
	global_load_dwordx2 v[4:5], v[12:13], off offset:512
	global_load_dwordx2 v[6:7], v[12:13], off offset:1024
	;; [unrolled: 1-line block ×3, first 2 shown]
	global_load_dwordx2 v[28:29], v[16:17], off
	global_load_dwordx2 v[30:31], v[16:17], off offset:512
	global_load_dwordx2 v[32:33], v[16:17], off offset:1024
	;; [unrolled: 1-line block ×3, first 2 shown]
	v_add_u32_e32 v20, v1, v15
	v_add_u32_e32 v15, 64, v20
	;; [unrolled: 1-line block ×4, first 2 shown]
	s_sub_i32 s33, s7, s0
	s_cbranch_execz .LBB151_3
	s_branch .LBB151_17
.LBB151_2:
                                        ; implicit-def: $vgpr2_vgpr3_vgpr4_vgpr5_vgpr6_vgpr7_vgpr8_vgpr9
                                        ; implicit-def: $vgpr28_vgpr29
                                        ; implicit-def: $vgpr30_vgpr31
                                        ; implicit-def: $vgpr32_vgpr33
                                        ; implicit-def: $vgpr34_vgpr35
                                        ; implicit-def: $vgpr20
                                        ; implicit-def: $vgpr15
                                        ; implicit-def: $vgpr16
                                        ; implicit-def: $vgpr17
	s_sub_i32 s33, s7, s0
.LBB151_3:
	s_brev_b32 s9, -2
	s_mov_b32 s8, -1
	s_mov_b32 s10, s8
	s_mov_b32 s11, s9
	;; [unrolled: 1-line block ×6, first 2 shown]
	s_waitcnt vmcnt(4)
	v_pk_mov_b32 v[2:3], s[8:9], s[8:9] op_sel:[0,1]
	v_cmp_gt_u32_e32 vcc, s33, v11
	v_pk_mov_b32 v[4:5], s[10:11], s[10:11] op_sel:[0,1]
	v_pk_mov_b32 v[6:7], s[12:13], s[12:13] op_sel:[0,1]
	;; [unrolled: 1-line block ×3, first 2 shown]
	s_and_saveexec_b64 s[0:1], vcc
	s_cbranch_execz .LBB151_5
; %bb.4:
	global_load_dwordx2 v[2:3], v[12:13], off
	v_mov_b32_e32 v4, -1
	v_bfrev_b32_e32 v5, -2
	v_mov_b32_e32 v6, v4
	v_mov_b32_e32 v7, v5
	;; [unrolled: 1-line block ×4, first 2 shown]
.LBB151_5:
	s_or_b64 exec, exec, s[0:1]
	v_add_u32_e32 v15, 64, v11
	v_cmp_gt_u32_e64 s[0:1], s33, v15
	s_and_saveexec_b64 s[2:3], s[0:1]
	s_cbranch_execz .LBB151_7
; %bb.6:
	global_load_dwordx2 v[4:5], v[12:13], off offset:512
.LBB151_7:
	s_or_b64 exec, exec, s[2:3]
	v_add_u32_e32 v16, 0x80, v11
	v_cmp_gt_u32_e64 s[2:3], s33, v16
	s_and_saveexec_b64 s[6:7], s[2:3]
	s_cbranch_execz .LBB151_9
; %bb.8:
	global_load_dwordx2 v[6:7], v[12:13], off offset:1024
.LBB151_9:
	;; [unrolled: 8-line block ×3, first 2 shown]
	s_or_b64 exec, exec, s[8:9]
	s_add_u32 s8, s40, s28
	s_addc_u32 s9, s41, s29
	v_mov_b32_e32 v12, s9
	v_add_co_u32_e64 v13, s[8:9], s8, v18
	v_addc_co_u32_e64 v18, s[8:9], 0, v12, s[8:9]
	v_add_co_u32_e64 v12, s[8:9], v13, v19
	v_addc_co_u32_e64 v13, s[8:9], 0, v18, s[8:9]
                                        ; implicit-def: $vgpr28_vgpr29
	s_and_saveexec_b64 s[8:9], vcc
	s_cbranch_execnz .LBB151_54
; %bb.12:
	s_or_b64 exec, exec, s[8:9]
                                        ; implicit-def: $vgpr30_vgpr31
	s_and_saveexec_b64 s[8:9], s[0:1]
	s_cbranch_execnz .LBB151_55
.LBB151_13:
	s_or_b64 exec, exec, s[8:9]
                                        ; implicit-def: $vgpr32_vgpr33
	s_and_saveexec_b64 s[0:1], s[2:3]
	s_cbranch_execnz .LBB151_56
.LBB151_14:
	s_or_b64 exec, exec, s[0:1]
                                        ; implicit-def: $vgpr34_vgpr35
	s_and_saveexec_b64 s[0:1], s[6:7]
	s_cbranch_execz .LBB151_16
.LBB151_15:
	global_load_dwordx2 v[34:35], v[12:13], off offset:1536
.LBB151_16:
	s_or_b64 exec, exec, s[0:1]
	v_mov_b32_e32 v20, v11
.LBB151_17:
	s_load_dwordx2 s[34:35], s[4:5], 0x28
	s_load_dword s0, s[4:5], 0x3c
	v_bfrev_b32_e32 v11, 1
	s_waitcnt vmcnt(0)
	v_cmp_lt_i64_e32 vcc, -1, v[2:3]
	v_cndmask_b32_e32 v12, -1, v11, vcc
	v_ashrrev_i32_e32 v13, 31, v3
	v_cmp_lt_i64_e32 vcc, -1, v[4:5]
	v_xor_b32_e32 v3, v12, v3
	v_xor_b32_e32 v2, v13, v2
	v_cndmask_b32_e32 v12, -1, v11, vcc
	v_ashrrev_i32_e32 v13, 31, v5
	v_cmp_lt_i64_e32 vcc, -1, v[6:7]
	v_xor_b32_e32 v36, v13, v4
	v_cndmask_b32_e32 v4, -1, v11, vcc
	v_cmp_lt_i64_e32 vcc, -1, v[8:9]
	v_xor_b32_e32 v39, v4, v7
	v_cndmask_b32_e32 v4, -1, v11, vcc
	v_xor_b32_e32 v37, v12, v5
	v_ashrrev_i32_e32 v5, 31, v7
	v_xor_b32_e32 v41, v4, v9
	s_waitcnt lgkmcnt(0)
	s_lshr_b32 s1, s0, 16
	v_bfe_u32 v4, v0, 10, 10
	v_bfe_u32 v0, v0, 20, 10
	v_xor_b32_e32 v38, v5, v6
	v_ashrrev_i32_e32 v5, 31, v9
	s_and_b32 s0, s0, 0xffff
	v_mad_u32_u24 v0, v0, s1, v4
	v_xor_b32_e32 v40, v5, v8
	v_mad_u64_u32 v[4:5], s[0:1], v0, s0, v[10:11]
	v_and_b32_e32 v0, 15, v1
	v_cmp_eq_u32_e64 s[0:1], 0, v0
	v_cmp_lt_u32_e64 s[2:3], 1, v0
	v_cmp_lt_u32_e64 s[4:5], 3, v0
	;; [unrolled: 1-line block ×3, first 2 shown]
	v_and_b32_e32 v0, 16, v1
	v_cmp_eq_u32_e64 s[8:9], 0, v0
	v_and_b32_e32 v0, 0x3c0, v10
	v_min_u32_e32 v0, 0xc0, v0
	v_or_b32_e32 v0, 63, v0
	v_lshrrev_b32_e32 v43, 6, v4
	v_cmp_eq_u32_e64 s[12:13], v0, v10
	v_add_u32_e32 v0, -1, v1
	v_and_b32_e32 v4, 64, v1
	v_cmp_lt_i32_e32 vcc, v0, v4
	v_cndmask_b32_e32 v0, v0, v1, vcc
	s_mov_b32 s26, 0
	v_lshlrev_b32_e32 v44, 2, v0
	v_lshrrev_b32_e32 v0, 4, v10
	s_mov_b32 s36, -1
	v_lshlrev_b32_e32 v42, 2, v14
	v_cmp_lt_u32_e64 s[10:11], 31, v1
	v_cmp_eq_u32_e64 s[18:19], 0, v1
	v_and_b32_e32 v45, 60, v0
	v_mul_i32_i24_e32 v0, -12, v10
	v_and_b32_e32 v1, 3, v1
	s_mov_b32 s27, s26
	s_mov_b32 s44, s26
	;; [unrolled: 1-line block ×3, first 2 shown]
	s_brev_b32 s37, -2
	s_add_i32 s40, s35, s34
	v_cmp_gt_u32_e64 s[14:15], 4, v10
	v_cmp_lt_u32_e64 s[16:17], 63, v10
	v_cmp_eq_u32_e64 s[20:21], 0, v10
	v_cmp_eq_u32_e64 s[22:23], 0, v1
	v_cmp_lt_u32_e64 s[24:25], 1, v1
	v_add_u32_e32 v46, -4, v45
	v_lshlrev_b32_e32 v47, 3, v20
	v_lshlrev_b32_e32 v48, 3, v15
	;; [unrolled: 1-line block ×4, first 2 shown]
	v_add_u32_e32 v51, v42, v0
	v_pk_mov_b32 v[14:15], s[26:27], s[26:27] op_sel:[0,1]
	v_pk_mov_b32 v[16:17], s[44:45], s[44:45] op_sel:[0,1]
	v_mov_b32_e32 v18, 0
	s_branch .LBB151_19
.LBB151_18:                             ;   in Loop: Header=BB151_19 Depth=1
	s_barrier
	ds_write_b64 v0, v[26:27]
	ds_write_b64 v1, v[24:25]
	;; [unrolled: 1-line block ×4, first 2 shown]
	s_waitcnt lgkmcnt(0)
	s_barrier
	ds_read_b64 v[2:3], v47
	ds_read_b64 v[36:37], v48
	;; [unrolled: 1-line block ×4, first 2 shown]
	s_waitcnt lgkmcnt(0)
	s_barrier
	ds_write_b64 v0, v[12:13]
	ds_write_b64 v1, v[8:9]
	;; [unrolled: 1-line block ×4, first 2 shown]
	s_waitcnt lgkmcnt(0)
	s_barrier
	ds_read_b64 v[28:29], v47
	ds_read_b64 v[30:31], v48
	;; [unrolled: 1-line block ×4, first 2 shown]
	s_add_i32 s35, s35, -8
	s_waitcnt lgkmcnt(0)
	s_barrier
	s_cbranch_execz .LBB151_35
.LBB151_19:                             ; =>This Inner Loop Header: Depth=1
	v_pk_mov_b32 v[26:27], v[2:3], v[2:3] op_sel:[0,1]
	s_min_u32 s26, s35, 8
	v_cmp_ne_u64_e32 vcc, s[36:37], v[26:27]
	s_lshl_b32 s26, -1, s26
	v_cndmask_b32_e32 v1, v11, v27, vcc
	v_cndmask_b32_e32 v0, 0, v26, vcc
	s_not_b32 s41, s26
	v_lshrrev_b64 v[0:1], s34, v[0:1]
	v_and_b32_e32 v0, s41, v0
	v_lshl_add_u32 v1, v0, 2, v43
	v_pk_mov_b32 v[12:13], v[28:29], v[28:29] op_sel:[0,1]
	v_lshl_add_u32 v28, v1, 2, 16
	v_and_b32_e32 v1, 1, v0
	v_add_co_u32_e32 v2, vcc, -1, v1
	v_addc_co_u32_e64 v3, s[26:27], 0, -1, vcc
	v_cmp_ne_u32_e32 vcc, 0, v1
	v_lshlrev_b32_e32 v19, 30, v0
	v_xor_b32_e32 v1, vcc_hi, v3
	v_not_b32_e32 v3, v19
	v_xor_b32_e32 v2, vcc_lo, v2
	v_cmp_gt_i64_e32 vcc, 0, v[18:19]
	v_ashrrev_i32_e32 v3, 31, v3
	v_and_b32_e32 v1, exec_hi, v1
	v_xor_b32_e32 v19, vcc_hi, v3
	v_and_b32_e32 v2, exec_lo, v2
	v_xor_b32_e32 v3, vcc_lo, v3
	v_and_b32_e32 v1, v1, v19
	v_lshlrev_b32_e32 v19, 29, v0
	v_and_b32_e32 v2, v2, v3
	v_not_b32_e32 v3, v19
	v_cmp_gt_i64_e32 vcc, 0, v[18:19]
	v_ashrrev_i32_e32 v3, 31, v3
	v_xor_b32_e32 v19, vcc_hi, v3
	v_xor_b32_e32 v3, vcc_lo, v3
	v_and_b32_e32 v1, v1, v19
	v_lshlrev_b32_e32 v19, 28, v0
	v_and_b32_e32 v2, v2, v3
	v_not_b32_e32 v3, v19
	v_cmp_gt_i64_e32 vcc, 0, v[18:19]
	v_ashrrev_i32_e32 v3, 31, v3
	v_xor_b32_e32 v19, vcc_hi, v3
	;; [unrolled: 8-line block ×5, first 2 shown]
	v_and_b32_e32 v1, v1, v19
	v_lshlrev_b32_e32 v19, 24, v0
	v_not_b32_e32 v0, v19
	v_xor_b32_e32 v3, vcc_lo, v3
	v_cmp_gt_i64_e32 vcc, 0, v[18:19]
	v_ashrrev_i32_e32 v0, 31, v0
	v_and_b32_e32 v2, v2, v3
	v_xor_b32_e32 v3, vcc_hi, v0
	v_xor_b32_e32 v0, vcc_lo, v0
	v_and_b32_e32 v0, v2, v0
	v_and_b32_e32 v1, v1, v3
	v_mbcnt_lo_u32_b32 v2, v0, 0
	v_mbcnt_hi_u32_b32 v29, v1, v2
	v_cmp_eq_u32_e32 vcc, 0, v29
	v_cmp_ne_u64_e64 s[26:27], 0, v[0:1]
	v_pk_mov_b32 v[20:21], v[40:41], v[40:41] op_sel:[0,1]
	v_pk_mov_b32 v[22:23], v[38:39], v[38:39] op_sel:[0,1]
	;; [unrolled: 1-line block ×6, first 2 shown]
	s_and_b64 s[44:45], s[26:27], vcc
	ds_write2_b64 v42, v[14:15], v[16:17] offset0:2 offset1:3
	s_waitcnt lgkmcnt(0)
	s_barrier
	s_waitcnt lgkmcnt(0)
	; wave barrier
	s_and_saveexec_b64 s[26:27], s[44:45]
	s_cbranch_execz .LBB151_21
; %bb.20:                               ;   in Loop: Header=BB151_19 Depth=1
	v_bcnt_u32_b32 v0, v0, 0
	v_bcnt_u32_b32 v0, v1, v0
	ds_write_b32 v28, v0
.LBB151_21:                             ;   in Loop: Header=BB151_19 Depth=1
	s_or_b64 exec, exec, s[26:27]
	v_cmp_ne_u64_e32 vcc, s[36:37], v[24:25]
	v_cndmask_b32_e32 v1, v11, v25, vcc
	v_cndmask_b32_e32 v0, 0, v24, vcc
	v_lshrrev_b64 v[0:1], s34, v[0:1]
	v_and_b32_e32 v0, s41, v0
	v_lshlrev_b32_e32 v1, 2, v0
	v_add_lshl_u32 v1, v1, v43, 2
	; wave barrier
	v_add_u32_e32 v31, 16, v1
	ds_read_b32 v30, v1 offset:16
	v_and_b32_e32 v1, 1, v0
	v_add_co_u32_e32 v2, vcc, -1, v1
	v_addc_co_u32_e64 v3, s[26:27], 0, -1, vcc
	v_cmp_ne_u32_e32 vcc, 0, v1
	v_lshlrev_b32_e32 v19, 30, v0
	v_xor_b32_e32 v1, vcc_hi, v3
	v_not_b32_e32 v3, v19
	v_xor_b32_e32 v2, vcc_lo, v2
	v_cmp_gt_i64_e32 vcc, 0, v[18:19]
	v_ashrrev_i32_e32 v3, 31, v3
	v_and_b32_e32 v1, exec_hi, v1
	v_xor_b32_e32 v19, vcc_hi, v3
	v_and_b32_e32 v2, exec_lo, v2
	v_xor_b32_e32 v3, vcc_lo, v3
	v_and_b32_e32 v1, v1, v19
	v_lshlrev_b32_e32 v19, 29, v0
	v_and_b32_e32 v2, v2, v3
	v_not_b32_e32 v3, v19
	v_cmp_gt_i64_e32 vcc, 0, v[18:19]
	v_ashrrev_i32_e32 v3, 31, v3
	v_xor_b32_e32 v19, vcc_hi, v3
	v_xor_b32_e32 v3, vcc_lo, v3
	v_and_b32_e32 v1, v1, v19
	v_lshlrev_b32_e32 v19, 28, v0
	v_and_b32_e32 v2, v2, v3
	v_not_b32_e32 v3, v19
	v_cmp_gt_i64_e32 vcc, 0, v[18:19]
	v_ashrrev_i32_e32 v3, 31, v3
	v_xor_b32_e32 v19, vcc_hi, v3
	;; [unrolled: 8-line block ×5, first 2 shown]
	v_and_b32_e32 v1, v1, v19
	v_lshlrev_b32_e32 v19, 24, v0
	v_not_b32_e32 v0, v19
	v_xor_b32_e32 v3, vcc_lo, v3
	v_cmp_gt_i64_e32 vcc, 0, v[18:19]
	v_ashrrev_i32_e32 v0, 31, v0
	v_and_b32_e32 v2, v2, v3
	v_xor_b32_e32 v3, vcc_hi, v0
	v_xor_b32_e32 v0, vcc_lo, v0
	v_and_b32_e32 v0, v2, v0
	v_and_b32_e32 v1, v1, v3
	v_mbcnt_lo_u32_b32 v2, v0, 0
	v_mbcnt_hi_u32_b32 v32, v1, v2
	v_cmp_eq_u32_e32 vcc, 0, v32
	v_cmp_ne_u64_e64 s[26:27], 0, v[0:1]
	s_and_b64 s[44:45], s[26:27], vcc
	; wave barrier
	s_and_saveexec_b64 s[26:27], s[44:45]
	s_cbranch_execz .LBB151_23
; %bb.22:                               ;   in Loop: Header=BB151_19 Depth=1
	v_bcnt_u32_b32 v0, v0, 0
	v_bcnt_u32_b32 v0, v1, v0
	s_waitcnt lgkmcnt(0)
	v_add_u32_e32 v0, v30, v0
	ds_write_b32 v31, v0
.LBB151_23:                             ;   in Loop: Header=BB151_19 Depth=1
	s_or_b64 exec, exec, s[26:27]
	v_cmp_ne_u64_e32 vcc, s[36:37], v[22:23]
	v_cndmask_b32_e32 v1, v11, v23, vcc
	v_cndmask_b32_e32 v0, 0, v22, vcc
	v_lshrrev_b64 v[0:1], s34, v[0:1]
	v_and_b32_e32 v0, s41, v0
	v_lshlrev_b32_e32 v1, 2, v0
	v_add_lshl_u32 v1, v1, v43, 2
	; wave barrier
	v_add_u32_e32 v34, 16, v1
	ds_read_b32 v33, v1 offset:16
	v_and_b32_e32 v1, 1, v0
	v_add_co_u32_e32 v2, vcc, -1, v1
	v_addc_co_u32_e64 v3, s[26:27], 0, -1, vcc
	v_cmp_ne_u32_e32 vcc, 0, v1
	v_lshlrev_b32_e32 v19, 30, v0
	v_xor_b32_e32 v1, vcc_hi, v3
	v_not_b32_e32 v3, v19
	v_xor_b32_e32 v2, vcc_lo, v2
	v_cmp_gt_i64_e32 vcc, 0, v[18:19]
	v_ashrrev_i32_e32 v3, 31, v3
	v_and_b32_e32 v1, exec_hi, v1
	v_xor_b32_e32 v19, vcc_hi, v3
	v_and_b32_e32 v2, exec_lo, v2
	v_xor_b32_e32 v3, vcc_lo, v3
	v_and_b32_e32 v1, v1, v19
	v_lshlrev_b32_e32 v19, 29, v0
	v_and_b32_e32 v2, v2, v3
	v_not_b32_e32 v3, v19
	v_cmp_gt_i64_e32 vcc, 0, v[18:19]
	v_ashrrev_i32_e32 v3, 31, v3
	v_xor_b32_e32 v19, vcc_hi, v3
	v_xor_b32_e32 v3, vcc_lo, v3
	v_and_b32_e32 v1, v1, v19
	v_lshlrev_b32_e32 v19, 28, v0
	v_and_b32_e32 v2, v2, v3
	v_not_b32_e32 v3, v19
	v_cmp_gt_i64_e32 vcc, 0, v[18:19]
	v_ashrrev_i32_e32 v3, 31, v3
	v_xor_b32_e32 v19, vcc_hi, v3
	;; [unrolled: 8-line block ×5, first 2 shown]
	v_and_b32_e32 v1, v1, v19
	v_lshlrev_b32_e32 v19, 24, v0
	v_not_b32_e32 v0, v19
	v_xor_b32_e32 v3, vcc_lo, v3
	v_cmp_gt_i64_e32 vcc, 0, v[18:19]
	v_ashrrev_i32_e32 v0, 31, v0
	v_and_b32_e32 v2, v2, v3
	v_xor_b32_e32 v3, vcc_hi, v0
	v_xor_b32_e32 v0, vcc_lo, v0
	v_and_b32_e32 v0, v2, v0
	v_and_b32_e32 v1, v1, v3
	v_mbcnt_lo_u32_b32 v2, v0, 0
	v_mbcnt_hi_u32_b32 v35, v1, v2
	v_cmp_eq_u32_e32 vcc, 0, v35
	v_cmp_ne_u64_e64 s[26:27], 0, v[0:1]
	s_and_b64 s[44:45], s[26:27], vcc
	; wave barrier
	s_and_saveexec_b64 s[26:27], s[44:45]
	s_cbranch_execz .LBB151_25
; %bb.24:                               ;   in Loop: Header=BB151_19 Depth=1
	v_bcnt_u32_b32 v0, v0, 0
	v_bcnt_u32_b32 v0, v1, v0
	s_waitcnt lgkmcnt(0)
	v_add_u32_e32 v0, v33, v0
	ds_write_b32 v34, v0
.LBB151_25:                             ;   in Loop: Header=BB151_19 Depth=1
	s_or_b64 exec, exec, s[26:27]
	v_cmp_ne_u64_e32 vcc, s[36:37], v[20:21]
	v_cndmask_b32_e32 v1, v11, v21, vcc
	v_cndmask_b32_e32 v0, 0, v20, vcc
	v_lshrrev_b64 v[0:1], s34, v[0:1]
	v_and_b32_e32 v0, s41, v0
	v_lshlrev_b32_e32 v1, 2, v0
	v_add_lshl_u32 v1, v1, v43, 2
	; wave barrier
	v_add_u32_e32 v37, 16, v1
	ds_read_b32 v36, v1 offset:16
	v_and_b32_e32 v1, 1, v0
	v_add_co_u32_e32 v2, vcc, -1, v1
	v_addc_co_u32_e64 v3, s[26:27], 0, -1, vcc
	v_cmp_ne_u32_e32 vcc, 0, v1
	v_lshlrev_b32_e32 v19, 30, v0
	v_xor_b32_e32 v1, vcc_hi, v3
	v_not_b32_e32 v3, v19
	v_xor_b32_e32 v2, vcc_lo, v2
	v_cmp_gt_i64_e32 vcc, 0, v[18:19]
	v_ashrrev_i32_e32 v3, 31, v3
	v_and_b32_e32 v1, exec_hi, v1
	v_xor_b32_e32 v19, vcc_hi, v3
	v_and_b32_e32 v2, exec_lo, v2
	v_xor_b32_e32 v3, vcc_lo, v3
	v_and_b32_e32 v1, v1, v19
	v_lshlrev_b32_e32 v19, 29, v0
	v_and_b32_e32 v2, v2, v3
	v_not_b32_e32 v3, v19
	v_cmp_gt_i64_e32 vcc, 0, v[18:19]
	v_ashrrev_i32_e32 v3, 31, v3
	v_xor_b32_e32 v19, vcc_hi, v3
	v_xor_b32_e32 v3, vcc_lo, v3
	v_and_b32_e32 v1, v1, v19
	v_lshlrev_b32_e32 v19, 28, v0
	v_and_b32_e32 v2, v2, v3
	v_not_b32_e32 v3, v19
	v_cmp_gt_i64_e32 vcc, 0, v[18:19]
	v_ashrrev_i32_e32 v3, 31, v3
	v_xor_b32_e32 v19, vcc_hi, v3
	;; [unrolled: 8-line block ×5, first 2 shown]
	v_and_b32_e32 v1, v1, v19
	v_lshlrev_b32_e32 v19, 24, v0
	v_not_b32_e32 v0, v19
	v_xor_b32_e32 v3, vcc_lo, v3
	v_cmp_gt_i64_e32 vcc, 0, v[18:19]
	v_ashrrev_i32_e32 v0, 31, v0
	v_and_b32_e32 v2, v2, v3
	v_xor_b32_e32 v3, vcc_hi, v0
	v_xor_b32_e32 v0, vcc_lo, v0
	v_and_b32_e32 v0, v2, v0
	v_and_b32_e32 v1, v1, v3
	v_mbcnt_lo_u32_b32 v2, v0, 0
	v_mbcnt_hi_u32_b32 v19, v1, v2
	v_cmp_eq_u32_e32 vcc, 0, v19
	v_cmp_ne_u64_e64 s[26:27], 0, v[0:1]
	s_and_b64 s[44:45], s[26:27], vcc
	; wave barrier
	s_and_saveexec_b64 s[26:27], s[44:45]
	s_cbranch_execz .LBB151_27
; %bb.26:                               ;   in Loop: Header=BB151_19 Depth=1
	v_bcnt_u32_b32 v0, v0, 0
	v_bcnt_u32_b32 v0, v1, v0
	s_waitcnt lgkmcnt(0)
	v_add_u32_e32 v0, v36, v0
	ds_write_b32 v37, v0
.LBB151_27:                             ;   in Loop: Header=BB151_19 Depth=1
	s_or_b64 exec, exec, s[26:27]
	; wave barrier
	s_waitcnt lgkmcnt(0)
	s_barrier
	ds_read2_b64 v[0:3], v42 offset0:2 offset1:3
	s_waitcnt lgkmcnt(0)
	v_add_u32_e32 v38, v1, v0
	v_add3_u32 v3, v38, v2, v3
	s_nop 1
	v_mov_b32_dpp v38, v3 row_shr:1 row_mask:0xf bank_mask:0xf
	v_cndmask_b32_e64 v38, v38, 0, s[0:1]
	v_add_u32_e32 v3, v38, v3
	s_nop 1
	v_mov_b32_dpp v38, v3 row_shr:2 row_mask:0xf bank_mask:0xf
	v_cndmask_b32_e64 v38, 0, v38, s[2:3]
	v_add_u32_e32 v3, v3, v38
	;; [unrolled: 4-line block ×4, first 2 shown]
	s_nop 1
	v_mov_b32_dpp v38, v3 row_bcast:15 row_mask:0xf bank_mask:0xf
	v_cndmask_b32_e64 v38, v38, 0, s[8:9]
	v_add_u32_e32 v3, v3, v38
	s_nop 1
	v_mov_b32_dpp v38, v3 row_bcast:31 row_mask:0xf bank_mask:0xf
	v_cndmask_b32_e64 v38, 0, v38, s[10:11]
	v_add_u32_e32 v3, v3, v38
	s_and_saveexec_b64 s[26:27], s[12:13]
	s_cbranch_execz .LBB151_29
; %bb.28:                               ;   in Loop: Header=BB151_19 Depth=1
	ds_write_b32 v45, v3
.LBB151_29:                             ;   in Loop: Header=BB151_19 Depth=1
	s_or_b64 exec, exec, s[26:27]
	s_waitcnt lgkmcnt(0)
	s_barrier
	s_and_saveexec_b64 s[26:27], s[14:15]
	s_cbranch_execz .LBB151_31
; %bb.30:                               ;   in Loop: Header=BB151_19 Depth=1
	ds_read_b32 v38, v51
	s_waitcnt lgkmcnt(0)
	s_nop 0
	v_mov_b32_dpp v39, v38 row_shr:1 row_mask:0xf bank_mask:0xf
	v_cndmask_b32_e64 v39, v39, 0, s[22:23]
	v_add_u32_e32 v38, v39, v38
	s_nop 1
	v_mov_b32_dpp v39, v38 row_shr:2 row_mask:0xf bank_mask:0xf
	v_cndmask_b32_e64 v39, 0, v39, s[24:25]
	v_add_u32_e32 v38, v38, v39
	ds_write_b32 v51, v38
.LBB151_31:                             ;   in Loop: Header=BB151_19 Depth=1
	s_or_b64 exec, exec, s[26:27]
	v_mov_b32_e32 v38, 0
	s_waitcnt lgkmcnt(0)
	s_barrier
	s_and_saveexec_b64 s[26:27], s[16:17]
	s_cbranch_execz .LBB151_33
; %bb.32:                               ;   in Loop: Header=BB151_19 Depth=1
	ds_read_b32 v38, v46
.LBB151_33:                             ;   in Loop: Header=BB151_19 Depth=1
	s_or_b64 exec, exec, s[26:27]
	s_waitcnt lgkmcnt(0)
	v_add_u32_e32 v3, v38, v3
	ds_bpermute_b32 v3, v44, v3
	s_add_i32 s34, s34, 8
	s_cmp_ge_u32 s34, s40
	s_waitcnt lgkmcnt(0)
	v_cndmask_b32_e64 v3, v3, v38, s[18:19]
	v_cndmask_b32_e64 v38, v3, 0, s[20:21]
	v_add_u32_e32 v39, v38, v0
	v_add_u32_e32 v0, v39, v1
	;; [unrolled: 1-line block ×3, first 2 shown]
	ds_write2_b64 v42, v[38:39], v[0:1] offset0:2 offset1:3
	s_waitcnt lgkmcnt(0)
	s_barrier
	ds_read_b32 v0, v28
	ds_read_b32 v1, v31
	;; [unrolled: 1-line block ×4, first 2 shown]
	v_lshlrev_b32_e32 v28, 3, v29
	s_waitcnt lgkmcnt(3)
	v_lshl_add_u32 v0, v0, 3, v28
	v_lshlrev_b32_e32 v28, 3, v32
	v_lshlrev_b32_e32 v29, 3, v30
	s_waitcnt lgkmcnt(2)
	v_lshlrev_b32_e32 v1, 3, v1
	v_add3_u32 v1, v28, v29, v1
	v_lshlrev_b32_e32 v28, 3, v35
	v_lshlrev_b32_e32 v29, 3, v33
	s_waitcnt lgkmcnt(1)
	v_lshlrev_b32_e32 v2, 3, v2
	v_add3_u32 v52, v28, v29, v2
	;; [unrolled: 5-line block ×3, first 2 shown]
	s_cbranch_scc0 .LBB151_18
; %bb.34:
                                        ; implicit-def: $vgpr40_vgpr41
                                        ; implicit-def: $vgpr38_vgpr39
                                        ; implicit-def: $vgpr36_vgpr37
                                        ; implicit-def: $vgpr2_vgpr3
                                        ; implicit-def: $sgpr34
                                        ; implicit-def: $vgpr28_vgpr29
                                        ; implicit-def: $vgpr30_vgpr31
                                        ; implicit-def: $vgpr32_vgpr33
                                        ; implicit-def: $vgpr34_vgpr35
.LBB151_35:
	v_lshlrev_b32_e32 v11, 3, v10
	s_barrier
	ds_write_b64 v0, v[26:27]
	ds_write_b64 v1, v[24:25]
	ds_write_b64 v52, v[22:23]
	ds_write_b64 v19, v[20:21]
	s_waitcnt lgkmcnt(0)
	s_barrier
	ds_read2st64_b64 v[14:17], v11 offset1:4
	ds_read2st64_b64 v[20:23], v11 offset0:8 offset1:12
	s_waitcnt lgkmcnt(0)
	s_barrier
	ds_write_b64 v0, v[12:13]
	ds_write_b64 v1, v[8:9]
	;; [unrolled: 1-line block ×4, first 2 shown]
	v_bfrev_b32_e32 v8, 1
	v_cmp_lt_i64_e32 vcc, -1, v[14:15]
	v_cndmask_b32_e64 v9, v8, -1, vcc
	v_ashrrev_i32_e32 v12, 31, v15
	v_cmp_lt_i64_e32 vcc, -1, v[16:17]
	v_not_b32_e32 v12, v12
	v_xor_b32_e32 v19, v9, v15
	v_cndmask_b32_e64 v9, v8, -1, vcc
	v_cmp_lt_i64_e32 vcc, -1, v[20:21]
	v_xor_b32_e32 v18, v12, v14
	v_ashrrev_i32_e32 v12, 31, v17
	v_xor_b32_e32 v17, v9, v17
	v_cndmask_b32_e64 v9, v8, -1, vcc
	s_waitcnt lgkmcnt(0)
	s_barrier
	ds_read2st64_b64 v[4:7], v11 offset1:4
	ds_read2st64_b64 v[0:3], v11 offset0:8 offset1:12
	v_xor_b32_e32 v13, v9, v21
	v_cmp_lt_i64_e32 vcc, -1, v[22:23]
	v_ashrrev_i32_e32 v9, 31, v23
	s_add_u32 s2, s38, s28
	v_not_b32_e32 v12, v12
	v_cndmask_b32_e64 v8, v8, -1, vcc
	v_not_b32_e32 v14, v9
	s_addc_u32 s3, s39, s29
	v_xor_b32_e32 v16, v12, v16
	v_ashrrev_i32_e32 v12, 31, v21
	v_xor_b32_e32 v9, v8, v23
	v_xor_b32_e32 v8, v14, v22
	v_mov_b32_e32 v15, s3
	v_add_co_u32_e32 v14, vcc, s2, v11
	v_not_b32_e32 v12, v12
	v_addc_co_u32_e32 v15, vcc, 0, v15, vcc
	s_mov_b64 s[0:1], -1
	v_xor_b32_e32 v12, v12, v20
	s_andn2_b64 vcc, exec, s[30:31]
	s_mov_b64 s[6:7], 0
	s_cbranch_vccz .LBB151_39
; %bb.36:
	s_andn2_b64 vcc, exec, s[0:1]
	s_cbranch_vccz .LBB151_40
.LBB151_37:
	s_and_saveexec_b64 s[0:1], s[6:7]
	s_cbranch_execnz .LBB151_53
.LBB151_38:
	s_endpgm
.LBB151_39:
	v_add_co_u32_e32 v20, vcc, 0x1000, v14
	s_add_u32 s0, s42, s28
	v_addc_co_u32_e32 v21, vcc, 0, v15, vcc
	s_addc_u32 s1, s43, s29
	global_store_dwordx2 v[14:15], v[18:19], off
	global_store_dwordx2 v[14:15], v[16:17], off offset:2048
	global_store_dwordx2 v[20:21], v[12:13], off
	global_store_dwordx2 v[20:21], v[8:9], off offset:2048
	v_mov_b32_e32 v20, s1
	v_add_co_u32_e32 v21, vcc, s0, v11
	v_addc_co_u32_e32 v22, vcc, 0, v20, vcc
	v_add_co_u32_e32 v20, vcc, 0x1000, v21
	s_waitcnt lgkmcnt(1)
	global_store_dwordx2 v11, v[4:5], s[0:1]
	global_store_dwordx2 v11, v[6:7], s[0:1] offset:2048
	v_addc_co_u32_e32 v21, vcc, 0, v22, vcc
	s_mov_b64 s[6:7], -1
	s_waitcnt lgkmcnt(0)
	global_store_dwordx2 v[20:21], v[0:1], off
	s_cbranch_execnz .LBB151_37
.LBB151_40:
	v_cmp_gt_u32_e64 s[0:1], s33, v10
	s_and_saveexec_b64 s[2:3], s[0:1]
	s_cbranch_execz .LBB151_42
; %bb.41:
	global_store_dwordx2 v[14:15], v[18:19], off
.LBB151_42:
	s_or_b64 exec, exec, s[2:3]
	v_add_u32_e32 v18, 0x100, v10
	v_cmp_gt_u32_e64 s[2:3], s33, v18
	s_and_saveexec_b64 s[4:5], s[2:3]
	s_cbranch_execz .LBB151_44
; %bb.43:
	global_store_dwordx2 v[14:15], v[16:17], off offset:2048
.LBB151_44:
	s_or_b64 exec, exec, s[4:5]
	v_add_u32_e32 v16, 0x200, v10
	v_cmp_gt_u32_e64 s[4:5], s33, v16
	s_and_saveexec_b64 s[6:7], s[4:5]
	s_cbranch_execz .LBB151_46
; %bb.45:
	v_add_co_u32_e32 v16, vcc, 0x1000, v14
	v_addc_co_u32_e32 v17, vcc, 0, v15, vcc
	global_store_dwordx2 v[16:17], v[12:13], off
.LBB151_46:
	s_or_b64 exec, exec, s[6:7]
	v_add_u32_e32 v10, 0x300, v10
	v_cmp_gt_u32_e64 s[6:7], s33, v10
	s_and_saveexec_b64 s[8:9], s[6:7]
	s_cbranch_execz .LBB151_48
; %bb.47:
	v_add_co_u32_e32 v12, vcc, 0x1000, v14
	v_addc_co_u32_e32 v13, vcc, 0, v15, vcc
	global_store_dwordx2 v[12:13], v[8:9], off offset:2048
.LBB151_48:
	s_or_b64 exec, exec, s[8:9]
	s_add_u32 s8, s42, s28
	s_addc_u32 s9, s43, s29
	v_mov_b32_e32 v9, s9
	v_add_co_u32_e32 v8, vcc, s8, v11
	v_addc_co_u32_e32 v9, vcc, 0, v9, vcc
	s_and_saveexec_b64 s[8:9], s[0:1]
	s_cbranch_execnz .LBB151_57
; %bb.49:
	s_or_b64 exec, exec, s[8:9]
	s_and_saveexec_b64 s[0:1], s[2:3]
	s_cbranch_execnz .LBB151_58
.LBB151_50:
	s_or_b64 exec, exec, s[0:1]
	s_and_saveexec_b64 s[0:1], s[4:5]
	s_cbranch_execz .LBB151_52
.LBB151_51:
	s_waitcnt lgkmcnt(1)
	v_add_co_u32_e32 v4, vcc, 0x1000, v8
	v_addc_co_u32_e32 v5, vcc, 0, v9, vcc
	s_waitcnt lgkmcnt(0)
	global_store_dwordx2 v[4:5], v[0:1], off
.LBB151_52:
	s_or_b64 exec, exec, s[0:1]
	s_and_saveexec_b64 s[0:1], s[6:7]
	s_cbranch_execz .LBB151_38
.LBB151_53:
	s_add_u32 s0, s42, s28
	s_addc_u32 s1, s43, s29
	s_waitcnt lgkmcnt(0)
	v_mov_b32_e32 v0, s1
	v_add_co_u32_e32 v1, vcc, s0, v11
	v_addc_co_u32_e32 v4, vcc, 0, v0, vcc
	v_add_co_u32_e32 v0, vcc, 0x1000, v1
	v_addc_co_u32_e32 v1, vcc, 0, v4, vcc
	global_store_dwordx2 v[0:1], v[2:3], off offset:2048
	s_endpgm
.LBB151_54:
	global_load_dwordx2 v[28:29], v[12:13], off
	s_or_b64 exec, exec, s[8:9]
                                        ; implicit-def: $vgpr30_vgpr31
	s_and_saveexec_b64 s[8:9], s[0:1]
	s_cbranch_execz .LBB151_13
.LBB151_55:
	global_load_dwordx2 v[30:31], v[12:13], off offset:512
	s_or_b64 exec, exec, s[8:9]
                                        ; implicit-def: $vgpr32_vgpr33
	s_and_saveexec_b64 s[0:1], s[2:3]
	s_cbranch_execz .LBB151_14
.LBB151_56:
	global_load_dwordx2 v[32:33], v[12:13], off offset:1024
	s_or_b64 exec, exec, s[0:1]
                                        ; implicit-def: $vgpr34_vgpr35
	s_and_saveexec_b64 s[0:1], s[6:7]
	s_cbranch_execnz .LBB151_15
	s_branch .LBB151_16
.LBB151_57:
	s_waitcnt lgkmcnt(1)
	global_store_dwordx2 v[8:9], v[4:5], off
	s_or_b64 exec, exec, s[8:9]
	s_and_saveexec_b64 s[0:1], s[2:3]
	s_cbranch_execz .LBB151_50
.LBB151_58:
	s_waitcnt lgkmcnt(1)
	global_store_dwordx2 v[8:9], v[6:7], off offset:2048
	s_or_b64 exec, exec, s[0:1]
	s_and_saveexec_b64 s[0:1], s[4:5]
	s_cbranch_execnz .LBB151_51
	s_branch .LBB151_52
	.section	.rodata,"a",@progbits
	.p2align	6, 0x0
	.amdhsa_kernel _ZN7rocprim17ROCPRIM_304000_NS6detail28radix_sort_block_sort_kernelINS1_36wrapped_radix_sort_block_sort_configINS0_13kernel_configILj256ELj4ELj4294967295EEEdN2at4cuda3cub6detail10OpaqueTypeILi8EEEEELb0EPKdPdPKSB_PSB_NS0_19identity_decomposerEEEvT1_T2_T3_T4_jT5_jj
		.amdhsa_group_segment_fixed_size 8192
		.amdhsa_private_segment_fixed_size 0
		.amdhsa_kernarg_size 304
		.amdhsa_user_sgpr_count 6
		.amdhsa_user_sgpr_private_segment_buffer 1
		.amdhsa_user_sgpr_dispatch_ptr 0
		.amdhsa_user_sgpr_queue_ptr 0
		.amdhsa_user_sgpr_kernarg_segment_ptr 1
		.amdhsa_user_sgpr_dispatch_id 0
		.amdhsa_user_sgpr_flat_scratch_init 0
		.amdhsa_user_sgpr_kernarg_preload_length 0
		.amdhsa_user_sgpr_kernarg_preload_offset 0
		.amdhsa_user_sgpr_private_segment_size 0
		.amdhsa_uses_dynamic_stack 0
		.amdhsa_system_sgpr_private_segment_wavefront_offset 0
		.amdhsa_system_sgpr_workgroup_id_x 1
		.amdhsa_system_sgpr_workgroup_id_y 0
		.amdhsa_system_sgpr_workgroup_id_z 0
		.amdhsa_system_sgpr_workgroup_info 0
		.amdhsa_system_vgpr_workitem_id 2
		.amdhsa_next_free_vgpr 53
		.amdhsa_next_free_sgpr 46
		.amdhsa_accum_offset 56
		.amdhsa_reserve_vcc 1
		.amdhsa_reserve_flat_scratch 0
		.amdhsa_float_round_mode_32 0
		.amdhsa_float_round_mode_16_64 0
		.amdhsa_float_denorm_mode_32 3
		.amdhsa_float_denorm_mode_16_64 3
		.amdhsa_dx10_clamp 1
		.amdhsa_ieee_mode 1
		.amdhsa_fp16_overflow 0
		.amdhsa_tg_split 0
		.amdhsa_exception_fp_ieee_invalid_op 0
		.amdhsa_exception_fp_denorm_src 0
		.amdhsa_exception_fp_ieee_div_zero 0
		.amdhsa_exception_fp_ieee_overflow 0
		.amdhsa_exception_fp_ieee_underflow 0
		.amdhsa_exception_fp_ieee_inexact 0
		.amdhsa_exception_int_div_zero 0
	.end_amdhsa_kernel
	.section	.text._ZN7rocprim17ROCPRIM_304000_NS6detail28radix_sort_block_sort_kernelINS1_36wrapped_radix_sort_block_sort_configINS0_13kernel_configILj256ELj4ELj4294967295EEEdN2at4cuda3cub6detail10OpaqueTypeILi8EEEEELb0EPKdPdPKSB_PSB_NS0_19identity_decomposerEEEvT1_T2_T3_T4_jT5_jj,"axG",@progbits,_ZN7rocprim17ROCPRIM_304000_NS6detail28radix_sort_block_sort_kernelINS1_36wrapped_radix_sort_block_sort_configINS0_13kernel_configILj256ELj4ELj4294967295EEEdN2at4cuda3cub6detail10OpaqueTypeILi8EEEEELb0EPKdPdPKSB_PSB_NS0_19identity_decomposerEEEvT1_T2_T3_T4_jT5_jj,comdat
.Lfunc_end151:
	.size	_ZN7rocprim17ROCPRIM_304000_NS6detail28radix_sort_block_sort_kernelINS1_36wrapped_radix_sort_block_sort_configINS0_13kernel_configILj256ELj4ELj4294967295EEEdN2at4cuda3cub6detail10OpaqueTypeILi8EEEEELb0EPKdPdPKSB_PSB_NS0_19identity_decomposerEEEvT1_T2_T3_T4_jT5_jj, .Lfunc_end151-_ZN7rocprim17ROCPRIM_304000_NS6detail28radix_sort_block_sort_kernelINS1_36wrapped_radix_sort_block_sort_configINS0_13kernel_configILj256ELj4ELj4294967295EEEdN2at4cuda3cub6detail10OpaqueTypeILi8EEEEELb0EPKdPdPKSB_PSB_NS0_19identity_decomposerEEEvT1_T2_T3_T4_jT5_jj
                                        ; -- End function
	.section	.AMDGPU.csdata,"",@progbits
; Kernel info:
; codeLenInByte = 4120
; NumSgprs: 50
; NumVgprs: 53
; NumAgprs: 0
; TotalNumVgprs: 53
; ScratchSize: 0
; MemoryBound: 1
; FloatMode: 240
; IeeeMode: 1
; LDSByteSize: 8192 bytes/workgroup (compile time only)
; SGPRBlocks: 6
; VGPRBlocks: 6
; NumSGPRsForWavesPerEU: 50
; NumVGPRsForWavesPerEU: 53
; AccumOffset: 56
; Occupancy: 8
; WaveLimiterHint : 1
; COMPUTE_PGM_RSRC2:SCRATCH_EN: 0
; COMPUTE_PGM_RSRC2:USER_SGPR: 6
; COMPUTE_PGM_RSRC2:TRAP_HANDLER: 0
; COMPUTE_PGM_RSRC2:TGID_X_EN: 1
; COMPUTE_PGM_RSRC2:TGID_Y_EN: 0
; COMPUTE_PGM_RSRC2:TGID_Z_EN: 0
; COMPUTE_PGM_RSRC2:TIDIG_COMP_CNT: 2
; COMPUTE_PGM_RSRC3_GFX90A:ACCUM_OFFSET: 13
; COMPUTE_PGM_RSRC3_GFX90A:TG_SPLIT: 0
	.section	.text._ZN7rocprim17ROCPRIM_304000_NS6detail45device_block_merge_mergepath_partition_kernelINS1_37wrapped_merge_sort_block_merge_configINS0_14default_configEdN2at4cuda3cub6detail10OpaqueTypeILi8EEEEEPdjNS1_19radix_merge_compareILb0ELb0EdNS0_19identity_decomposerEEEEEvT0_T1_jPSH_T2_SH_,"axG",@progbits,_ZN7rocprim17ROCPRIM_304000_NS6detail45device_block_merge_mergepath_partition_kernelINS1_37wrapped_merge_sort_block_merge_configINS0_14default_configEdN2at4cuda3cub6detail10OpaqueTypeILi8EEEEEPdjNS1_19radix_merge_compareILb0ELb0EdNS0_19identity_decomposerEEEEEvT0_T1_jPSH_T2_SH_,comdat
	.protected	_ZN7rocprim17ROCPRIM_304000_NS6detail45device_block_merge_mergepath_partition_kernelINS1_37wrapped_merge_sort_block_merge_configINS0_14default_configEdN2at4cuda3cub6detail10OpaqueTypeILi8EEEEEPdjNS1_19radix_merge_compareILb0ELb0EdNS0_19identity_decomposerEEEEEvT0_T1_jPSH_T2_SH_ ; -- Begin function _ZN7rocprim17ROCPRIM_304000_NS6detail45device_block_merge_mergepath_partition_kernelINS1_37wrapped_merge_sort_block_merge_configINS0_14default_configEdN2at4cuda3cub6detail10OpaqueTypeILi8EEEEEPdjNS1_19radix_merge_compareILb0ELb0EdNS0_19identity_decomposerEEEEEvT0_T1_jPSH_T2_SH_
	.globl	_ZN7rocprim17ROCPRIM_304000_NS6detail45device_block_merge_mergepath_partition_kernelINS1_37wrapped_merge_sort_block_merge_configINS0_14default_configEdN2at4cuda3cub6detail10OpaqueTypeILi8EEEEEPdjNS1_19radix_merge_compareILb0ELb0EdNS0_19identity_decomposerEEEEEvT0_T1_jPSH_T2_SH_
	.p2align	8
	.type	_ZN7rocprim17ROCPRIM_304000_NS6detail45device_block_merge_mergepath_partition_kernelINS1_37wrapped_merge_sort_block_merge_configINS0_14default_configEdN2at4cuda3cub6detail10OpaqueTypeILi8EEEEEPdjNS1_19radix_merge_compareILb0ELb0EdNS0_19identity_decomposerEEEEEvT0_T1_jPSH_T2_SH_,@function
_ZN7rocprim17ROCPRIM_304000_NS6detail45device_block_merge_mergepath_partition_kernelINS1_37wrapped_merge_sort_block_merge_configINS0_14default_configEdN2at4cuda3cub6detail10OpaqueTypeILi8EEEEEPdjNS1_19radix_merge_compareILb0ELb0EdNS0_19identity_decomposerEEEEEvT0_T1_jPSH_T2_SH_: ; @_ZN7rocprim17ROCPRIM_304000_NS6detail45device_block_merge_mergepath_partition_kernelINS1_37wrapped_merge_sort_block_merge_configINS0_14default_configEdN2at4cuda3cub6detail10OpaqueTypeILi8EEEEEPdjNS1_19radix_merge_compareILb0ELb0EdNS0_19identity_decomposerEEEEEvT0_T1_jPSH_T2_SH_
; %bb.0:
	s_load_dwordx2 s[2:3], s[4:5], 0x8
	v_lshl_or_b32 v0, s6, 7, v0
	s_waitcnt lgkmcnt(0)
	v_cmp_gt_u32_e32 vcc, s3, v0
	s_and_saveexec_b64 s[0:1], vcc
	s_cbranch_execz .LBB152_6
; %bb.1:
	s_load_dword s1, s[4:5], 0x1c
	s_mov_b32 s0, 0
	s_waitcnt lgkmcnt(0)
	s_lshr_b32 s3, s1, 9
	s_and_b32 s3, s3, 0x7ffffe
	s_add_i32 s6, s3, -1
	s_sub_i32 s3, 0, s3
	v_and_b32_e32 v1, s3, v0
	v_lshlrev_b32_e32 v1, 10, v1
	v_min_u32_e32 v2, s2, v1
	v_add_u32_e32 v1, s1, v1
	v_min_u32_e32 v4, s2, v1
	v_add_u32_e32 v1, s1, v4
	v_and_b32_e32 v3, s6, v0
	v_min_u32_e32 v1, s2, v1
	v_sub_u32_e32 v5, v1, v2
	v_lshlrev_b32_e32 v3, 10, v3
	v_min_u32_e32 v6, v5, v3
	v_sub_u32_e32 v3, v4, v2
	v_sub_u32_e32 v1, v1, v4
	v_sub_u32_e64 v1, v6, v1 clamp
	v_min_u32_e32 v7, v6, v3
	v_cmp_lt_u32_e32 vcc, v1, v7
	s_and_saveexec_b64 s[2:3], vcc
	s_cbranch_execz .LBB152_5
; %bb.2:
	s_load_dwordx2 s[6:7], s[4:5], 0x0
	v_mov_b32_e32 v5, 0
	v_mov_b32_e32 v3, v5
	v_lshlrev_b64 v[8:9], 3, v[2:3]
	v_lshlrev_b64 v[10:11], 3, v[4:5]
	s_waitcnt lgkmcnt(0)
	v_mov_b32_e32 v12, s7
	v_add_co_u32_e32 v3, vcc, s6, v8
	v_addc_co_u32_e32 v8, vcc, v12, v9, vcc
	v_add_co_u32_e32 v9, vcc, s6, v10
	v_addc_co_u32_e32 v10, vcc, v12, v11, vcc
	s_mov_b64 s[6:7], 0
	s_brev_b32 s1, 1
	v_bfrev_b32_e32 v11, 1
.LBB152_3:                              ; =>This Inner Loop Header: Depth=1
	v_add_u32_e32 v4, v7, v1
	v_lshrrev_b32_e32 v4, 1, v4
	v_lshlrev_b64 v[14:15], 3, v[4:5]
	v_mov_b32_e32 v13, v5
	v_xad_u32 v12, v4, -1, v6
	v_add_co_u32_e32 v14, vcc, v3, v14
	v_addc_co_u32_e32 v15, vcc, v8, v15, vcc
	v_lshlrev_b64 v[12:13], 3, v[12:13]
	v_add_co_u32_e32 v12, vcc, v9, v12
	global_load_dwordx2 v[14:15], v[14:15], off
	v_addc_co_u32_e32 v13, vcc, v10, v13, vcc
	global_load_dwordx2 v[12:13], v[12:13], off
	v_add_u32_e32 v16, 1, v4
	s_waitcnt vmcnt(1)
	v_cmp_ne_u64_e32 vcc, s[0:1], v[14:15]
	v_cndmask_b32_e32 v15, 0, v15, vcc
	v_cndmask_b32_e32 v14, 0, v14, vcc
	s_waitcnt vmcnt(0)
	v_cmp_ne_u64_e32 vcc, s[0:1], v[12:13]
	v_cndmask_b32_e32 v13, 0, v13, vcc
	v_cndmask_b32_e32 v12, 0, v12, vcc
	v_cmp_lt_i64_e32 vcc, -1, v[14:15]
	v_ashrrev_i32_e32 v17, 31, v15
	v_cndmask_b32_e32 v18, -1, v11, vcc
	v_cmp_lt_i64_e32 vcc, -1, v[12:13]
	v_xor_b32_e32 v14, v17, v14
	v_ashrrev_i32_e32 v17, 31, v13
	v_xor_b32_e32 v15, v18, v15
	v_cndmask_b32_e32 v18, -1, v11, vcc
	v_xor_b32_e32 v12, v17, v12
	v_xor_b32_e32 v13, v18, v13
	v_cmp_gt_u64_e32 vcc, v[14:15], v[12:13]
	v_cndmask_b32_e32 v7, v7, v4, vcc
	v_cndmask_b32_e32 v1, v16, v1, vcc
	v_cmp_ge_u32_e32 vcc, v1, v7
	s_or_b64 s[6:7], vcc, s[6:7]
	s_andn2_b64 exec, exec, s[6:7]
	s_cbranch_execnz .LBB152_3
; %bb.4:
	s_or_b64 exec, exec, s[6:7]
.LBB152_5:
	s_or_b64 exec, exec, s[2:3]
	s_load_dwordx2 s[0:1], s[4:5], 0x10
	v_add_u32_e32 v2, v1, v2
	v_mov_b32_e32 v1, 0
	v_lshlrev_b64 v[0:1], 2, v[0:1]
	s_waitcnt lgkmcnt(0)
	v_mov_b32_e32 v3, s1
	v_add_co_u32_e32 v0, vcc, s0, v0
	v_addc_co_u32_e32 v1, vcc, v3, v1, vcc
	global_store_dword v[0:1], v2, off
.LBB152_6:
	s_endpgm
	.section	.rodata,"a",@progbits
	.p2align	6, 0x0
	.amdhsa_kernel _ZN7rocprim17ROCPRIM_304000_NS6detail45device_block_merge_mergepath_partition_kernelINS1_37wrapped_merge_sort_block_merge_configINS0_14default_configEdN2at4cuda3cub6detail10OpaqueTypeILi8EEEEEPdjNS1_19radix_merge_compareILb0ELb0EdNS0_19identity_decomposerEEEEEvT0_T1_jPSH_T2_SH_
		.amdhsa_group_segment_fixed_size 0
		.amdhsa_private_segment_fixed_size 0
		.amdhsa_kernarg_size 32
		.amdhsa_user_sgpr_count 6
		.amdhsa_user_sgpr_private_segment_buffer 1
		.amdhsa_user_sgpr_dispatch_ptr 0
		.amdhsa_user_sgpr_queue_ptr 0
		.amdhsa_user_sgpr_kernarg_segment_ptr 1
		.amdhsa_user_sgpr_dispatch_id 0
		.amdhsa_user_sgpr_flat_scratch_init 0
		.amdhsa_user_sgpr_kernarg_preload_length 0
		.amdhsa_user_sgpr_kernarg_preload_offset 0
		.amdhsa_user_sgpr_private_segment_size 0
		.amdhsa_uses_dynamic_stack 0
		.amdhsa_system_sgpr_private_segment_wavefront_offset 0
		.amdhsa_system_sgpr_workgroup_id_x 1
		.amdhsa_system_sgpr_workgroup_id_y 0
		.amdhsa_system_sgpr_workgroup_id_z 0
		.amdhsa_system_sgpr_workgroup_info 0
		.amdhsa_system_vgpr_workitem_id 0
		.amdhsa_next_free_vgpr 19
		.amdhsa_next_free_sgpr 8
		.amdhsa_accum_offset 20
		.amdhsa_reserve_vcc 1
		.amdhsa_reserve_flat_scratch 0
		.amdhsa_float_round_mode_32 0
		.amdhsa_float_round_mode_16_64 0
		.amdhsa_float_denorm_mode_32 3
		.amdhsa_float_denorm_mode_16_64 3
		.amdhsa_dx10_clamp 1
		.amdhsa_ieee_mode 1
		.amdhsa_fp16_overflow 0
		.amdhsa_tg_split 0
		.amdhsa_exception_fp_ieee_invalid_op 0
		.amdhsa_exception_fp_denorm_src 0
		.amdhsa_exception_fp_ieee_div_zero 0
		.amdhsa_exception_fp_ieee_overflow 0
		.amdhsa_exception_fp_ieee_underflow 0
		.amdhsa_exception_fp_ieee_inexact 0
		.amdhsa_exception_int_div_zero 0
	.end_amdhsa_kernel
	.section	.text._ZN7rocprim17ROCPRIM_304000_NS6detail45device_block_merge_mergepath_partition_kernelINS1_37wrapped_merge_sort_block_merge_configINS0_14default_configEdN2at4cuda3cub6detail10OpaqueTypeILi8EEEEEPdjNS1_19radix_merge_compareILb0ELb0EdNS0_19identity_decomposerEEEEEvT0_T1_jPSH_T2_SH_,"axG",@progbits,_ZN7rocprim17ROCPRIM_304000_NS6detail45device_block_merge_mergepath_partition_kernelINS1_37wrapped_merge_sort_block_merge_configINS0_14default_configEdN2at4cuda3cub6detail10OpaqueTypeILi8EEEEEPdjNS1_19radix_merge_compareILb0ELb0EdNS0_19identity_decomposerEEEEEvT0_T1_jPSH_T2_SH_,comdat
.Lfunc_end152:
	.size	_ZN7rocprim17ROCPRIM_304000_NS6detail45device_block_merge_mergepath_partition_kernelINS1_37wrapped_merge_sort_block_merge_configINS0_14default_configEdN2at4cuda3cub6detail10OpaqueTypeILi8EEEEEPdjNS1_19radix_merge_compareILb0ELb0EdNS0_19identity_decomposerEEEEEvT0_T1_jPSH_T2_SH_, .Lfunc_end152-_ZN7rocprim17ROCPRIM_304000_NS6detail45device_block_merge_mergepath_partition_kernelINS1_37wrapped_merge_sort_block_merge_configINS0_14default_configEdN2at4cuda3cub6detail10OpaqueTypeILi8EEEEEPdjNS1_19radix_merge_compareILb0ELb0EdNS0_19identity_decomposerEEEEEvT0_T1_jPSH_T2_SH_
                                        ; -- End function
	.section	.AMDGPU.csdata,"",@progbits
; Kernel info:
; codeLenInByte = 444
; NumSgprs: 12
; NumVgprs: 19
; NumAgprs: 0
; TotalNumVgprs: 19
; ScratchSize: 0
; MemoryBound: 0
; FloatMode: 240
; IeeeMode: 1
; LDSByteSize: 0 bytes/workgroup (compile time only)
; SGPRBlocks: 1
; VGPRBlocks: 2
; NumSGPRsForWavesPerEU: 12
; NumVGPRsForWavesPerEU: 19
; AccumOffset: 20
; Occupancy: 8
; WaveLimiterHint : 0
; COMPUTE_PGM_RSRC2:SCRATCH_EN: 0
; COMPUTE_PGM_RSRC2:USER_SGPR: 6
; COMPUTE_PGM_RSRC2:TRAP_HANDLER: 0
; COMPUTE_PGM_RSRC2:TGID_X_EN: 1
; COMPUTE_PGM_RSRC2:TGID_Y_EN: 0
; COMPUTE_PGM_RSRC2:TGID_Z_EN: 0
; COMPUTE_PGM_RSRC2:TIDIG_COMP_CNT: 0
; COMPUTE_PGM_RSRC3_GFX90A:ACCUM_OFFSET: 4
; COMPUTE_PGM_RSRC3_GFX90A:TG_SPLIT: 0
	.section	.text._ZN7rocprim17ROCPRIM_304000_NS6detail35device_block_merge_mergepath_kernelINS1_37wrapped_merge_sort_block_merge_configINS0_14default_configEdN2at4cuda3cub6detail10OpaqueTypeILi8EEEEEPdSC_PSA_SD_jNS1_19radix_merge_compareILb0ELb0EdNS0_19identity_decomposerEEEEEvT0_T1_T2_T3_T4_SL_jT5_PKSL_NS1_7vsmem_tE,"axG",@progbits,_ZN7rocprim17ROCPRIM_304000_NS6detail35device_block_merge_mergepath_kernelINS1_37wrapped_merge_sort_block_merge_configINS0_14default_configEdN2at4cuda3cub6detail10OpaqueTypeILi8EEEEEPdSC_PSA_SD_jNS1_19radix_merge_compareILb0ELb0EdNS0_19identity_decomposerEEEEEvT0_T1_T2_T3_T4_SL_jT5_PKSL_NS1_7vsmem_tE,comdat
	.protected	_ZN7rocprim17ROCPRIM_304000_NS6detail35device_block_merge_mergepath_kernelINS1_37wrapped_merge_sort_block_merge_configINS0_14default_configEdN2at4cuda3cub6detail10OpaqueTypeILi8EEEEEPdSC_PSA_SD_jNS1_19radix_merge_compareILb0ELb0EdNS0_19identity_decomposerEEEEEvT0_T1_T2_T3_T4_SL_jT5_PKSL_NS1_7vsmem_tE ; -- Begin function _ZN7rocprim17ROCPRIM_304000_NS6detail35device_block_merge_mergepath_kernelINS1_37wrapped_merge_sort_block_merge_configINS0_14default_configEdN2at4cuda3cub6detail10OpaqueTypeILi8EEEEEPdSC_PSA_SD_jNS1_19radix_merge_compareILb0ELb0EdNS0_19identity_decomposerEEEEEvT0_T1_T2_T3_T4_SL_jT5_PKSL_NS1_7vsmem_tE
	.globl	_ZN7rocprim17ROCPRIM_304000_NS6detail35device_block_merge_mergepath_kernelINS1_37wrapped_merge_sort_block_merge_configINS0_14default_configEdN2at4cuda3cub6detail10OpaqueTypeILi8EEEEEPdSC_PSA_SD_jNS1_19radix_merge_compareILb0ELb0EdNS0_19identity_decomposerEEEEEvT0_T1_T2_T3_T4_SL_jT5_PKSL_NS1_7vsmem_tE
	.p2align	8
	.type	_ZN7rocprim17ROCPRIM_304000_NS6detail35device_block_merge_mergepath_kernelINS1_37wrapped_merge_sort_block_merge_configINS0_14default_configEdN2at4cuda3cub6detail10OpaqueTypeILi8EEEEEPdSC_PSA_SD_jNS1_19radix_merge_compareILb0ELb0EdNS0_19identity_decomposerEEEEEvT0_T1_T2_T3_T4_SL_jT5_PKSL_NS1_7vsmem_tE,@function
_ZN7rocprim17ROCPRIM_304000_NS6detail35device_block_merge_mergepath_kernelINS1_37wrapped_merge_sort_block_merge_configINS0_14default_configEdN2at4cuda3cub6detail10OpaqueTypeILi8EEEEEPdSC_PSA_SD_jNS1_19radix_merge_compareILb0ELb0EdNS0_19identity_decomposerEEEEEvT0_T1_T2_T3_T4_SL_jT5_PKSL_NS1_7vsmem_tE: ; @_ZN7rocprim17ROCPRIM_304000_NS6detail35device_block_merge_mergepath_kernelINS1_37wrapped_merge_sort_block_merge_configINS0_14default_configEdN2at4cuda3cub6detail10OpaqueTypeILi8EEEEEPdSC_PSA_SD_jNS1_19radix_merge_compareILb0ELb0EdNS0_19identity_decomposerEEEEEvT0_T1_T2_T3_T4_SL_jT5_PKSL_NS1_7vsmem_tE
; %bb.0:
	s_load_dwordx2 s[24:25], s[4:5], 0x40
	s_load_dwordx4 s[16:19], s[4:5], 0x20
	s_add_u32 s22, s4, 64
	s_addc_u32 s23, s5, 0
	s_waitcnt lgkmcnt(0)
	s_mul_i32 s0, s25, s8
	s_add_i32 s0, s0, s7
	s_mul_i32 s0, s0, s24
	s_add_i32 s0, s0, s6
	s_cmp_ge_u32 s0, s18
	s_cbranch_scc1 .LBB153_59
; %bb.1:
	s_load_dwordx8 s[8:15], s[4:5], 0x0
	s_load_dwordx2 s[2:3], s[4:5], 0x30
	s_lshr_b32 s28, s16, 10
	s_cmp_lg_u32 s0, s28
	s_mov_b32 s1, 0
	s_cselect_b64 s[20:21], -1, 0
	s_lshl_b64 s[4:5], s[0:1], 2
	s_waitcnt lgkmcnt(0)
	s_add_u32 s2, s2, s4
	s_addc_u32 s3, s3, s5
	s_lshr_b32 s4, s17, 9
	s_and_b32 s4, s4, 0x7ffffe
	s_load_dwordx2 s[2:3], s[2:3], 0x0
	s_sub_i32 s5, 0, s4
	s_and_b32 s4, s0, s5
	s_lshl_b32 s7, s4, 10
	s_lshl_b32 s18, s0, 10
	;; [unrolled: 1-line block ×3, first 2 shown]
	s_sub_i32 s19, s18, s7
	s_add_i32 s25, s4, s17
	s_add_i32 s19, s25, s19
	s_waitcnt lgkmcnt(0)
	s_sub_i32 s4, s19, s2
	s_sub_i32 s19, s19, s3
	;; [unrolled: 1-line block ×3, first 2 shown]
	s_min_u32 s4, s16, s4
	s_addk_i32 s19, 0x400
	s_or_b32 s5, s0, s5
	s_min_u32 s25, s16, s7
	s_add_i32 s7, s7, s17
	s_cmp_eq_u32 s5, -1
	s_cselect_b32 s5, s7, s19
	s_cselect_b32 s3, s25, s3
	s_min_u32 s5, s5, s16
	s_sub_i32 s19, s3, s2
	s_mov_b32 s3, s1
	s_sub_i32 s26, s5, s4
	s_lshl_b64 s[2:3], s[2:3], 3
	s_add_u32 s25, s8, s2
	s_mov_b32 s5, s1
	s_addc_u32 s27, s9, s3
	s_lshl_b64 s[4:5], s[4:5], 3
	s_add_u32 s8, s8, s4
	s_addc_u32 s9, s9, s5
	s_cmp_lt_u32 s6, s24
	v_mov_b32_e32 v5, 0
	s_cselect_b32 s1, 12, 18
	global_load_dword v1, v5, s[22:23] offset:14
	s_add_u32 s6, s22, s1
	s_addc_u32 s7, s23, 0
	global_load_ushort v2, v5, s[6:7]
	v_cmp_gt_u32_e32 vcc, s19, v0
	s_cmp_eq_u32 s0, s28
	s_waitcnt vmcnt(1)
	v_lshrrev_b32_e32 v3, 16, v1
	v_and_b32_e32 v1, 0xffff, v1
	v_mul_lo_u32 v1, v1, v3
	s_waitcnt vmcnt(0)
	v_mul_lo_u32 v1, v1, v2
	v_add_u32_e32 v8, v1, v0
	v_lshlrev_b32_e32 v1, 3, v0
	s_cbranch_scc1 .LBB153_3
; %bb.2:
	v_mov_b32_e32 v2, s27
	v_add_co_u32_e64 v6, s[0:1], s25, v1
	v_subrev_u32_e32 v4, s19, v0
	v_addc_co_u32_e64 v7, s[0:1], 0, v2, s[0:1]
	v_lshlrev_b64 v[2:3], 3, v[4:5]
	v_mov_b32_e32 v4, s9
	v_add_co_u32_e64 v2, s[0:1], s8, v2
	v_addc_co_u32_e64 v3, s[0:1], v4, v3, s[0:1]
	v_mov_b32_e32 v9, v5
	v_cndmask_b32_e32 v3, v3, v7, vcc
	v_cndmask_b32_e32 v2, v2, v6, vcc
	v_lshlrev_b64 v[6:7], 3, v[8:9]
	v_mov_b32_e32 v4, s27
	v_add_co_u32_e32 v6, vcc, s25, v6
	v_addc_co_u32_e32 v7, vcc, v4, v7, vcc
	v_subrev_u32_e32 v4, s19, v8
	v_lshlrev_b64 v[4:5], 3, v[4:5]
	v_mov_b32_e32 v9, s9
	v_add_co_u32_e32 v4, vcc, s8, v4
	v_addc_co_u32_e32 v5, vcc, v9, v5, vcc
	v_cmp_gt_u32_e32 vcc, s19, v8
	v_cndmask_b32_e32 v5, v5, v7, vcc
	v_cndmask_b32_e32 v4, v4, v6, vcc
	global_load_dwordx2 v[2:3], v[2:3], off
	s_add_i32 s17, s26, s19
	global_load_dwordx2 v[6:7], v[4:5], off
	s_cbranch_execz .LBB153_4
	s_branch .LBB153_9
.LBB153_3:
                                        ; implicit-def: $vgpr6_vgpr7
                                        ; implicit-def: $sgpr17
                                        ; implicit-def: $vgpr2_vgpr3_vgpr4_vgpr5
.LBB153_4:
	s_add_i32 s17, s26, s19
	v_cmp_gt_u32_e32 vcc, s17, v0
                                        ; implicit-def: $vgpr2_vgpr3
	s_and_saveexec_b64 s[0:1], vcc
	s_cbranch_execz .LBB153_6
; %bb.5:
	s_waitcnt vmcnt(1)
	v_mov_b32_e32 v2, s27
	v_add_co_u32_e32 v4, vcc, s25, v1
	v_mov_b32_e32 v3, 0
	v_addc_co_u32_e32 v5, vcc, 0, v2, vcc
	v_subrev_u32_e32 v2, s19, v0
	v_lshlrev_b64 v[2:3], 3, v[2:3]
	s_waitcnt vmcnt(0)
	v_mov_b32_e32 v6, s9
	v_add_co_u32_e32 v2, vcc, s8, v2
	v_addc_co_u32_e32 v3, vcc, v6, v3, vcc
	v_cmp_gt_u32_e32 vcc, s19, v0
	v_cndmask_b32_e32 v3, v3, v5, vcc
	v_cndmask_b32_e32 v2, v2, v4, vcc
	global_load_dwordx2 v[2:3], v[2:3], off
.LBB153_6:
	s_or_b64 exec, exec, s[0:1]
	v_cmp_gt_u32_e32 vcc, s17, v8
	s_and_saveexec_b64 s[6:7], vcc
                                        ; implicit-def: $vgpr4_vgpr5_vgpr6_vgpr7
	s_cbranch_execz .LBB153_8
; %bb.7:
	v_mov_b32_e32 v9, 0
	v_lshlrev_b64 v[4:5], 3, v[8:9]
	s_waitcnt vmcnt(0)
	v_mov_b32_e32 v6, s27
	v_add_co_u32_e32 v7, vcc, s25, v4
	v_addc_co_u32_e32 v6, vcc, v6, v5, vcc
	v_cmp_gt_u32_e32 vcc, s19, v8
	v_subrev_u32_e32 v8, s19, v8
	v_lshlrev_b64 v[4:5], 3, v[8:9]
	v_mov_b32_e32 v8, s9
	v_add_co_u32_e64 v4, s[0:1], s8, v4
	v_addc_co_u32_e64 v5, s[0:1], v8, v5, s[0:1]
	v_cndmask_b32_e32 v5, v5, v6, vcc
	v_cndmask_b32_e32 v4, v4, v7, vcc
	global_load_dwordx2 v[6:7], v[4:5], off
.LBB153_8:
	s_or_b64 exec, exec, s[6:7]
.LBB153_9:
	v_lshlrev_b32_e32 v10, 1, v0
	v_min_u32_e32 v4, s17, v10
	v_sub_u32_e64 v13, v4, s26 clamp
	v_min_u32_e32 v5, s19, v4
	v_cmp_lt_u32_e32 vcc, v13, v5
	s_waitcnt vmcnt(0)
	ds_write2st64_b64 v1, v[2:3], v[6:7] offset1:8
	s_waitcnt lgkmcnt(0)
	s_barrier
	s_and_saveexec_b64 s[0:1], vcc
	s_cbranch_execz .LBB153_13
; %bb.10:
	v_lshlrev_b32_e32 v8, 3, v4
	s_mov_b32 s8, 0
	v_lshl_add_u32 v8, s19, 3, v8
	s_mov_b64 s[6:7], 0
	s_brev_b32 s9, 1
	v_bfrev_b32_e32 v9, 1
.LBB153_11:                             ; =>This Inner Loop Header: Depth=1
	v_add_u32_e32 v11, v5, v13
	v_lshrrev_b32_e32 v11, 1, v11
	v_not_b32_e32 v12, v11
	v_lshlrev_b32_e32 v14, 3, v11
	ds_read_b64 v[14:15], v14
	v_lshl_add_u32 v12, v12, 3, v8
	ds_read_b64 v[16:17], v12
	v_add_u32_e32 v18, 1, v11
	s_waitcnt lgkmcnt(1)
	v_cmp_ne_u64_e32 vcc, s[8:9], v[14:15]
	v_cndmask_b32_e32 v15, 0, v15, vcc
	v_cndmask_b32_e32 v14, 0, v14, vcc
	s_waitcnt lgkmcnt(0)
	v_cmp_ne_u64_e32 vcc, s[8:9], v[16:17]
	v_cndmask_b32_e32 v17, 0, v17, vcc
	v_cndmask_b32_e32 v16, 0, v16, vcc
	v_cmp_lt_i64_e32 vcc, -1, v[14:15]
	v_ashrrev_i32_e32 v12, 31, v15
	v_cndmask_b32_e32 v19, -1, v9, vcc
	v_cmp_lt_i64_e32 vcc, -1, v[16:17]
	v_xor_b32_e32 v14, v12, v14
	v_ashrrev_i32_e32 v12, 31, v17
	v_xor_b32_e32 v15, v19, v15
	v_cndmask_b32_e32 v19, -1, v9, vcc
	v_xor_b32_e32 v16, v12, v16
	v_xor_b32_e32 v17, v19, v17
	v_cmp_gt_u64_e32 vcc, v[14:15], v[16:17]
	v_cndmask_b32_e32 v5, v5, v11, vcc
	v_cndmask_b32_e32 v13, v18, v13, vcc
	v_cmp_ge_u32_e32 vcc, v13, v5
	s_or_b64 s[6:7], vcc, s[6:7]
	s_andn2_b64 exec, exec, s[6:7]
	s_cbranch_execnz .LBB153_11
; %bb.12:
	s_or_b64 exec, exec, s[6:7]
.LBB153_13:
	s_or_b64 exec, exec, s[0:1]
	v_sub_u32_e32 v4, v4, v13
	v_add_u32_e32 v14, s19, v4
	v_cmp_ge_u32_e32 vcc, s19, v13
	v_cmp_ge_u32_e64 s[0:1], s17, v14
	s_or_b64 s[0:1], vcc, s[0:1]
                                        ; implicit-def: $vgpr12
                                        ; implicit-def: $vgpr11
	s_and_saveexec_b64 s[6:7], s[0:1]
	s_cbranch_execz .LBB153_25
; %bb.14:
	v_cmp_le_u32_e32 vcc, s19, v13
	v_cmp_gt_u32_e64 s[0:1], s19, v13
                                        ; implicit-def: $vgpr2_vgpr3
	s_and_saveexec_b64 s[8:9], s[0:1]
	s_cbranch_execz .LBB153_16
; %bb.15:
	v_lshlrev_b32_e32 v2, 3, v13
	ds_read_b64 v[2:3], v2
.LBB153_16:
	s_or_b64 exec, exec, s[8:9]
	v_cmp_le_u32_e64 s[8:9], s17, v14
	v_cmp_gt_u32_e64 s[0:1], s17, v14
                                        ; implicit-def: $vgpr4_vgpr5
	s_and_saveexec_b64 s[22:23], s[0:1]
	s_cbranch_execz .LBB153_18
; %bb.17:
	v_lshlrev_b32_e32 v4, 3, v14
	ds_read_b64 v[4:5], v4
.LBB153_18:
	s_or_b64 exec, exec, s[22:23]
	s_or_b64 s[22:23], vcc, s[8:9]
	s_mov_b64 s[0:1], -1
	s_xor_b64 s[24:25], s[22:23], -1
	s_and_saveexec_b64 s[22:23], s[24:25]
	s_cbranch_execz .LBB153_20
; %bb.19:
	s_mov_b32 s24, 0
	s_brev_b32 s25, 1
	s_waitcnt lgkmcnt(0)
	v_cmp_ne_u64_e32 vcc, s[24:25], v[2:3]
	v_cndmask_b32_e32 v7, 0, v3, vcc
	v_cndmask_b32_e32 v6, 0, v2, vcc
	v_cmp_ne_u64_e32 vcc, s[24:25], v[4:5]
	v_cndmask_b32_e32 v9, 0, v5, vcc
	v_cndmask_b32_e32 v8, 0, v4, vcc
	v_bfrev_b32_e32 v11, 1
	v_cmp_lt_i64_e32 vcc, -1, v[6:7]
	v_cndmask_b32_e32 v12, -1, v11, vcc
	v_cmp_lt_i64_e32 vcc, -1, v[8:9]
	v_ashrrev_i32_e32 v15, 31, v7
	v_xor_b32_e32 v7, v12, v7
	v_cndmask_b32_e32 v11, -1, v11, vcc
	v_ashrrev_i32_e32 v12, 31, v9
	v_xor_b32_e32 v6, v15, v6
	v_xor_b32_e32 v9, v11, v9
	;; [unrolled: 1-line block ×3, first 2 shown]
	v_cmp_le_u64_e32 vcc, v[6:7], v[8:9]
	s_andn2_b64 s[8:9], s[8:9], exec
	s_and_b64 s[24:25], vcc, exec
	s_or_b64 s[8:9], s[8:9], s[24:25]
.LBB153_20:
	s_or_b64 exec, exec, s[22:23]
	v_mov_b32_e32 v6, s17
	v_mov_b32_e32 v7, s19
	v_cndmask_b32_e64 v11, v14, v13, s[8:9]
	v_cndmask_b32_e64 v6, v6, v7, s[8:9]
	v_add_u32_e32 v15, 1, v11
	v_add_u32_e32 v6, -1, v6
	v_min_u32_e32 v6, v15, v6
	v_lshlrev_b32_e32 v6, 3, v6
	ds_read_b64 v[8:9], v6
	v_cndmask_b32_e64 v12, v15, v14, s[8:9]
	v_cndmask_b32_e64 v13, v13, v15, s[8:9]
	v_cmp_gt_u32_e32 vcc, s17, v12
	s_waitcnt lgkmcnt(0)
	v_cndmask_b32_e64 v7, v9, v5, s[8:9]
	v_cndmask_b32_e64 v6, v8, v4, s[8:9]
	;; [unrolled: 1-line block ×4, first 2 shown]
	s_and_saveexec_b64 s[22:23], vcc
	s_cbranch_execz .LBB153_24
; %bb.21:
	v_cmp_gt_u32_e32 vcc, s19, v13
	s_mov_b64 s[24:25], 0
	s_and_saveexec_b64 s[0:1], vcc
	s_cbranch_execz .LBB153_23
; %bb.22:
	s_mov_b32 s24, 0
	s_brev_b32 s25, 1
	v_cmp_ne_u64_e32 vcc, s[24:25], v[8:9]
	v_cndmask_b32_e32 v15, 0, v9, vcc
	v_cndmask_b32_e32 v14, 0, v8, vcc
	v_cmp_ne_u64_e32 vcc, s[24:25], v[6:7]
	v_cndmask_b32_e32 v17, 0, v7, vcc
	v_cndmask_b32_e32 v16, 0, v6, vcc
	v_bfrev_b32_e32 v18, 1
	v_cmp_lt_i64_e32 vcc, -1, v[14:15]
	v_cndmask_b32_e32 v19, -1, v18, vcc
	v_cmp_lt_i64_e32 vcc, -1, v[16:17]
	v_ashrrev_i32_e32 v20, 31, v15
	v_xor_b32_e32 v15, v19, v15
	v_cndmask_b32_e32 v18, -1, v18, vcc
	v_ashrrev_i32_e32 v19, 31, v17
	v_xor_b32_e32 v14, v20, v14
	v_xor_b32_e32 v17, v18, v17
	;; [unrolled: 1-line block ×3, first 2 shown]
	v_cmp_le_u64_e32 vcc, v[14:15], v[16:17]
	s_and_b64 s[24:25], vcc, exec
.LBB153_23:
	s_or_b64 exec, exec, s[0:1]
	s_orn2_b64 s[0:1], s[24:25], exec
.LBB153_24:
	s_or_b64 exec, exec, s[22:23]
	v_cndmask_b32_e64 v3, v5, v3, s[8:9]
	v_cndmask_b32_e64 v2, v4, v2, s[8:9]
	;; [unrolled: 1-line block ×5, first 2 shown]
.LBB153_25:
	s_or_b64 exec, exec, s[6:7]
	s_add_u32 s22, s12, s2
	s_addc_u32 s23, s13, s3
	s_add_u32 s12, s12, s4
	v_cndmask_b32_e64 v4, 0, 1, s[20:21]
	s_addc_u32 s13, s13, s5
	v_cmp_gt_u32_e64 s[4:5], s19, v0
	v_cmp_ne_u32_e64 s[0:1], 1, v4
	s_andn2_b64 vcc, exec, s[20:21]
	v_cmp_le_u32_e64 s[2:3], s19, v0
	s_barrier
	s_cbranch_vccnz .LBB153_27
; %bb.26:
	v_subrev_u32_e32 v4, s19, v0
	v_mov_b32_e32 v5, 0
	v_lshlrev_b64 v[8:9], 3, v[4:5]
	v_mov_b32_e32 v4, s13
	v_add_co_u32_e32 v8, vcc, s12, v8
	v_addc_co_u32_e32 v4, vcc, v4, v9, vcc
	v_mov_b32_e32 v9, s23
	v_add_co_u32_e32 v13, vcc, s22, v1
	v_addc_co_u32_e32 v14, vcc, 0, v9, vcc
	v_cndmask_b32_e64 v9, v4, v14, s[4:5]
	v_cndmask_b32_e64 v8, v8, v13, s[4:5]
	global_load_dwordx2 v[8:9], v[8:9], off
	v_or_b32_e32 v15, 0x200, v0
	s_movk_i32 s4, 0x1000
	v_add_co_u32_e32 v13, vcc, s4, v13
	v_subrev_u32_e32 v4, s19, v15
	v_addc_co_u32_e32 v14, vcc, 0, v14, vcc
	v_lshlrev_b64 v[4:5], 3, v[4:5]
	v_mov_b32_e32 v16, s13
	v_add_co_u32_e32 v4, vcc, s12, v4
	v_addc_co_u32_e32 v5, vcc, v16, v5, vcc
	v_cmp_gt_u32_e32 vcc, s19, v15
	v_cndmask_b32_e32 v5, v5, v14, vcc
	v_cndmask_b32_e32 v4, v4, v13, vcc
	s_mov_b64 s[4:5], -1
	s_waitcnt vmcnt(0)
	ds_write_b64 v1, v[8:9]
	s_cbranch_execz .LBB153_28
	s_branch .LBB153_39
.LBB153_27:
	s_mov_b64 s[4:5], 0
                                        ; implicit-def: $vgpr4_vgpr5
.LBB153_28:
	s_mov_b64 s[6:7], 0
                                        ; implicit-def: $vgpr4_vgpr5
	s_and_saveexec_b64 s[8:9], s[2:3]
	s_xor_b64 s[2:3], exec, s[8:9]
	s_cbranch_execnz .LBB153_60
; %bb.29:
	s_andn2_saveexec_b64 s[2:3], s[2:3]
	s_cbranch_execnz .LBB153_63
.LBB153_30:
	s_or_b64 exec, exec, s[2:3]
	s_and_saveexec_b64 s[2:3], s[6:7]
	s_cbranch_execz .LBB153_32
.LBB153_31:
	global_load_dwordx2 v[4:5], v[4:5], off
	s_waitcnt vmcnt(0)
	ds_write_b64 v1, v[4:5]
.LBB153_32:
	s_or_b64 exec, exec, s[2:3]
	v_or_b32_e32 v8, 0x200, v0
	v_cmp_le_u32_e32 vcc, s19, v8
                                        ; implicit-def: $vgpr4_vgpr5
	s_and_saveexec_b64 s[2:3], vcc
	s_xor_b64 s[2:3], exec, s[2:3]
	s_cbranch_execz .LBB153_36
; %bb.33:
	v_subrev_u32_e32 v8, s19, v8
	v_cmp_gt_u32_e32 vcc, s26, v8
	s_mov_b64 s[8:9], s[4:5]
                                        ; implicit-def: $vgpr4_vgpr5
	s_and_saveexec_b64 s[6:7], vcc
; %bb.34:
	v_mov_b32_e32 v9, 0
	v_lshlrev_b64 v[4:5], 3, v[8:9]
	v_mov_b32_e32 v8, s13
	v_add_co_u32_e32 v4, vcc, s12, v4
	v_addc_co_u32_e32 v5, vcc, v8, v5, vcc
	s_or_b64 s[8:9], s[4:5], exec
; %bb.35:
	s_or_b64 exec, exec, s[6:7]
	s_andn2_b64 s[4:5], s[4:5], exec
	s_and_b64 s[6:7], s[8:9], exec
	s_or_b64 s[4:5], s[4:5], s[6:7]
                                        ; implicit-def: $vgpr8
.LBB153_36:
	s_andn2_saveexec_b64 s[2:3], s[2:3]
; %bb.37:
	v_lshlrev_b32_e32 v4, 3, v8
	v_mov_b32_e32 v5, s23
	v_add_co_u32_e32 v4, vcc, s22, v4
	v_addc_co_u32_e32 v5, vcc, 0, v5, vcc
	s_or_b64 s[4:5], s[4:5], exec
; %bb.38:
	s_or_b64 exec, exec, s[2:3]
.LBB153_39:
	s_and_saveexec_b64 s[2:3], s[4:5]
	s_cbranch_execz .LBB153_41
; %bb.40:
	global_load_dwordx2 v[4:5], v[4:5], off
	s_waitcnt vmcnt(0)
	ds_write_b64 v1, v[4:5] offset:4096
.LBB153_41:
	s_or_b64 exec, exec, s[2:3]
	s_and_b64 vcc, exec, s[0:1]
	v_add_u32_e32 v4, s18, v10
	s_waitcnt lgkmcnt(0)
	s_barrier
	s_cbranch_vccnz .LBB153_43
; %bb.42:
	v_lshlrev_b32_e32 v13, 3, v11
	ds_read_b64 v[14:15], v13
	v_mov_b32_e32 v5, 0
	v_lshlrev_b64 v[8:9], 3, v[4:5]
	v_mov_b32_e32 v16, s15
	v_add_co_u32_e32 v8, vcc, s14, v8
	v_addc_co_u32_e32 v9, vcc, v16, v9, vcc
	s_mov_b64 s[0:1], -1
	s_waitcnt lgkmcnt(0)
	global_store_dwordx2 v[8:9], v[14:15], off
	s_cbranch_execz .LBB153_44
	s_branch .LBB153_49
.LBB153_43:
	s_mov_b64 s[0:1], 0
.LBB153_44:
	v_cmp_gt_u32_e32 vcc, s17, v10
	s_and_saveexec_b64 s[2:3], vcc
	s_cbranch_execz .LBB153_46
; %bb.45:
	v_lshlrev_b32_e32 v11, 3, v11
	ds_read_b64 v[14:15], v11
	v_mov_b32_e32 v5, 0
	v_lshlrev_b64 v[8:9], 3, v[4:5]
	v_mov_b32_e32 v5, s15
	v_add_co_u32_e32 v8, vcc, s14, v8
	v_addc_co_u32_e32 v9, vcc, v5, v9, vcc
	s_waitcnt lgkmcnt(0)
	global_store_dwordx2 v[8:9], v[14:15], off
.LBB153_46:
	s_or_b64 exec, exec, s[2:3]
	v_or_b32_e32 v5, 1, v10
	v_cmp_gt_u32_e32 vcc, s17, v5
	s_and_saveexec_b64 s[2:3], vcc
; %bb.47:
	v_mov_b32_e32 v5, 0
	s_or_b64 s[0:1], s[0:1], exec
; %bb.48:
	s_or_b64 exec, exec, s[2:3]
.LBB153_49:
	s_and_saveexec_b64 s[2:3], s[0:1]
	s_cbranch_execz .LBB153_51
; %bb.50:
	v_lshlrev_b32_e32 v8, 3, v12
	ds_read_b64 v[8:9], v8
	v_lshlrev_b64 v[4:5], 3, v[4:5]
	v_mov_b32_e32 v11, s15
	v_add_co_u32_e32 v4, vcc, s14, v4
	v_addc_co_u32_e32 v5, vcc, v11, v5, vcc
	s_waitcnt lgkmcnt(0)
	global_store_dwordx2 v[4:5], v[8:9], off offset:8
.LBB153_51:
	s_or_b64 exec, exec, s[2:3]
	v_lshrrev_b32_e32 v4, 1, v0
	v_and_b32_e32 v4, 0xf8, v4
	v_lshl_add_u32 v4, v10, 3, v4
	s_barrier
	s_barrier
	s_mov_b32 s19, 0
	ds_write2_b64 v4, v[2:3], v[6:7] offset1:1
	v_lshrrev_b32_e32 v2, 2, v0
	s_lshl_b64 s[0:1], s[18:19], 3
	v_and_b32_e32 v2, 0x78, v2
	v_or_b32_e32 v6, 0x200, v0
	s_add_u32 s0, s10, s0
	v_add_u32_e32 v7, v1, v2
	v_lshrrev_b32_e32 v2, 2, v6
	s_addc_u32 s1, s11, s1
	v_and_b32_e32 v2, 0xf8, v2
	v_add_u32_e32 v8, v1, v2
	v_mov_b32_e32 v3, s1
	v_add_co_u32_e32 v2, vcc, s0, v1
	v_addc_co_u32_e32 v3, vcc, 0, v3, vcc
	s_and_b64 vcc, exec, s[20:21]
	s_waitcnt lgkmcnt(0)
	s_cbranch_vccz .LBB153_53
; %bb.52:
	s_barrier
	ds_read_b64 v[10:11], v7
	ds_read_b64 v[4:5], v8 offset:4096
	s_mov_b64 s[0:1], -1
	s_waitcnt lgkmcnt(1)
	global_store_dwordx2 v[2:3], v[10:11], off
	s_cbranch_execz .LBB153_54
	s_branch .LBB153_57
.LBB153_53:
	s_mov_b64 s[0:1], 0
                                        ; implicit-def: $vgpr4_vgpr5
.LBB153_54:
	s_barrier
	s_waitcnt lgkmcnt(0)
	ds_read_b64 v[4:5], v8 offset:4096
	s_sub_i32 s2, s16, s18
	v_cmp_gt_u32_e32 vcc, s2, v0
	s_and_saveexec_b64 s[0:1], vcc
	s_cbranch_execz .LBB153_56
; %bb.55:
	ds_read_b64 v[0:1], v7
	s_waitcnt lgkmcnt(0)
	global_store_dwordx2 v[2:3], v[0:1], off
.LBB153_56:
	s_or_b64 exec, exec, s[0:1]
	v_cmp_gt_u32_e64 s[0:1], s2, v6
.LBB153_57:
	s_and_saveexec_b64 s[2:3], s[0:1]
	s_cbranch_execz .LBB153_59
; %bb.58:
	v_add_co_u32_e32 v0, vcc, 0x1000, v2
	v_addc_co_u32_e32 v1, vcc, 0, v3, vcc
	s_waitcnt lgkmcnt(0)
	global_store_dwordx2 v[0:1], v[4:5], off
.LBB153_59:
	s_endpgm
.LBB153_60:
	v_subrev_u32_e32 v8, s19, v0
	v_cmp_gt_u32_e32 vcc, s26, v8
                                        ; implicit-def: $vgpr4_vgpr5
	s_and_saveexec_b64 s[8:9], vcc
	s_xor_b64 s[8:9], exec, s[8:9]
; %bb.61:
	v_mov_b32_e32 v9, 0
	v_lshlrev_b64 v[4:5], 3, v[8:9]
	v_mov_b32_e32 v8, s13
	v_add_co_u32_e32 v4, vcc, s12, v4
	s_mov_b64 s[6:7], exec
	v_addc_co_u32_e32 v5, vcc, v8, v5, vcc
; %bb.62:
	s_or_b64 exec, exec, s[8:9]
	s_and_b64 s[6:7], s[6:7], exec
	s_andn2_saveexec_b64 s[2:3], s[2:3]
	s_cbranch_execz .LBB153_30
.LBB153_63:
	v_mov_b32_e32 v5, s23
	v_add_co_u32_e32 v4, vcc, s22, v1
	v_addc_co_u32_e32 v5, vcc, 0, v5, vcc
	s_or_b64 s[6:7], s[6:7], exec
	s_or_b64 exec, exec, s[2:3]
	s_and_saveexec_b64 s[2:3], s[6:7]
	s_cbranch_execnz .LBB153_31
	s_branch .LBB153_32
	.section	.rodata,"a",@progbits
	.p2align	6, 0x0
	.amdhsa_kernel _ZN7rocprim17ROCPRIM_304000_NS6detail35device_block_merge_mergepath_kernelINS1_37wrapped_merge_sort_block_merge_configINS0_14default_configEdN2at4cuda3cub6detail10OpaqueTypeILi8EEEEEPdSC_PSA_SD_jNS1_19radix_merge_compareILb0ELb0EdNS0_19identity_decomposerEEEEEvT0_T1_T2_T3_T4_SL_jT5_PKSL_NS1_7vsmem_tE
		.amdhsa_group_segment_fixed_size 8448
		.amdhsa_private_segment_fixed_size 0
		.amdhsa_kernarg_size 320
		.amdhsa_user_sgpr_count 6
		.amdhsa_user_sgpr_private_segment_buffer 1
		.amdhsa_user_sgpr_dispatch_ptr 0
		.amdhsa_user_sgpr_queue_ptr 0
		.amdhsa_user_sgpr_kernarg_segment_ptr 1
		.amdhsa_user_sgpr_dispatch_id 0
		.amdhsa_user_sgpr_flat_scratch_init 0
		.amdhsa_user_sgpr_kernarg_preload_length 0
		.amdhsa_user_sgpr_kernarg_preload_offset 0
		.amdhsa_user_sgpr_private_segment_size 0
		.amdhsa_uses_dynamic_stack 0
		.amdhsa_system_sgpr_private_segment_wavefront_offset 0
		.amdhsa_system_sgpr_workgroup_id_x 1
		.amdhsa_system_sgpr_workgroup_id_y 1
		.amdhsa_system_sgpr_workgroup_id_z 1
		.amdhsa_system_sgpr_workgroup_info 0
		.amdhsa_system_vgpr_workitem_id 0
		.amdhsa_next_free_vgpr 21
		.amdhsa_next_free_sgpr 29
		.amdhsa_accum_offset 24
		.amdhsa_reserve_vcc 1
		.amdhsa_reserve_flat_scratch 0
		.amdhsa_float_round_mode_32 0
		.amdhsa_float_round_mode_16_64 0
		.amdhsa_float_denorm_mode_32 3
		.amdhsa_float_denorm_mode_16_64 3
		.amdhsa_dx10_clamp 1
		.amdhsa_ieee_mode 1
		.amdhsa_fp16_overflow 0
		.amdhsa_tg_split 0
		.amdhsa_exception_fp_ieee_invalid_op 0
		.amdhsa_exception_fp_denorm_src 0
		.amdhsa_exception_fp_ieee_div_zero 0
		.amdhsa_exception_fp_ieee_overflow 0
		.amdhsa_exception_fp_ieee_underflow 0
		.amdhsa_exception_fp_ieee_inexact 0
		.amdhsa_exception_int_div_zero 0
	.end_amdhsa_kernel
	.section	.text._ZN7rocprim17ROCPRIM_304000_NS6detail35device_block_merge_mergepath_kernelINS1_37wrapped_merge_sort_block_merge_configINS0_14default_configEdN2at4cuda3cub6detail10OpaqueTypeILi8EEEEEPdSC_PSA_SD_jNS1_19radix_merge_compareILb0ELb0EdNS0_19identity_decomposerEEEEEvT0_T1_T2_T3_T4_SL_jT5_PKSL_NS1_7vsmem_tE,"axG",@progbits,_ZN7rocprim17ROCPRIM_304000_NS6detail35device_block_merge_mergepath_kernelINS1_37wrapped_merge_sort_block_merge_configINS0_14default_configEdN2at4cuda3cub6detail10OpaqueTypeILi8EEEEEPdSC_PSA_SD_jNS1_19radix_merge_compareILb0ELb0EdNS0_19identity_decomposerEEEEEvT0_T1_T2_T3_T4_SL_jT5_PKSL_NS1_7vsmem_tE,comdat
.Lfunc_end153:
	.size	_ZN7rocprim17ROCPRIM_304000_NS6detail35device_block_merge_mergepath_kernelINS1_37wrapped_merge_sort_block_merge_configINS0_14default_configEdN2at4cuda3cub6detail10OpaqueTypeILi8EEEEEPdSC_PSA_SD_jNS1_19radix_merge_compareILb0ELb0EdNS0_19identity_decomposerEEEEEvT0_T1_T2_T3_T4_SL_jT5_PKSL_NS1_7vsmem_tE, .Lfunc_end153-_ZN7rocprim17ROCPRIM_304000_NS6detail35device_block_merge_mergepath_kernelINS1_37wrapped_merge_sort_block_merge_configINS0_14default_configEdN2at4cuda3cub6detail10OpaqueTypeILi8EEEEEPdSC_PSA_SD_jNS1_19radix_merge_compareILb0ELb0EdNS0_19identity_decomposerEEEEEvT0_T1_T2_T3_T4_SL_jT5_PKSL_NS1_7vsmem_tE
                                        ; -- End function
	.section	.AMDGPU.csdata,"",@progbits
; Kernel info:
; codeLenInByte = 2392
; NumSgprs: 33
; NumVgprs: 21
; NumAgprs: 0
; TotalNumVgprs: 21
; ScratchSize: 0
; MemoryBound: 1
; FloatMode: 240
; IeeeMode: 1
; LDSByteSize: 8448 bytes/workgroup (compile time only)
; SGPRBlocks: 4
; VGPRBlocks: 2
; NumSGPRsForWavesPerEU: 33
; NumVGPRsForWavesPerEU: 21
; AccumOffset: 24
; Occupancy: 8
; WaveLimiterHint : 1
; COMPUTE_PGM_RSRC2:SCRATCH_EN: 0
; COMPUTE_PGM_RSRC2:USER_SGPR: 6
; COMPUTE_PGM_RSRC2:TRAP_HANDLER: 0
; COMPUTE_PGM_RSRC2:TGID_X_EN: 1
; COMPUTE_PGM_RSRC2:TGID_Y_EN: 1
; COMPUTE_PGM_RSRC2:TGID_Z_EN: 1
; COMPUTE_PGM_RSRC2:TIDIG_COMP_CNT: 0
; COMPUTE_PGM_RSRC3_GFX90A:ACCUM_OFFSET: 5
; COMPUTE_PGM_RSRC3_GFX90A:TG_SPLIT: 0
	.section	.text._ZN7rocprim17ROCPRIM_304000_NS6detail33device_block_merge_oddeven_kernelINS1_37wrapped_merge_sort_block_merge_configINS0_14default_configEdN2at4cuda3cub6detail10OpaqueTypeILi8EEEEEPdSC_PSA_SD_jNS1_19radix_merge_compareILb0ELb0EdNS0_19identity_decomposerEEEEEvT0_T1_T2_T3_T4_SL_T5_,"axG",@progbits,_ZN7rocprim17ROCPRIM_304000_NS6detail33device_block_merge_oddeven_kernelINS1_37wrapped_merge_sort_block_merge_configINS0_14default_configEdN2at4cuda3cub6detail10OpaqueTypeILi8EEEEEPdSC_PSA_SD_jNS1_19radix_merge_compareILb0ELb0EdNS0_19identity_decomposerEEEEEvT0_T1_T2_T3_T4_SL_T5_,comdat
	.protected	_ZN7rocprim17ROCPRIM_304000_NS6detail33device_block_merge_oddeven_kernelINS1_37wrapped_merge_sort_block_merge_configINS0_14default_configEdN2at4cuda3cub6detail10OpaqueTypeILi8EEEEEPdSC_PSA_SD_jNS1_19radix_merge_compareILb0ELb0EdNS0_19identity_decomposerEEEEEvT0_T1_T2_T3_T4_SL_T5_ ; -- Begin function _ZN7rocprim17ROCPRIM_304000_NS6detail33device_block_merge_oddeven_kernelINS1_37wrapped_merge_sort_block_merge_configINS0_14default_configEdN2at4cuda3cub6detail10OpaqueTypeILi8EEEEEPdSC_PSA_SD_jNS1_19radix_merge_compareILb0ELb0EdNS0_19identity_decomposerEEEEEvT0_T1_T2_T3_T4_SL_T5_
	.globl	_ZN7rocprim17ROCPRIM_304000_NS6detail33device_block_merge_oddeven_kernelINS1_37wrapped_merge_sort_block_merge_configINS0_14default_configEdN2at4cuda3cub6detail10OpaqueTypeILi8EEEEEPdSC_PSA_SD_jNS1_19radix_merge_compareILb0ELb0EdNS0_19identity_decomposerEEEEEvT0_T1_T2_T3_T4_SL_T5_
	.p2align	8
	.type	_ZN7rocprim17ROCPRIM_304000_NS6detail33device_block_merge_oddeven_kernelINS1_37wrapped_merge_sort_block_merge_configINS0_14default_configEdN2at4cuda3cub6detail10OpaqueTypeILi8EEEEEPdSC_PSA_SD_jNS1_19radix_merge_compareILb0ELb0EdNS0_19identity_decomposerEEEEEvT0_T1_T2_T3_T4_SL_T5_,@function
_ZN7rocprim17ROCPRIM_304000_NS6detail33device_block_merge_oddeven_kernelINS1_37wrapped_merge_sort_block_merge_configINS0_14default_configEdN2at4cuda3cub6detail10OpaqueTypeILi8EEEEEPdSC_PSA_SD_jNS1_19radix_merge_compareILb0ELb0EdNS0_19identity_decomposerEEEEEvT0_T1_T2_T3_T4_SL_T5_: ; @_ZN7rocprim17ROCPRIM_304000_NS6detail33device_block_merge_oddeven_kernelINS1_37wrapped_merge_sort_block_merge_configINS0_14default_configEdN2at4cuda3cub6detail10OpaqueTypeILi8EEEEEPdSC_PSA_SD_jNS1_19radix_merge_compareILb0ELb0EdNS0_19identity_decomposerEEEEEvT0_T1_T2_T3_T4_SL_T5_
; %bb.0:
	s_load_dwordx2 s[16:17], s[4:5], 0x20
	s_waitcnt lgkmcnt(0)
	s_lshr_b32 s2, s16, 8
	s_cmp_lg_u32 s6, s2
	s_cselect_b64 s[0:1], -1, 0
	s_cmp_eq_u32 s6, s2
	s_cselect_b64 s[18:19], -1, 0
	s_lshl_b32 s20, s6, 8
	s_sub_i32 s2, s16, s20
	v_cmp_gt_u32_e64 s[2:3], s2, v0
	s_or_b64 s[0:1], s[0:1], s[2:3]
	s_and_saveexec_b64 s[8:9], s[0:1]
	s_cbranch_execz .LBB154_26
; %bb.1:
	s_load_dwordx8 s[8:15], s[4:5], 0x0
	s_mov_b32 s21, 0
	s_lshl_b64 s[0:1], s[20:21], 3
	v_lshlrev_b32_e32 v1, 3, v0
	v_add_u32_e32 v6, s20, v0
	s_waitcnt lgkmcnt(0)
	s_add_u32 s4, s8, s0
	s_addc_u32 s5, s9, s1
	s_add_u32 s0, s12, s0
	s_addc_u32 s1, s13, s1
	global_load_dwordx2 v[2:3], v1, s[0:1]
	global_load_dwordx2 v[4:5], v1, s[4:5]
	s_lshr_b32 s0, s17, 8
	s_sub_i32 s1, 0, s0
	s_and_b32 s1, s6, s1
	s_and_b32 s0, s1, s0
	s_lshl_b32 s22, s1, 8
	s_sub_i32 s6, 0, s17
	s_cmp_eq_u32 s0, 0
	s_cselect_b64 s[0:1], -1, 0
	s_and_b64 s[4:5], s[0:1], exec
	s_cselect_b32 s21, s17, s6
	s_add_i32 s21, s21, s22
	s_cmp_lt_u32 s21, s16
	s_cbranch_scc1 .LBB154_6
; %bb.2:
	s_and_b64 vcc, exec, s[18:19]
	s_cbranch_vccz .LBB154_7
; %bb.3:
	v_cmp_gt_u32_e32 vcc, s16, v6
	s_mov_b64 s[6:7], 0
	s_mov_b64 s[4:5], 0
                                        ; implicit-def: $vgpr0_vgpr1
	s_and_saveexec_b64 s[12:13], vcc
	s_cbranch_execz .LBB154_5
; %bb.4:
	v_mov_b32_e32 v7, 0
	v_lshlrev_b64 v[8:9], 3, v[6:7]
	v_mov_b32_e32 v1, s15
	v_add_co_u32_e32 v0, vcc, s14, v8
	v_addc_co_u32_e32 v1, vcc, v1, v9, vcc
	v_mov_b32_e32 v7, s11
	v_add_co_u32_e32 v8, vcc, s10, v8
	s_mov_b64 s[4:5], exec
	v_addc_co_u32_e32 v9, vcc, v7, v9, vcc
	s_waitcnt vmcnt(0)
	global_store_dwordx2 v[8:9], v[4:5], off
.LBB154_5:
	s_or_b64 exec, exec, s[12:13]
	s_and_b64 vcc, exec, s[6:7]
	s_cbranch_vccnz .LBB154_8
	s_branch .LBB154_9
.LBB154_6:
	s_mov_b64 s[4:5], 0
                                        ; implicit-def: $vgpr0_vgpr1
	s_cbranch_execnz .LBB154_10
	s_branch .LBB154_24
.LBB154_7:
	s_mov_b64 s[4:5], 0
                                        ; implicit-def: $vgpr0_vgpr1
	s_cbranch_execz .LBB154_9
.LBB154_8:
	v_mov_b32_e32 v7, 0
	v_lshlrev_b64 v[0:1], 3, v[6:7]
	v_mov_b32_e32 v7, s11
	v_add_co_u32_e32 v8, vcc, s10, v0
	v_addc_co_u32_e32 v9, vcc, v7, v1, vcc
	v_mov_b32_e32 v7, s15
	v_add_co_u32_e32 v0, vcc, s14, v0
	v_addc_co_u32_e32 v1, vcc, v7, v1, vcc
	s_or_b64 s[4:5], s[4:5], exec
	s_waitcnt vmcnt(0)
	global_store_dwordx2 v[8:9], v[4:5], off
.LBB154_9:
	s_branch .LBB154_24
.LBB154_10:
	s_min_u32 s20, s21, s16
	s_add_i32 s6, s20, s17
	s_min_u32 s16, s6, s16
	s_min_u32 s6, s22, s20
	s_add_i32 s22, s22, s20
	v_subrev_u32_e32 v0, s22, v6
	v_add_u32_e32 v8, s6, v0
	s_and_b64 vcc, exec, s[18:19]
	s_cbranch_vccz .LBB154_18
; %bb.11:
                                        ; implicit-def: $vgpr0_vgpr1
	s_and_saveexec_b64 s[6:7], s[2:3]
	s_cbranch_execz .LBB154_17
; %bb.12:
	s_cmp_ge_u32 s21, s16
	v_mov_b32_e32 v9, s20
	s_cbranch_scc1 .LBB154_16
; %bb.13:
	s_mov_b32 s2, 0
	s_brev_b32 s3, 1
	s_waitcnt vmcnt(0)
	v_cmp_ne_u64_e32 vcc, s[2:3], v[4:5]
	v_cndmask_b32_e32 v1, 0, v5, vcc
	v_cndmask_b32_e32 v0, 0, v4, vcc
	v_bfrev_b32_e32 v10, 1
	v_cmp_lt_i64_e32 vcc, -1, v[0:1]
	v_cndmask_b32_e32 v6, -1, v10, vcc
	v_ashrrev_i32_e32 v7, 31, v1
	v_xor_b32_e32 v1, v6, v1
	v_xor_b32_e32 v0, v7, v0
	s_mov_b64 s[12:13], 0
	v_mov_b32_e32 v11, s16
	v_mov_b32_e32 v9, s20
	;; [unrolled: 1-line block ×4, first 2 shown]
.LBB154_14:                             ; =>This Inner Loop Header: Depth=1
	v_add_u32_e32 v6, v9, v11
	v_lshrrev_b32_e32 v6, 1, v6
	v_lshlrev_b64 v[14:15], 3, v[6:7]
	v_add_co_u32_e32 v14, vcc, s8, v14
	v_addc_co_u32_e32 v15, vcc, v12, v15, vcc
	global_load_dwordx2 v[14:15], v[14:15], off
	v_add_u32_e32 v13, 1, v6
	s_waitcnt vmcnt(0)
	v_cmp_ne_u64_e32 vcc, s[2:3], v[14:15]
	v_cndmask_b32_e32 v15, 0, v15, vcc
	v_cndmask_b32_e32 v14, 0, v14, vcc
	v_cmp_lt_i64_e32 vcc, -1, v[14:15]
	v_ashrrev_i32_e32 v16, 31, v15
	v_cndmask_b32_e32 v17, -1, v10, vcc
	v_xor_b32_e32 v14, v16, v14
	v_xor_b32_e32 v15, v17, v15
	v_cmp_gt_u64_e32 vcc, v[0:1], v[14:15]
	v_cndmask_b32_e64 v16, 0, 1, vcc
	v_cmp_le_u64_e32 vcc, v[14:15], v[0:1]
	v_cndmask_b32_e64 v14, 0, 1, vcc
	v_cndmask_b32_e64 v14, v14, v16, s[0:1]
	v_and_b32_e32 v14, 1, v14
	v_cmp_eq_u32_e32 vcc, 1, v14
	v_cndmask_b32_e32 v11, v6, v11, vcc
	v_cndmask_b32_e32 v9, v9, v13, vcc
	v_cmp_ge_u32_e32 vcc, v9, v11
	s_or_b64 s[12:13], vcc, s[12:13]
	s_andn2_b64 exec, exec, s[12:13]
	s_cbranch_execnz .LBB154_14
; %bb.15:
	s_or_b64 exec, exec, s[12:13]
.LBB154_16:
	v_add_u32_e32 v0, v9, v8
	v_mov_b32_e32 v1, 0
	v_lshlrev_b64 v[0:1], 3, v[0:1]
	v_mov_b32_e32 v7, s11
	v_add_co_u32_e32 v6, vcc, s10, v0
	v_addc_co_u32_e32 v7, vcc, v7, v1, vcc
	s_waitcnt vmcnt(0)
	global_store_dwordx2 v[6:7], v[4:5], off
	v_mov_b32_e32 v6, s15
	v_add_co_u32_e32 v0, vcc, s14, v0
	v_addc_co_u32_e32 v1, vcc, v6, v1, vcc
	s_or_b64 s[4:5], s[4:5], exec
.LBB154_17:
	s_or_b64 exec, exec, s[6:7]
	s_branch .LBB154_24
.LBB154_18:
                                        ; implicit-def: $vgpr0_vgpr1
	s_cbranch_execz .LBB154_24
; %bb.19:
	s_cmp_ge_u32 s21, s16
	v_mov_b32_e32 v9, s20
	s_cbranch_scc1 .LBB154_23
; %bb.20:
	s_mov_b32 s2, 0
	s_brev_b32 s3, 1
	s_waitcnt vmcnt(0)
	v_cmp_ne_u64_e32 vcc, s[2:3], v[4:5]
	v_cndmask_b32_e32 v1, 0, v5, vcc
	v_cndmask_b32_e32 v0, 0, v4, vcc
	v_bfrev_b32_e32 v10, 1
	v_cmp_lt_i64_e32 vcc, -1, v[0:1]
	v_cndmask_b32_e32 v6, -1, v10, vcc
	v_ashrrev_i32_e32 v7, 31, v1
	v_xor_b32_e32 v1, v6, v1
	v_xor_b32_e32 v0, v7, v0
	s_mov_b64 s[4:5], 0
	v_mov_b32_e32 v11, s16
	v_mov_b32_e32 v9, s20
	;; [unrolled: 1-line block ×4, first 2 shown]
.LBB154_21:                             ; =>This Inner Loop Header: Depth=1
	v_add_u32_e32 v6, v9, v11
	v_lshrrev_b32_e32 v6, 1, v6
	v_lshlrev_b64 v[14:15], 3, v[6:7]
	v_add_co_u32_e32 v14, vcc, s8, v14
	v_addc_co_u32_e32 v15, vcc, v12, v15, vcc
	global_load_dwordx2 v[14:15], v[14:15], off
	v_add_u32_e32 v13, 1, v6
	s_waitcnt vmcnt(0)
	v_cmp_ne_u64_e32 vcc, s[2:3], v[14:15]
	v_cndmask_b32_e32 v15, 0, v15, vcc
	v_cndmask_b32_e32 v14, 0, v14, vcc
	v_cmp_lt_i64_e32 vcc, -1, v[14:15]
	v_ashrrev_i32_e32 v16, 31, v15
	v_cndmask_b32_e32 v17, -1, v10, vcc
	v_xor_b32_e32 v14, v16, v14
	v_xor_b32_e32 v15, v17, v15
	v_cmp_gt_u64_e32 vcc, v[0:1], v[14:15]
	v_cndmask_b32_e64 v16, 0, 1, vcc
	v_cmp_le_u64_e32 vcc, v[14:15], v[0:1]
	v_cndmask_b32_e64 v14, 0, 1, vcc
	v_cndmask_b32_e64 v14, v14, v16, s[0:1]
	v_and_b32_e32 v14, 1, v14
	v_cmp_eq_u32_e32 vcc, 1, v14
	v_cndmask_b32_e32 v11, v6, v11, vcc
	v_cndmask_b32_e32 v9, v9, v13, vcc
	v_cmp_ge_u32_e32 vcc, v9, v11
	s_or_b64 s[4:5], vcc, s[4:5]
	s_andn2_b64 exec, exec, s[4:5]
	s_cbranch_execnz .LBB154_21
; %bb.22:
	s_or_b64 exec, exec, s[4:5]
.LBB154_23:
	v_add_u32_e32 v0, v9, v8
	v_mov_b32_e32 v1, 0
	v_lshlrev_b64 v[0:1], 3, v[0:1]
	v_mov_b32_e32 v7, s11
	v_add_co_u32_e32 v6, vcc, s10, v0
	v_addc_co_u32_e32 v7, vcc, v7, v1, vcc
	s_waitcnt vmcnt(0)
	global_store_dwordx2 v[6:7], v[4:5], off
	v_mov_b32_e32 v4, s15
	v_add_co_u32_e32 v0, vcc, s14, v0
	v_addc_co_u32_e32 v1, vcc, v4, v1, vcc
	s_mov_b64 s[4:5], -1
.LBB154_24:
	s_and_b64 exec, exec, s[4:5]
	s_cbranch_execz .LBB154_26
; %bb.25:
	s_waitcnt vmcnt(1)
	global_store_dwordx2 v[0:1], v[2:3], off
.LBB154_26:
	s_endpgm
	.section	.rodata,"a",@progbits
	.p2align	6, 0x0
	.amdhsa_kernel _ZN7rocprim17ROCPRIM_304000_NS6detail33device_block_merge_oddeven_kernelINS1_37wrapped_merge_sort_block_merge_configINS0_14default_configEdN2at4cuda3cub6detail10OpaqueTypeILi8EEEEEPdSC_PSA_SD_jNS1_19radix_merge_compareILb0ELb0EdNS0_19identity_decomposerEEEEEvT0_T1_T2_T3_T4_SL_T5_
		.amdhsa_group_segment_fixed_size 0
		.amdhsa_private_segment_fixed_size 0
		.amdhsa_kernarg_size 44
		.amdhsa_user_sgpr_count 6
		.amdhsa_user_sgpr_private_segment_buffer 1
		.amdhsa_user_sgpr_dispatch_ptr 0
		.amdhsa_user_sgpr_queue_ptr 0
		.amdhsa_user_sgpr_kernarg_segment_ptr 1
		.amdhsa_user_sgpr_dispatch_id 0
		.amdhsa_user_sgpr_flat_scratch_init 0
		.amdhsa_user_sgpr_kernarg_preload_length 0
		.amdhsa_user_sgpr_kernarg_preload_offset 0
		.amdhsa_user_sgpr_private_segment_size 0
		.amdhsa_uses_dynamic_stack 0
		.amdhsa_system_sgpr_private_segment_wavefront_offset 0
		.amdhsa_system_sgpr_workgroup_id_x 1
		.amdhsa_system_sgpr_workgroup_id_y 0
		.amdhsa_system_sgpr_workgroup_id_z 0
		.amdhsa_system_sgpr_workgroup_info 0
		.amdhsa_system_vgpr_workitem_id 0
		.amdhsa_next_free_vgpr 18
		.amdhsa_next_free_sgpr 23
		.amdhsa_accum_offset 20
		.amdhsa_reserve_vcc 1
		.amdhsa_reserve_flat_scratch 0
		.amdhsa_float_round_mode_32 0
		.amdhsa_float_round_mode_16_64 0
		.amdhsa_float_denorm_mode_32 3
		.amdhsa_float_denorm_mode_16_64 3
		.amdhsa_dx10_clamp 1
		.amdhsa_ieee_mode 1
		.amdhsa_fp16_overflow 0
		.amdhsa_tg_split 0
		.amdhsa_exception_fp_ieee_invalid_op 0
		.amdhsa_exception_fp_denorm_src 0
		.amdhsa_exception_fp_ieee_div_zero 0
		.amdhsa_exception_fp_ieee_overflow 0
		.amdhsa_exception_fp_ieee_underflow 0
		.amdhsa_exception_fp_ieee_inexact 0
		.amdhsa_exception_int_div_zero 0
	.end_amdhsa_kernel
	.section	.text._ZN7rocprim17ROCPRIM_304000_NS6detail33device_block_merge_oddeven_kernelINS1_37wrapped_merge_sort_block_merge_configINS0_14default_configEdN2at4cuda3cub6detail10OpaqueTypeILi8EEEEEPdSC_PSA_SD_jNS1_19radix_merge_compareILb0ELb0EdNS0_19identity_decomposerEEEEEvT0_T1_T2_T3_T4_SL_T5_,"axG",@progbits,_ZN7rocprim17ROCPRIM_304000_NS6detail33device_block_merge_oddeven_kernelINS1_37wrapped_merge_sort_block_merge_configINS0_14default_configEdN2at4cuda3cub6detail10OpaqueTypeILi8EEEEEPdSC_PSA_SD_jNS1_19radix_merge_compareILb0ELb0EdNS0_19identity_decomposerEEEEEvT0_T1_T2_T3_T4_SL_T5_,comdat
.Lfunc_end154:
	.size	_ZN7rocprim17ROCPRIM_304000_NS6detail33device_block_merge_oddeven_kernelINS1_37wrapped_merge_sort_block_merge_configINS0_14default_configEdN2at4cuda3cub6detail10OpaqueTypeILi8EEEEEPdSC_PSA_SD_jNS1_19radix_merge_compareILb0ELb0EdNS0_19identity_decomposerEEEEEvT0_T1_T2_T3_T4_SL_T5_, .Lfunc_end154-_ZN7rocprim17ROCPRIM_304000_NS6detail33device_block_merge_oddeven_kernelINS1_37wrapped_merge_sort_block_merge_configINS0_14default_configEdN2at4cuda3cub6detail10OpaqueTypeILi8EEEEEPdSC_PSA_SD_jNS1_19radix_merge_compareILb0ELb0EdNS0_19identity_decomposerEEEEEvT0_T1_T2_T3_T4_SL_T5_
                                        ; -- End function
	.section	.AMDGPU.csdata,"",@progbits
; Kernel info:
; codeLenInByte = 976
; NumSgprs: 27
; NumVgprs: 18
; NumAgprs: 0
; TotalNumVgprs: 18
; ScratchSize: 0
; MemoryBound: 0
; FloatMode: 240
; IeeeMode: 1
; LDSByteSize: 0 bytes/workgroup (compile time only)
; SGPRBlocks: 3
; VGPRBlocks: 2
; NumSGPRsForWavesPerEU: 27
; NumVGPRsForWavesPerEU: 18
; AccumOffset: 20
; Occupancy: 8
; WaveLimiterHint : 0
; COMPUTE_PGM_RSRC2:SCRATCH_EN: 0
; COMPUTE_PGM_RSRC2:USER_SGPR: 6
; COMPUTE_PGM_RSRC2:TRAP_HANDLER: 0
; COMPUTE_PGM_RSRC2:TGID_X_EN: 1
; COMPUTE_PGM_RSRC2:TGID_Y_EN: 0
; COMPUTE_PGM_RSRC2:TGID_Z_EN: 0
; COMPUTE_PGM_RSRC2:TIDIG_COMP_CNT: 0
; COMPUTE_PGM_RSRC3_GFX90A:ACCUM_OFFSET: 4
; COMPUTE_PGM_RSRC3_GFX90A:TG_SPLIT: 0
	.section	.text._ZN7rocprim17ROCPRIM_304000_NS6detail26onesweep_histograms_kernelINS1_34wrapped_radix_sort_onesweep_configINS0_14default_configEdN2at4cuda3cub6detail10OpaqueTypeILi8EEEEELb0EPKdmNS0_19identity_decomposerEEEvT1_PT2_SG_SG_T3_jj,"axG",@progbits,_ZN7rocprim17ROCPRIM_304000_NS6detail26onesweep_histograms_kernelINS1_34wrapped_radix_sort_onesweep_configINS0_14default_configEdN2at4cuda3cub6detail10OpaqueTypeILi8EEEEELb0EPKdmNS0_19identity_decomposerEEEvT1_PT2_SG_SG_T3_jj,comdat
	.protected	_ZN7rocprim17ROCPRIM_304000_NS6detail26onesweep_histograms_kernelINS1_34wrapped_radix_sort_onesweep_configINS0_14default_configEdN2at4cuda3cub6detail10OpaqueTypeILi8EEEEELb0EPKdmNS0_19identity_decomposerEEEvT1_PT2_SG_SG_T3_jj ; -- Begin function _ZN7rocprim17ROCPRIM_304000_NS6detail26onesweep_histograms_kernelINS1_34wrapped_radix_sort_onesweep_configINS0_14default_configEdN2at4cuda3cub6detail10OpaqueTypeILi8EEEEELb0EPKdmNS0_19identity_decomposerEEEvT1_PT2_SG_SG_T3_jj
	.globl	_ZN7rocprim17ROCPRIM_304000_NS6detail26onesweep_histograms_kernelINS1_34wrapped_radix_sort_onesweep_configINS0_14default_configEdN2at4cuda3cub6detail10OpaqueTypeILi8EEEEELb0EPKdmNS0_19identity_decomposerEEEvT1_PT2_SG_SG_T3_jj
	.p2align	8
	.type	_ZN7rocprim17ROCPRIM_304000_NS6detail26onesweep_histograms_kernelINS1_34wrapped_radix_sort_onesweep_configINS0_14default_configEdN2at4cuda3cub6detail10OpaqueTypeILi8EEEEELb0EPKdmNS0_19identity_decomposerEEEvT1_PT2_SG_SG_T3_jj,@function
_ZN7rocprim17ROCPRIM_304000_NS6detail26onesweep_histograms_kernelINS1_34wrapped_radix_sort_onesweep_configINS0_14default_configEdN2at4cuda3cub6detail10OpaqueTypeILi8EEEEELb0EPKdmNS0_19identity_decomposerEEEvT1_PT2_SG_SG_T3_jj: ; @_ZN7rocprim17ROCPRIM_304000_NS6detail26onesweep_histograms_kernelINS1_34wrapped_radix_sort_onesweep_configINS0_14default_configEdN2at4cuda3cub6detail10OpaqueTypeILi8EEEEELb0EPKdmNS0_19identity_decomposerEEEvT1_PT2_SG_SG_T3_jj
; %bb.0:
	s_load_dwordx8 s[12:19], s[4:5], 0x0
	s_load_dwordx2 s[20:21], s[4:5], 0x24
	s_mov_b32 s7, 0
	s_mul_i32 s1, s6, 0xc000
	s_mul_hi_u32 s0, s6, 0xc000
	s_waitcnt lgkmcnt(0)
	v_pk_mov_b32 v[2:3], s[18:19], s[18:19] op_sel:[0,1]
	v_cmp_ge_u64_e32 vcc, s[6:7], v[2:3]
	s_add_u32 s12, s12, s1
	s_addc_u32 s13, s13, s0
	s_mov_b64 s[0:1], -1
	v_lshlrev_b32_e32 v16, 3, v0
	s_cbranch_vccz .LBB155_44
; %bb.1:
	s_mul_i32 s0, s18, 0xffffe800
	s_add_i32 s16, s0, s16
	v_mov_b32_e32 v1, s13
	v_add_co_u32_e32 v14, vcc, s12, v16
	v_addc_co_u32_e32 v15, vcc, 0, v1, vcc
	v_cmp_gt_u32_e64 s[10:11], s16, v0
                                        ; implicit-def: $vgpr12_vgpr13
	s_and_saveexec_b64 s[0:1], s[10:11]
	s_cbranch_execz .LBB155_3
; %bb.2:
	global_load_dwordx2 v[12:13], v[14:15], off
.LBB155_3:
	s_or_b64 exec, exec, s[0:1]
	v_or_b32_e32 v1, 0x400, v0
	v_cmp_gt_u32_e64 s[8:9], s16, v1
                                        ; implicit-def: $vgpr10_vgpr11
	s_and_saveexec_b64 s[0:1], s[8:9]
	s_cbranch_execz .LBB155_5
; %bb.4:
	v_add_co_u32_e32 v2, vcc, 0x2000, v14
	v_addc_co_u32_e32 v3, vcc, 0, v15, vcc
	global_load_dwordx2 v[10:11], v[2:3], off
.LBB155_5:
	s_or_b64 exec, exec, s[0:1]
	v_or_b32_e32 v1, 0x800, v0
	v_cmp_gt_u32_e64 s[6:7], s16, v1
                                        ; implicit-def: $vgpr8_vgpr9
	s_and_saveexec_b64 s[0:1], s[6:7]
	s_cbranch_execz .LBB155_7
; %bb.6:
	v_add_co_u32_e32 v2, vcc, 0x4000, v14
	v_addc_co_u32_e32 v3, vcc, 0, v15, vcc
	global_load_dwordx2 v[8:9], v[2:3], off
.LBB155_7:
	s_or_b64 exec, exec, s[0:1]
	v_or_b32_e32 v1, 0xc00, v0
	v_cmp_gt_u32_e64 s[4:5], s16, v1
                                        ; implicit-def: $vgpr6_vgpr7
	s_and_saveexec_b64 s[0:1], s[4:5]
	s_cbranch_execz .LBB155_9
; %bb.8:
	v_add_co_u32_e32 v2, vcc, 0x6000, v14
	v_addc_co_u32_e32 v3, vcc, 0, v15, vcc
	global_load_dwordx2 v[6:7], v[2:3], off
.LBB155_9:
	s_or_b64 exec, exec, s[0:1]
	v_or_b32_e32 v1, 0x1000, v0
	v_cmp_gt_u32_e64 s[2:3], s16, v1
                                        ; implicit-def: $vgpr4_vgpr5
	s_and_saveexec_b64 s[0:1], s[2:3]
	s_cbranch_execz .LBB155_11
; %bb.10:
	v_add_co_u32_e32 v2, vcc, 0x8000, v14
	v_addc_co_u32_e32 v3, vcc, 0, v15, vcc
	global_load_dwordx2 v[4:5], v[2:3], off
.LBB155_11:
	s_or_b64 exec, exec, s[0:1]
	v_or_b32_e32 v1, 0x1400, v0
	v_cmp_gt_u32_e64 s[0:1], s16, v1
                                        ; implicit-def: $vgpr2_vgpr3
	s_and_saveexec_b64 s[16:17], s[0:1]
	s_cbranch_execz .LBB155_13
; %bb.12:
	v_add_co_u32_e32 v2, vcc, 0xa000, v14
	v_addc_co_u32_e32 v3, vcc, 0, v15, vcc
	global_load_dwordx2 v[2:3], v[2:3], off
.LBB155_13:
	s_or_b64 exec, exec, s[16:17]
	s_cmp_gt_u32 s21, s20
	v_lshlrev_b32_e32 v1, 2, v0
	v_mov_b32_e32 v14, 0
	s_cselect_b64 s[16:17], -1, 0
	s_cmp_le_u32 s21, s20
	ds_write2st64_b32 v1, v14, v14 offset1:16
	ds_write2st64_b32 v1, v14, v14 offset0:32 offset1:48
	ds_write2st64_b32 v1, v14, v14 offset0:64 offset1:80
	;; [unrolled: 1-line block ×3, first 2 shown]
	s_waitcnt lgkmcnt(0)
	s_barrier
	s_cbranch_scc1 .LBB155_38
; %bb.14:
	v_bfrev_b32_e32 v14, 1
	s_waitcnt vmcnt(0)
	v_cmp_lt_i64_e32 vcc, -1, v[12:13]
	s_mov_b32 s18, -1
	v_cndmask_b32_e32 v15, -1, v14, vcc
	v_ashrrev_i32_e32 v17, 31, v13
	v_and_b32_e32 v1, 3, v0
	s_brev_b32 s19, -2
	v_xor_b32_e32 v13, v15, v13
	v_xor_b32_e32 v12, v17, v12
	v_cmp_ne_u64_e32 vcc, s[18:19], v[12:13]
	v_lshlrev_b32_e32 v1, 2, v1
	s_sub_i32 s22, s21, s20
	v_cndmask_b32_e32 v13, v14, v13, vcc
	v_cndmask_b32_e32 v12, 0, v12, vcc
	v_mov_b32_e32 v14, 1
	s_mov_b32 s23, s22
	v_mov_b32_e32 v15, v1
	s_mov_b32 s24, s20
	s_branch .LBB155_16
.LBB155_15:                             ;   in Loop: Header=BB155_16 Depth=1
	s_or_b64 exec, exec, s[18:19]
	s_add_i32 s24, s24, 8
	s_add_i32 s23, s23, -8
	s_cmp_ge_u32 s24, s21
	v_add_u32_e32 v15, 0x1000, v15
	s_cbranch_scc1 .LBB155_18
.LBB155_16:                             ; =>This Inner Loop Header: Depth=1
	s_and_saveexec_b64 s[18:19], s[10:11]
	s_cbranch_execz .LBB155_15
; %bb.17:                               ;   in Loop: Header=BB155_16 Depth=1
	s_min_u32 s25, s23, 8
	v_lshrrev_b64 v[18:19], s24, v[12:13]
	v_bfe_u32 v17, v18, 0, s25
	v_lshl_add_u32 v17, v17, 4, v15
	ds_add_u32 v17, v14
	s_branch .LBB155_15
.LBB155_18:
	v_bfrev_b32_e32 v12, 1
	v_cmp_lt_i64_e32 vcc, -1, v[10:11]
	s_mov_b32 s10, -1
	v_cndmask_b32_e32 v13, -1, v12, vcc
	v_ashrrev_i32_e32 v14, 31, v11
	s_brev_b32 s11, -2
	v_xor_b32_e32 v11, v13, v11
	v_xor_b32_e32 v10, v14, v10
	v_cmp_ne_u64_e32 vcc, s[10:11], v[10:11]
	v_cndmask_b32_e32 v11, v12, v11, vcc
	v_cndmask_b32_e32 v10, 0, v10, vcc
	v_mov_b32_e32 v12, 1
	s_mov_b32 s18, s22
	v_mov_b32_e32 v13, v1
	s_mov_b32 s19, s20
	s_branch .LBB155_20
.LBB155_19:                             ;   in Loop: Header=BB155_20 Depth=1
	s_or_b64 exec, exec, s[10:11]
	s_add_i32 s19, s19, 8
	s_add_i32 s18, s18, -8
	s_cmp_lt_u32 s19, s21
	v_add_u32_e32 v13, 0x1000, v13
	s_cbranch_scc0 .LBB155_22
.LBB155_20:                             ; =>This Inner Loop Header: Depth=1
	s_and_saveexec_b64 s[10:11], s[8:9]
	s_cbranch_execz .LBB155_19
; %bb.21:                               ;   in Loop: Header=BB155_20 Depth=1
	s_min_u32 s23, s18, 8
	v_lshrrev_b64 v[14:15], s19, v[10:11]
	v_bfe_u32 v14, v14, 0, s23
	v_lshl_add_u32 v14, v14, 4, v13
	ds_add_u32 v14, v12
	s_branch .LBB155_19
.LBB155_22:
	v_bfrev_b32_e32 v10, 1
	v_cmp_lt_i64_e32 vcc, -1, v[8:9]
	s_mov_b32 s8, -1
	v_cndmask_b32_e32 v11, -1, v10, vcc
	v_ashrrev_i32_e32 v12, 31, v9
	s_brev_b32 s9, -2
	v_xor_b32_e32 v9, v11, v9
	v_xor_b32_e32 v8, v12, v8
	v_cmp_ne_u64_e32 vcc, s[8:9], v[8:9]
	v_cndmask_b32_e32 v9, v10, v9, vcc
	v_cndmask_b32_e32 v8, 0, v8, vcc
	v_mov_b32_e32 v10, 1
	s_mov_b32 s10, s22
	v_mov_b32_e32 v11, v1
	s_mov_b32 s11, s20
	s_branch .LBB155_24
.LBB155_23:                             ;   in Loop: Header=BB155_24 Depth=1
	s_or_b64 exec, exec, s[8:9]
	s_add_i32 s11, s11, 8
	s_add_i32 s10, s10, -8
	s_cmp_lt_u32 s11, s21
	v_add_u32_e32 v11, 0x1000, v11
	s_cbranch_scc0 .LBB155_26
.LBB155_24:                             ; =>This Inner Loop Header: Depth=1
	s_and_saveexec_b64 s[8:9], s[6:7]
	s_cbranch_execz .LBB155_23
; %bb.25:                               ;   in Loop: Header=BB155_24 Depth=1
	s_min_u32 s18, s10, 8
	v_lshrrev_b64 v[12:13], s11, v[8:9]
	v_bfe_u32 v12, v12, 0, s18
	v_lshl_add_u32 v12, v12, 4, v11
	ds_add_u32 v12, v10
	s_branch .LBB155_23
.LBB155_26:
	;; [unrolled: 34-line block ×4, first 2 shown]
	v_bfrev_b32_e32 v4, 1
	v_cmp_lt_i64_e32 vcc, -1, v[2:3]
	s_mov_b32 s2, -1
	v_cndmask_b32_e32 v5, -1, v4, vcc
	v_ashrrev_i32_e32 v6, 31, v3
	s_brev_b32 s3, -2
	v_xor_b32_e32 v3, v5, v3
	v_xor_b32_e32 v2, v6, v2
	v_cmp_ne_u64_e32 vcc, s[2:3], v[2:3]
	v_cndmask_b32_e32 v3, v4, v3, vcc
	v_cndmask_b32_e32 v2, 0, v2, vcc
	v_mov_b32_e32 v4, 1
	s_mov_b32 s4, s20
	s_branch .LBB155_36
.LBB155_35:                             ;   in Loop: Header=BB155_36 Depth=1
	s_or_b64 exec, exec, s[2:3]
	s_add_i32 s4, s4, 8
	s_add_i32 s22, s22, -8
	s_cmp_lt_u32 s4, s21
	v_add_u32_e32 v1, 0x1000, v1
	s_cbranch_scc0 .LBB155_38
.LBB155_36:                             ; =>This Inner Loop Header: Depth=1
	s_and_saveexec_b64 s[2:3], s[0:1]
	s_cbranch_execz .LBB155_35
; %bb.37:                               ;   in Loop: Header=BB155_36 Depth=1
	s_min_u32 s5, s22, 8
	v_lshrrev_b64 v[6:7], s4, v[2:3]
	v_bfe_u32 v5, v6, 0, s5
	v_lshl_add_u32 v5, v5, 4, v1
	ds_add_u32 v5, v4
	s_branch .LBB155_35
.LBB155_38:
	s_and_b64 vcc, exec, s[16:17]
	s_waitcnt lgkmcnt(0)
	s_barrier
	s_cbranch_vccz .LBB155_43
; %bb.39:
	s_movk_i32 s0, 0x100
	v_cmp_gt_u32_e32 vcc, s0, v0
	v_lshlrev_b32_e32 v1, 4, v0
	s_waitcnt vmcnt(0)
	v_mov_b32_e32 v3, 0
	v_mov_b32_e32 v2, v0
	s_mov_b32 s4, s20
	s_branch .LBB155_41
.LBB155_40:                             ;   in Loop: Header=BB155_41 Depth=1
	s_or_b64 exec, exec, s[2:3]
	s_add_i32 s4, s4, 8
	v_add_u32_e32 v2, 0x100, v2
	s_cmp_lt_u32 s4, s21
	v_add_u32_e32 v1, 0x1000, v1
	s_cbranch_scc0 .LBB155_43
.LBB155_41:                             ; =>This Inner Loop Header: Depth=1
	s_and_saveexec_b64 s[2:3], vcc
	s_cbranch_execz .LBB155_40
; %bb.42:                               ;   in Loop: Header=BB155_41 Depth=1
	ds_read2_b32 v[4:5], v1 offset1:1
	ds_read2_b32 v[6:7], v1 offset0:2 offset1:3
	v_lshlrev_b64 v[8:9], 3, v[2:3]
	v_mov_b32_e32 v10, s15
	s_waitcnt lgkmcnt(1)
	v_add_u32_e32 v4, v5, v4
	s_waitcnt lgkmcnt(0)
	v_add3_u32 v4, v4, v6, v7
	v_add_co_u32_e64 v6, s[0:1], s14, v8
	v_addc_co_u32_e64 v7, s[0:1], v10, v9, s[0:1]
	v_mov_b32_e32 v5, v3
	global_atomic_add_x2 v[6:7], v[4:5], off
	s_branch .LBB155_40
.LBB155_43:
	s_mov_b64 s[0:1], 0
.LBB155_44:
	s_and_b64 vcc, exec, s[0:1]
	s_cbranch_vccz .LBB155_68
; %bb.45:
	v_mov_b32_e32 v1, s13
	v_add_co_u32_e32 v17, vcc, s12, v16
	v_addc_co_u32_e32 v1, vcc, 0, v1, vcc
	s_waitcnt vmcnt(0)
	v_add_co_u32_e32 v6, vcc, 0x2000, v17
	v_addc_co_u32_e32 v7, vcc, 0, v1, vcc
	v_add_co_u32_e32 v12, vcc, 0x4000, v17
	v_addc_co_u32_e32 v13, vcc, 0, v1, vcc
	;; [unrolled: 2-line block ×4, first 2 shown]
	global_load_dwordx2 v[10:11], v[6:7], off
	global_load_dwordx2 v[8:9], v[12:13], off
	;; [unrolled: 1-line block ×4, first 2 shown]
	v_add_co_u32_e32 v14, vcc, 0xa000, v17
	v_addc_co_u32_e32 v15, vcc, 0, v1, vcc
	global_load_dwordx2 v[12:13], v16, s[12:13]
	global_load_dwordx2 v[6:7], v[14:15], off
	s_cmp_eq_u32 s20, 0
	s_cselect_b64 s[0:1], -1, 0
	s_cmp_eq_u32 s21, 64
	s_cselect_b64 s[2:3], -1, 0
	s_and_b64 s[2:3], s[0:1], s[2:3]
	s_mov_b64 s[0:1], -1
	s_and_b64 vcc, exec, s[2:3]
	v_lshlrev_b32_e32 v17, 2, v0
	s_cbranch_vccnz .LBB155_65
; %bb.46:
	s_cmp_gt_u32 s21, s20
	s_cselect_b64 s[0:1], -1, 0
	v_mov_b32_e32 v1, 0
	s_and_b64 vcc, exec, s[0:1]
	ds_write2st64_b32 v17, v1, v1 offset1:16
	ds_write2st64_b32 v17, v1, v1 offset0:32 offset1:48
	ds_write2st64_b32 v17, v1, v1 offset0:64 offset1:80
	;; [unrolled: 1-line block ×3, first 2 shown]
	s_waitcnt lgkmcnt(0)
	s_barrier
	s_cbranch_vccz .LBB155_59
; %bb.47:
	v_bfrev_b32_e32 v18, 1
	s_waitcnt vmcnt(1)
	v_cmp_lt_i64_e32 vcc, -1, v[12:13]
	s_mov_b32 s2, -1
	v_cndmask_b32_e32 v14, -1, v18, vcc
	v_ashrrev_i32_e32 v19, 31, v13
	v_and_b32_e32 v1, 3, v0
	s_brev_b32 s3, -2
	v_xor_b32_e32 v15, v14, v13
	v_xor_b32_e32 v14, v19, v12
	v_cmp_ne_u64_e32 vcc, s[2:3], v[14:15]
	v_lshlrev_b32_e32 v1, 2, v1
	s_sub_i32 s2, s21, s20
	v_cndmask_b32_e32 v15, v18, v15, vcc
	v_cndmask_b32_e32 v14, 0, v14, vcc
	v_mov_b32_e32 v18, 1
	s_mov_b32 s3, s2
	v_mov_b32_e32 v19, v1
	s_mov_b32 s4, s20
.LBB155_48:                             ; =>This Inner Loop Header: Depth=1
	s_min_u32 s5, s3, 8
	v_lshrrev_b64 v[20:21], s4, v[14:15]
	v_bfe_u32 v20, v20, 0, s5
	v_lshl_add_u32 v20, v20, 4, v19
	ds_add_u32 v20, v18
	s_add_i32 s4, s4, 8
	s_add_i32 s3, s3, -8
	s_cmp_ge_u32 s4, s21
	v_add_u32_e32 v19, 0x1000, v19
	s_cbranch_scc0 .LBB155_48
; %bb.49:
	v_bfrev_b32_e32 v18, 1
	v_cmp_lt_i64_e32 vcc, -1, v[10:11]
	s_mov_b32 s4, -1
	v_cndmask_b32_e32 v14, -1, v18, vcc
	v_ashrrev_i32_e32 v19, 31, v11
	s_brev_b32 s5, -2
	v_xor_b32_e32 v15, v14, v11
	v_xor_b32_e32 v14, v19, v10
	v_cmp_ne_u64_e32 vcc, s[4:5], v[14:15]
	v_cndmask_b32_e32 v15, v18, v15, vcc
	v_cndmask_b32_e32 v14, 0, v14, vcc
	v_mov_b32_e32 v18, 1
	s_mov_b32 s3, s2
	v_mov_b32_e32 v19, v1
	s_mov_b32 s4, s20
.LBB155_50:                             ; =>This Inner Loop Header: Depth=1
	s_min_u32 s5, s3, 8
	v_lshrrev_b64 v[20:21], s4, v[14:15]
	v_bfe_u32 v20, v20, 0, s5
	v_lshl_add_u32 v20, v20, 4, v19
	ds_add_u32 v20, v18
	s_add_i32 s4, s4, 8
	s_add_i32 s3, s3, -8
	s_cmp_lt_u32 s4, s21
	v_add_u32_e32 v19, 0x1000, v19
	s_cbranch_scc1 .LBB155_50
; %bb.51:
	v_bfrev_b32_e32 v18, 1
	v_cmp_lt_i64_e32 vcc, -1, v[8:9]
	s_mov_b32 s4, -1
	v_cndmask_b32_e32 v14, -1, v18, vcc
	v_ashrrev_i32_e32 v19, 31, v9
	s_brev_b32 s5, -2
	v_xor_b32_e32 v15, v14, v9
	v_xor_b32_e32 v14, v19, v8
	v_cmp_ne_u64_e32 vcc, s[4:5], v[14:15]
	v_cndmask_b32_e32 v15, v18, v15, vcc
	v_cndmask_b32_e32 v14, 0, v14, vcc
	v_mov_b32_e32 v18, 1
	s_mov_b32 s3, s2
	v_mov_b32_e32 v19, v1
	s_mov_b32 s4, s20
.LBB155_52:                             ; =>This Inner Loop Header: Depth=1
	s_min_u32 s5, s3, 8
	v_lshrrev_b64 v[20:21], s4, v[14:15]
	v_bfe_u32 v20, v20, 0, s5
	v_lshl_add_u32 v20, v20, 4, v19
	ds_add_u32 v20, v18
	s_add_i32 s4, s4, 8
	s_add_i32 s3, s3, -8
	s_cmp_lt_u32 s4, s21
	v_add_u32_e32 v19, 0x1000, v19
	s_cbranch_scc1 .LBB155_52
	;; [unrolled: 27-line block ×4, first 2 shown]
; %bb.57:
	v_bfrev_b32_e32 v18, 1
	s_waitcnt vmcnt(0)
	v_cmp_lt_i64_e32 vcc, -1, v[6:7]
	s_mov_b32 s4, -1
	v_cndmask_b32_e32 v14, -1, v18, vcc
	v_ashrrev_i32_e32 v19, 31, v7
	s_brev_b32 s5, -2
	v_xor_b32_e32 v15, v14, v7
	v_xor_b32_e32 v14, v19, v6
	v_cmp_ne_u64_e32 vcc, s[4:5], v[14:15]
	v_cndmask_b32_e32 v15, v18, v15, vcc
	v_cndmask_b32_e32 v14, 0, v14, vcc
	v_mov_b32_e32 v18, 1
	s_mov_b32 s3, s20
.LBB155_58:                             ; =>This Inner Loop Header: Depth=1
	s_min_u32 s4, s2, 8
	v_lshrrev_b64 v[20:21], s3, v[14:15]
	v_bfe_u32 v19, v20, 0, s4
	v_lshl_add_u32 v19, v19, 4, v1
	ds_add_u32 v19, v18
	s_add_i32 s3, s3, 8
	s_add_i32 s2, s2, -8
	s_cmp_lt_u32 s3, s21
	v_add_u32_e32 v1, 0x1000, v1
	s_cbranch_scc1 .LBB155_58
.LBB155_59:
	s_and_b64 vcc, exec, s[0:1]
	s_waitcnt lgkmcnt(0)
	s_barrier
	s_cbranch_vccz .LBB155_64
; %bb.60:
	s_movk_i32 s0, 0x100
	v_cmp_gt_u32_e32 vcc, s0, v0
	v_lshlrev_b32_e32 v1, 4, v0
	v_mov_b32_e32 v15, 0
	v_mov_b32_e32 v14, v0
	s_branch .LBB155_62
.LBB155_61:                             ;   in Loop: Header=BB155_62 Depth=1
	s_or_b64 exec, exec, s[2:3]
	s_add_i32 s20, s20, 8
	v_add_u32_e32 v14, 0x100, v14
	s_cmp_ge_u32 s20, s21
	v_add_u32_e32 v1, 0x1000, v1
	s_cbranch_scc1 .LBB155_64
.LBB155_62:                             ; =>This Inner Loop Header: Depth=1
	s_and_saveexec_b64 s[2:3], vcc
	s_cbranch_execz .LBB155_61
; %bb.63:                               ;   in Loop: Header=BB155_62 Depth=1
	ds_read2_b32 v[18:19], v1 offset1:1
	ds_read2_b32 v[20:21], v1 offset0:2 offset1:3
	v_lshlrev_b64 v[22:23], 3, v[14:15]
	v_mov_b32_e32 v24, s15
	s_waitcnt lgkmcnt(1)
	v_add_u32_e32 v18, v19, v18
	s_waitcnt lgkmcnt(0)
	v_add3_u32 v18, v18, v20, v21
	v_add_co_u32_e64 v20, s[0:1], s14, v22
	v_addc_co_u32_e64 v21, s[0:1], v24, v23, s[0:1]
	v_mov_b32_e32 v19, v15
	global_atomic_add_x2 v[20:21], v[18:19], off
	s_branch .LBB155_61
.LBB155_64:
	s_mov_b64 s[0:1], 0
.LBB155_65:
	s_and_b64 vcc, exec, s[0:1]
	s_cbranch_vccz .LBB155_68
; %bb.66:
	v_mov_b32_e32 v1, 0
	ds_write2st64_b32 v17, v1, v1 offset1:16
	ds_write2st64_b32 v17, v1, v1 offset0:32 offset1:48
	ds_write2st64_b32 v17, v1, v1 offset0:64 offset1:80
	;; [unrolled: 1-line block ×3, first 2 shown]
	v_bfrev_b32_e32 v17, 1
	s_waitcnt vmcnt(1)
	v_cmp_lt_i64_e32 vcc, -1, v[12:13]
	v_cndmask_b32_e32 v14, -1, v17, vcc
	v_cmp_lt_i64_e32 vcc, -1, v[10:11]
	v_ashrrev_i32_e32 v15, 31, v13
	v_xor_b32_e32 v13, v14, v13
	v_cndmask_b32_e32 v14, -1, v17, vcc
	v_cmp_lt_i64_e32 vcc, -1, v[8:9]
	v_xor_b32_e32 v12, v15, v12
	v_ashrrev_i32_e32 v15, 31, v11
	v_xor_b32_e32 v11, v14, v11
	v_cndmask_b32_e32 v14, -1, v17, vcc
	v_ashrrev_i32_e32 v18, 31, v9
	v_cmp_lt_i64_e32 vcc, -1, v[4:5]
	s_mov_b32 s0, -1
	v_xor_b32_e32 v10, v15, v10
	v_xor_b32_e32 v15, v14, v9
	;; [unrolled: 1-line block ×3, first 2 shown]
	v_cndmask_b32_e32 v8, -1, v17, vcc
	v_ashrrev_i32_e32 v18, 31, v5
	v_cmp_lt_i64_e32 vcc, -1, v[2:3]
	s_brev_b32 s1, -2
	v_xor_b32_e32 v9, v8, v5
	v_xor_b32_e32 v8, v18, v4
	v_cndmask_b32_e32 v4, -1, v17, vcc
	v_ashrrev_i32_e32 v18, 31, v3
	s_waitcnt vmcnt(0)
	v_cmp_lt_i64_e32 vcc, -1, v[6:7]
	v_xor_b32_e32 v5, v4, v3
	v_xor_b32_e32 v4, v18, v2
	v_cndmask_b32_e32 v2, -1, v17, vcc
	v_cmp_ne_u64_e32 vcc, s[0:1], v[12:13]
	v_ashrrev_i32_e32 v18, 31, v7
	v_cndmask_b32_e32 v12, 0, v12, vcc
	v_xor_b32_e32 v3, v2, v7
	v_xor_b32_e32 v2, v18, v6
	v_and_b32_e32 v6, 3, v0
	v_cndmask_b32_e32 v7, v17, v13, vcc
	v_lshlrev_b32_e32 v13, 2, v12
	s_movk_i32 s2, 0x3fc
	v_and_or_b32 v13, v13, s2, v6
	v_lshlrev_b32_e32 v13, 2, v13
	v_mov_b32_e32 v18, 1
	s_waitcnt lgkmcnt(0)
	s_barrier
	ds_add_u32 v13, v18
	v_bfe_u32 v13, v12, 8, 8
	v_lshl_or_b32 v13, v13, 2, v6
	v_lshlrev_b32_e32 v13, 2, v13
	ds_add_u32 v13, v18 offset:4096
	v_bfe_u32 v13, v12, 16, 8
	v_lshl_or_b32 v13, v13, 2, v6
	v_lshlrev_b32_e32 v13, 2, v13
	ds_add_u32 v13, v18 offset:8192
	v_lshrrev_b32_e32 v13, 24, v12
	v_lshl_or_b32 v13, v13, 2, v6
	v_alignbit_b32 v12, v7, v12, 30
	v_lshlrev_b32_e32 v13, 2, v13
	v_and_or_b32 v12, v12, s2, v6
	ds_add_u32 v13, v18 offset:12288
	v_lshlrev_b32_e32 v12, 2, v12
	ds_add_u32 v12, v18 offset:16384
	v_bfe_u32 v12, v7, 8, 8
	v_lshl_or_b32 v12, v12, 2, v6
	v_lshlrev_b32_e32 v12, 2, v12
	ds_add_u32 v12, v18 offset:20480
	v_bfe_u32 v12, v7, 16, 8
	v_lshl_or_b32 v12, v12, 2, v6
	v_lshrrev_b32_e32 v7, 24, v7
	v_lshlrev_b32_e32 v12, 2, v12
	v_lshl_or_b32 v7, v7, 2, v6
	v_cmp_ne_u64_e32 vcc, s[0:1], v[10:11]
	ds_add_u32 v12, v18 offset:24576
	v_lshlrev_b32_e32 v7, 2, v7
	v_cndmask_b32_e32 v10, 0, v10, vcc
	ds_add_u32 v7, v18 offset:28672
	v_cndmask_b32_e32 v7, v17, v11, vcc
	v_lshlrev_b32_e32 v11, 2, v10
	v_and_or_b32 v11, v11, s2, v6
	v_lshlrev_b32_e32 v11, 2, v11
	ds_add_u32 v11, v18
	v_bfe_u32 v11, v10, 8, 8
	v_lshl_or_b32 v11, v11, 2, v6
	v_lshlrev_b32_e32 v11, 2, v11
	ds_add_u32 v11, v18 offset:4096
	v_bfe_u32 v11, v10, 16, 8
	v_lshl_or_b32 v11, v11, 2, v6
	v_lshlrev_b32_e32 v11, 2, v11
	ds_add_u32 v11, v18 offset:8192
	v_lshrrev_b32_e32 v11, 24, v10
	v_lshl_or_b32 v11, v11, 2, v6
	v_alignbit_b32 v10, v7, v10, 30
	v_lshlrev_b32_e32 v11, 2, v11
	v_and_or_b32 v10, v10, s2, v6
	ds_add_u32 v11, v18 offset:12288
	v_lshlrev_b32_e32 v10, 2, v10
	ds_add_u32 v10, v18 offset:16384
	v_bfe_u32 v10, v7, 8, 8
	v_lshl_or_b32 v10, v10, 2, v6
	v_lshlrev_b32_e32 v10, 2, v10
	ds_add_u32 v10, v18 offset:20480
	v_bfe_u32 v10, v7, 16, 8
	v_lshl_or_b32 v10, v10, 2, v6
	v_lshlrev_b32_e32 v10, 2, v10
	v_cmp_ne_u64_e32 vcc, s[0:1], v[14:15]
	ds_add_u32 v10, v18 offset:24576
	v_lshrrev_b32_e32 v7, 24, v7
	v_cndmask_b32_e32 v10, 0, v14, vcc
	v_lshl_or_b32 v7, v7, 2, v6
	v_lshlrev_b32_e32 v11, 2, v10
	v_lshlrev_b32_e32 v7, 2, v7
	v_and_or_b32 v11, v11, s2, v6
	ds_add_u32 v7, v18 offset:28672
	v_lshlrev_b32_e32 v11, 2, v11
	ds_add_u32 v11, v18
	v_bfe_u32 v11, v10, 8, 8
	v_lshl_or_b32 v11, v11, 2, v6
	v_lshlrev_b32_e32 v11, 2, v11
	ds_add_u32 v11, v18 offset:4096
	v_bfe_u32 v11, v10, 16, 8
	v_lshl_or_b32 v11, v11, 2, v6
	v_lshlrev_b32_e32 v11, 2, v11
	v_cndmask_b32_e32 v7, v17, v15, vcc
	ds_add_u32 v11, v18 offset:8192
	v_lshrrev_b32_e32 v11, 24, v10
	v_lshl_or_b32 v11, v11, 2, v6
	v_alignbit_b32 v10, v7, v10, 30
	v_lshlrev_b32_e32 v11, 2, v11
	v_and_or_b32 v10, v10, s2, v6
	ds_add_u32 v11, v18 offset:12288
	v_lshlrev_b32_e32 v10, 2, v10
	ds_add_u32 v10, v18 offset:16384
	v_bfe_u32 v10, v7, 8, 8
	v_lshl_or_b32 v10, v10, 2, v6
	v_lshlrev_b32_e32 v10, 2, v10
	ds_add_u32 v10, v18 offset:20480
	v_bfe_u32 v10, v7, 16, 8
	v_lshl_or_b32 v10, v10, 2, v6
	v_lshrrev_b32_e32 v7, 24, v7
	v_lshlrev_b32_e32 v10, 2, v10
	v_lshl_or_b32 v7, v7, 2, v6
	v_cmp_ne_u64_e32 vcc, s[0:1], v[8:9]
	ds_add_u32 v10, v18 offset:24576
	v_lshlrev_b32_e32 v7, 2, v7
	v_cndmask_b32_e32 v8, 0, v8, vcc
	ds_add_u32 v7, v18 offset:28672
	v_cndmask_b32_e32 v7, v17, v9, vcc
	v_lshlrev_b32_e32 v9, 2, v8
	v_and_or_b32 v9, v9, s2, v6
	v_lshlrev_b32_e32 v9, 2, v9
	ds_add_u32 v9, v18
	v_bfe_u32 v9, v8, 8, 8
	v_lshl_or_b32 v9, v9, 2, v6
	v_lshlrev_b32_e32 v9, 2, v9
	ds_add_u32 v9, v18 offset:4096
	v_bfe_u32 v9, v8, 16, 8
	v_lshl_or_b32 v9, v9, 2, v6
	v_lshlrev_b32_e32 v9, 2, v9
	ds_add_u32 v9, v18 offset:8192
	v_lshrrev_b32_e32 v9, 24, v8
	v_lshl_or_b32 v9, v9, 2, v6
	v_alignbit_b32 v8, v7, v8, 30
	v_lshlrev_b32_e32 v9, 2, v9
	v_and_or_b32 v8, v8, s2, v6
	ds_add_u32 v9, v18 offset:12288
	v_lshlrev_b32_e32 v8, 2, v8
	ds_add_u32 v8, v18 offset:16384
	v_bfe_u32 v8, v7, 8, 8
	v_lshl_or_b32 v8, v8, 2, v6
	v_lshlrev_b32_e32 v8, 2, v8
	ds_add_u32 v8, v18 offset:20480
	v_bfe_u32 v8, v7, 16, 8
	v_lshl_or_b32 v8, v8, 2, v6
	v_lshrrev_b32_e32 v7, 24, v7
	v_lshlrev_b32_e32 v8, 2, v8
	v_lshl_or_b32 v7, v7, 2, v6
	v_cmp_ne_u64_e32 vcc, s[0:1], v[4:5]
	ds_add_u32 v8, v18 offset:24576
	v_lshlrev_b32_e32 v7, 2, v7
	v_cndmask_b32_e32 v4, 0, v4, vcc
	ds_add_u32 v7, v18 offset:28672
	v_lshlrev_b32_e32 v7, 2, v4
	v_and_or_b32 v7, v7, s2, v6
	v_lshlrev_b32_e32 v7, 2, v7
	ds_add_u32 v7, v18
	v_bfe_u32 v7, v4, 8, 8
	v_lshl_or_b32 v7, v7, 2, v6
	v_lshlrev_b32_e32 v7, 2, v7
	ds_add_u32 v7, v18 offset:4096
	v_bfe_u32 v7, v4, 16, 8
	v_lshl_or_b32 v7, v7, 2, v6
	v_lshlrev_b32_e32 v7, 2, v7
	v_cndmask_b32_e32 v5, v17, v5, vcc
	ds_add_u32 v7, v18 offset:8192
	v_lshrrev_b32_e32 v7, 24, v4
	v_lshl_or_b32 v7, v7, 2, v6
	v_alignbit_b32 v4, v5, v4, 30
	v_lshlrev_b32_e32 v7, 2, v7
	v_and_or_b32 v4, v4, s2, v6
	ds_add_u32 v7, v18 offset:12288
	v_lshlrev_b32_e32 v4, 2, v4
	ds_add_u32 v4, v18 offset:16384
	v_bfe_u32 v4, v5, 8, 8
	v_lshl_or_b32 v4, v4, 2, v6
	v_lshlrev_b32_e32 v4, 2, v4
	ds_add_u32 v4, v18 offset:20480
	v_bfe_u32 v4, v5, 16, 8
	v_lshl_or_b32 v4, v4, 2, v6
	v_lshlrev_b32_e32 v4, 2, v4
	ds_add_u32 v4, v18 offset:24576
	v_lshrrev_b32_e32 v4, 24, v5
	v_lshl_or_b32 v4, v4, 2, v6
	v_cmp_ne_u64_e32 vcc, s[0:1], v[2:3]
	v_lshlrev_b32_e32 v4, 2, v4
	v_cndmask_b32_e32 v2, 0, v2, vcc
	ds_add_u32 v4, v18 offset:28672
	v_lshlrev_b32_e32 v4, 2, v2
	v_and_or_b32 v4, v4, s2, v6
	v_lshlrev_b32_e32 v4, 2, v4
	ds_add_u32 v4, v18
	v_bfe_u32 v4, v2, 8, 8
	v_lshl_or_b32 v4, v4, 2, v6
	v_lshlrev_b32_e32 v4, 2, v4
	ds_add_u32 v4, v18 offset:4096
	v_bfe_u32 v4, v2, 16, 8
	v_lshl_or_b32 v4, v4, 2, v6
	v_lshlrev_b32_e32 v4, 2, v4
	v_cndmask_b32_e32 v3, v17, v3, vcc
	ds_add_u32 v4, v18 offset:8192
	v_lshrrev_b32_e32 v4, 24, v2
	v_lshl_or_b32 v4, v4, 2, v6
	v_alignbit_b32 v2, v3, v2, 30
	v_lshlrev_b32_e32 v4, 2, v4
	v_and_or_b32 v2, v2, s2, v6
	ds_add_u32 v4, v18 offset:12288
	v_lshlrev_b32_e32 v2, 2, v2
	ds_add_u32 v2, v18 offset:16384
	v_bfe_u32 v2, v3, 8, 8
	v_lshl_or_b32 v2, v2, 2, v6
	v_lshlrev_b32_e32 v2, 2, v2
	ds_add_u32 v2, v18 offset:20480
	v_bfe_u32 v2, v3, 16, 8
	v_lshl_or_b32 v2, v2, 2, v6
	v_lshlrev_b32_e32 v2, 2, v2
	ds_add_u32 v2, v18 offset:24576
	v_lshrrev_b32_e32 v2, 24, v3
	v_lshl_or_b32 v2, v2, 2, v6
	v_lshlrev_b32_e32 v2, 2, v2
	ds_add_u32 v2, v18 offset:28672
	s_movk_i32 s0, 0x100
	v_cmp_gt_u32_e32 vcc, s0, v0
	s_waitcnt lgkmcnt(0)
	s_barrier
	s_and_saveexec_b64 s[0:1], vcc
	s_cbranch_execz .LBB155_68
; %bb.67:
	v_lshlrev_b32_e32 v6, 4, v0
	ds_read2_b32 v[2:3], v6 offset1:1
	ds_read2_b32 v[4:5], v6 offset0:2 offset1:3
	v_add_u32_e32 v7, 0x1000, v6
	v_add_u32_e32 v8, 0x1008, v6
	v_add_u32_e32 v9, 0x3008, v6
	s_waitcnt lgkmcnt(1)
	v_add_u32_e32 v0, v3, v2
	s_waitcnt lgkmcnt(0)
	v_add3_u32 v0, v0, v4, v5
	global_atomic_add_x2 v16, v[0:1], s[14:15]
	ds_read2_b32 v[2:3], v7 offset1:1
	ds_read2_b32 v[4:5], v8 offset1:1
	v_add_u32_e32 v7, 0x2000, v6
	v_add_u32_e32 v8, 0x2008, v6
	s_waitcnt lgkmcnt(1)
	v_add_u32_e32 v0, v3, v2
	s_waitcnt lgkmcnt(0)
	v_add3_u32 v0, v0, v4, v5
	global_atomic_add_x2 v16, v[0:1], s[14:15] offset:2048
	ds_read2_b32 v[2:3], v7 offset1:1
	ds_read2_b32 v[4:5], v8 offset1:1
	v_or_b32_e32 v7, 0x1000, v16
	v_add_u32_e32 v8, 0x3000, v6
	s_waitcnt lgkmcnt(1)
	v_add_u32_e32 v0, v3, v2
	s_waitcnt lgkmcnt(0)
	v_add3_u32 v0, v0, v4, v5
	global_atomic_add_x2 v7, v[0:1], s[14:15]
	ds_read2_b32 v[2:3], v8 offset1:1
	ds_read2_b32 v[4:5], v9 offset1:1
	v_or_b32_e32 v7, 0x1800, v16
	v_or_b32_e32 v8, 0x4000, v6
	;; [unrolled: 1-line block ×3, first 2 shown]
	s_waitcnt lgkmcnt(1)
	v_add_u32_e32 v0, v3, v2
	s_waitcnt lgkmcnt(0)
	v_add3_u32 v0, v0, v4, v5
	global_atomic_add_x2 v7, v[0:1], s[14:15]
	ds_read2_b32 v[2:3], v8 offset1:1
	ds_read2_b32 v[4:5], v9 offset1:1
	v_or_b32_e32 v7, 0x2000, v16
	v_add_u32_e32 v8, 0x5000, v6
	v_add_u32_e32 v9, 0x5008, v6
	s_waitcnt lgkmcnt(1)
	v_add_u32_e32 v0, v3, v2
	s_waitcnt lgkmcnt(0)
	v_add3_u32 v0, v0, v4, v5
	global_atomic_add_x2 v7, v[0:1], s[14:15]
	ds_read2_b32 v[2:3], v8 offset1:1
	ds_read2_b32 v[4:5], v9 offset1:1
	v_or_b32_e32 v7, 0x2800, v16
	v_add_u32_e32 v8, 0x6000, v6
	v_add_u32_e32 v9, 0x6008, v6
	;; [unrolled: 10-line block ×3, first 2 shown]
	s_waitcnt lgkmcnt(1)
	v_add_u32_e32 v0, v3, v2
	s_waitcnt lgkmcnt(0)
	v_add3_u32 v0, v0, v4, v5
	global_atomic_add_x2 v7, v[0:1], s[14:15]
	ds_read2_b32 v[2:3], v8 offset1:1
	ds_read2_b32 v[4:5], v6 offset1:1
	s_waitcnt lgkmcnt(1)
	v_add_u32_e32 v0, v3, v2
	s_waitcnt lgkmcnt(0)
	v_add3_u32 v0, v0, v4, v5
	v_or_b32_e32 v2, 0x3800, v16
	global_atomic_add_x2 v2, v[0:1], s[14:15]
.LBB155_68:
	s_endpgm
	.section	.rodata,"a",@progbits
	.p2align	6, 0x0
	.amdhsa_kernel _ZN7rocprim17ROCPRIM_304000_NS6detail26onesweep_histograms_kernelINS1_34wrapped_radix_sort_onesweep_configINS0_14default_configEdN2at4cuda3cub6detail10OpaqueTypeILi8EEEEELb0EPKdmNS0_19identity_decomposerEEEvT1_PT2_SG_SG_T3_jj
		.amdhsa_group_segment_fixed_size 32768
		.amdhsa_private_segment_fixed_size 0
		.amdhsa_kernarg_size 44
		.amdhsa_user_sgpr_count 6
		.amdhsa_user_sgpr_private_segment_buffer 1
		.amdhsa_user_sgpr_dispatch_ptr 0
		.amdhsa_user_sgpr_queue_ptr 0
		.amdhsa_user_sgpr_kernarg_segment_ptr 1
		.amdhsa_user_sgpr_dispatch_id 0
		.amdhsa_user_sgpr_flat_scratch_init 0
		.amdhsa_user_sgpr_kernarg_preload_length 0
		.amdhsa_user_sgpr_kernarg_preload_offset 0
		.amdhsa_user_sgpr_private_segment_size 0
		.amdhsa_uses_dynamic_stack 0
		.amdhsa_system_sgpr_private_segment_wavefront_offset 0
		.amdhsa_system_sgpr_workgroup_id_x 1
		.amdhsa_system_sgpr_workgroup_id_y 0
		.amdhsa_system_sgpr_workgroup_id_z 0
		.amdhsa_system_sgpr_workgroup_info 0
		.amdhsa_system_vgpr_workitem_id 0
		.amdhsa_next_free_vgpr 25
		.amdhsa_next_free_sgpr 26
		.amdhsa_accum_offset 28
		.amdhsa_reserve_vcc 1
		.amdhsa_reserve_flat_scratch 0
		.amdhsa_float_round_mode_32 0
		.amdhsa_float_round_mode_16_64 0
		.amdhsa_float_denorm_mode_32 3
		.amdhsa_float_denorm_mode_16_64 3
		.amdhsa_dx10_clamp 1
		.amdhsa_ieee_mode 1
		.amdhsa_fp16_overflow 0
		.amdhsa_tg_split 0
		.amdhsa_exception_fp_ieee_invalid_op 0
		.amdhsa_exception_fp_denorm_src 0
		.amdhsa_exception_fp_ieee_div_zero 0
		.amdhsa_exception_fp_ieee_overflow 0
		.amdhsa_exception_fp_ieee_underflow 0
		.amdhsa_exception_fp_ieee_inexact 0
		.amdhsa_exception_int_div_zero 0
	.end_amdhsa_kernel
	.section	.text._ZN7rocprim17ROCPRIM_304000_NS6detail26onesweep_histograms_kernelINS1_34wrapped_radix_sort_onesweep_configINS0_14default_configEdN2at4cuda3cub6detail10OpaqueTypeILi8EEEEELb0EPKdmNS0_19identity_decomposerEEEvT1_PT2_SG_SG_T3_jj,"axG",@progbits,_ZN7rocprim17ROCPRIM_304000_NS6detail26onesweep_histograms_kernelINS1_34wrapped_radix_sort_onesweep_configINS0_14default_configEdN2at4cuda3cub6detail10OpaqueTypeILi8EEEEELb0EPKdmNS0_19identity_decomposerEEEvT1_PT2_SG_SG_T3_jj,comdat
.Lfunc_end155:
	.size	_ZN7rocprim17ROCPRIM_304000_NS6detail26onesweep_histograms_kernelINS1_34wrapped_radix_sort_onesweep_configINS0_14default_configEdN2at4cuda3cub6detail10OpaqueTypeILi8EEEEELb0EPKdmNS0_19identity_decomposerEEEvT1_PT2_SG_SG_T3_jj, .Lfunc_end155-_ZN7rocprim17ROCPRIM_304000_NS6detail26onesweep_histograms_kernelINS1_34wrapped_radix_sort_onesweep_configINS0_14default_configEdN2at4cuda3cub6detail10OpaqueTypeILi8EEEEELb0EPKdmNS0_19identity_decomposerEEEvT1_PT2_SG_SG_T3_jj
                                        ; -- End function
	.section	.AMDGPU.csdata,"",@progbits
; Kernel info:
; codeLenInByte = 4664
; NumSgprs: 30
; NumVgprs: 25
; NumAgprs: 0
; TotalNumVgprs: 25
; ScratchSize: 0
; MemoryBound: 0
; FloatMode: 240
; IeeeMode: 1
; LDSByteSize: 32768 bytes/workgroup (compile time only)
; SGPRBlocks: 3
; VGPRBlocks: 3
; NumSGPRsForWavesPerEU: 30
; NumVGPRsForWavesPerEU: 25
; AccumOffset: 28
; Occupancy: 8
; WaveLimiterHint : 1
; COMPUTE_PGM_RSRC2:SCRATCH_EN: 0
; COMPUTE_PGM_RSRC2:USER_SGPR: 6
; COMPUTE_PGM_RSRC2:TRAP_HANDLER: 0
; COMPUTE_PGM_RSRC2:TGID_X_EN: 1
; COMPUTE_PGM_RSRC2:TGID_Y_EN: 0
; COMPUTE_PGM_RSRC2:TGID_Z_EN: 0
; COMPUTE_PGM_RSRC2:TIDIG_COMP_CNT: 0
; COMPUTE_PGM_RSRC3_GFX90A:ACCUM_OFFSET: 6
; COMPUTE_PGM_RSRC3_GFX90A:TG_SPLIT: 0
	.section	.text._ZN7rocprim17ROCPRIM_304000_NS6detail25onesweep_iteration_kernelINS1_34wrapped_radix_sort_onesweep_configINS0_14default_configEdN2at4cuda3cub6detail10OpaqueTypeILi8EEEEELb0EPKdPdPKSA_PSA_mNS0_19identity_decomposerEEEvT1_T2_T3_T4_jPT5_SO_PNS1_23onesweep_lookback_stateET6_jjj,"axG",@progbits,_ZN7rocprim17ROCPRIM_304000_NS6detail25onesweep_iteration_kernelINS1_34wrapped_radix_sort_onesweep_configINS0_14default_configEdN2at4cuda3cub6detail10OpaqueTypeILi8EEEEELb0EPKdPdPKSA_PSA_mNS0_19identity_decomposerEEEvT1_T2_T3_T4_jPT5_SO_PNS1_23onesweep_lookback_stateET6_jjj,comdat
	.protected	_ZN7rocprim17ROCPRIM_304000_NS6detail25onesweep_iteration_kernelINS1_34wrapped_radix_sort_onesweep_configINS0_14default_configEdN2at4cuda3cub6detail10OpaqueTypeILi8EEEEELb0EPKdPdPKSA_PSA_mNS0_19identity_decomposerEEEvT1_T2_T3_T4_jPT5_SO_PNS1_23onesweep_lookback_stateET6_jjj ; -- Begin function _ZN7rocprim17ROCPRIM_304000_NS6detail25onesweep_iteration_kernelINS1_34wrapped_radix_sort_onesweep_configINS0_14default_configEdN2at4cuda3cub6detail10OpaqueTypeILi8EEEEELb0EPKdPdPKSA_PSA_mNS0_19identity_decomposerEEEvT1_T2_T3_T4_jPT5_SO_PNS1_23onesweep_lookback_stateET6_jjj
	.globl	_ZN7rocprim17ROCPRIM_304000_NS6detail25onesweep_iteration_kernelINS1_34wrapped_radix_sort_onesweep_configINS0_14default_configEdN2at4cuda3cub6detail10OpaqueTypeILi8EEEEELb0EPKdPdPKSA_PSA_mNS0_19identity_decomposerEEEvT1_T2_T3_T4_jPT5_SO_PNS1_23onesweep_lookback_stateET6_jjj
	.p2align	8
	.type	_ZN7rocprim17ROCPRIM_304000_NS6detail25onesweep_iteration_kernelINS1_34wrapped_radix_sort_onesweep_configINS0_14default_configEdN2at4cuda3cub6detail10OpaqueTypeILi8EEEEELb0EPKdPdPKSA_PSA_mNS0_19identity_decomposerEEEvT1_T2_T3_T4_jPT5_SO_PNS1_23onesweep_lookback_stateET6_jjj,@function
_ZN7rocprim17ROCPRIM_304000_NS6detail25onesweep_iteration_kernelINS1_34wrapped_radix_sort_onesweep_configINS0_14default_configEdN2at4cuda3cub6detail10OpaqueTypeILi8EEEEELb0EPKdPdPKSA_PSA_mNS0_19identity_decomposerEEEvT1_T2_T3_T4_jPT5_SO_PNS1_23onesweep_lookback_stateET6_jjj: ; @_ZN7rocprim17ROCPRIM_304000_NS6detail25onesweep_iteration_kernelINS1_34wrapped_radix_sort_onesweep_configINS0_14default_configEdN2at4cuda3cub6detail10OpaqueTypeILi8EEEEELb0EPKdPdPKSA_PSA_mNS0_19identity_decomposerEEEvT1_T2_T3_T4_jPT5_SO_PNS1_23onesweep_lookback_stateET6_jjj
; %bb.0:
	s_load_dwordx4 s[48:51], s[4:5], 0x44
	s_load_dwordx8 s[36:43], s[4:5], 0x0
	s_load_dwordx4 s[44:47], s[4:5], 0x28
	s_load_dwordx2 s[30:31], s[4:5], 0x38
	s_mul_i32 s34, s6, 0x1800
	s_waitcnt lgkmcnt(0)
	s_cmp_ge_u32 s6, s50
	v_mbcnt_lo_u32_b32 v1, -1, 0
	s_cbranch_scc0 .LBB156_86
; %bb.1:
	s_load_dword s0, s[4:5], 0x20
	s_mul_i32 s1, s50, 0xffffe800
	s_mov_b32 s35, 0
	s_lshl_b64 s[50:51], s[34:35], 3
	v_and_b32_e32 v8, 0x3ff, v0
	s_waitcnt lgkmcnt(0)
	s_add_i32 s35, s1, s0
	s_add_u32 s0, s36, s50
	v_mbcnt_hi_u32_b32 v21, -1, v1
	s_addc_u32 s1, s37, s51
	v_and_b32_e32 v2, 0x3c0, v8
	v_lshlrev_b32_e32 v9, 3, v21
	v_mul_u32_u24_e32 v2, 6, v2
	v_mov_b32_e32 v3, s1
	v_add_co_u32_e32 v4, vcc, s0, v9
	v_addc_co_u32_e32 v3, vcc, 0, v3, vcc
	v_lshlrev_b32_e32 v20, 3, v2
	s_mov_b32 s2, -1
	v_add_co_u32_e32 v16, vcc, v4, v20
	s_brev_b32 s3, -2
	v_addc_co_u32_e32 v17, vcc, 0, v3, vcc
	v_or_b32_e32 v4, v21, v2
	v_cmp_gt_u32_e32 vcc, s35, v4
	v_pk_mov_b32 v[2:3], s[2:3], s[2:3] op_sel:[0,1]
	s_and_saveexec_b64 s[0:1], vcc
	s_cbranch_execz .LBB156_3
; %bb.2:
	global_load_dwordx2 v[2:3], v[16:17], off
.LBB156_3:
	s_or_b64 exec, exec, s[0:1]
	v_add_u32_e32 v5, 64, v4
	v_cmp_gt_u32_e64 s[0:1], s35, v5
	v_pk_mov_b32 v[6:7], s[2:3], s[2:3] op_sel:[0,1]
	s_and_saveexec_b64 s[2:3], s[0:1]
	s_cbranch_execz .LBB156_5
; %bb.4:
	global_load_dwordx2 v[6:7], v[16:17], off offset:512
.LBB156_5:
	s_or_b64 exec, exec, s[2:3]
	s_mov_b32 s8, -1
	v_add_u32_e32 v5, 0x80, v4
	s_brev_b32 s9, -2
	v_cmp_gt_u32_e64 s[2:3], s35, v5
	v_pk_mov_b32 v[10:11], s[8:9], s[8:9] op_sel:[0,1]
	s_and_saveexec_b64 s[10:11], s[2:3]
	s_cbranch_execz .LBB156_7
; %bb.6:
	global_load_dwordx2 v[10:11], v[16:17], off offset:1024
.LBB156_7:
	s_or_b64 exec, exec, s[10:11]
	v_add_u32_e32 v5, 0xc0, v4
	v_cmp_gt_u32_e64 s[26:27], s35, v5
	v_pk_mov_b32 v[14:15], s[8:9], s[8:9] op_sel:[0,1]
	s_and_saveexec_b64 s[8:9], s[26:27]
	s_cbranch_execz .LBB156_9
; %bb.8:
	global_load_dwordx2 v[14:15], v[16:17], off offset:1536
.LBB156_9:
	s_or_b64 exec, exec, s[8:9]
	s_mov_b32 s12, -1
	v_add_u32_e32 v5, 0x100, v4
	s_brev_b32 s13, -2
	v_cmp_gt_u32_e64 s[8:9], s35, v5
	v_pk_mov_b32 v[12:13], s[12:13], s[12:13] op_sel:[0,1]
	s_and_saveexec_b64 s[10:11], s[8:9]
	s_cbranch_execz .LBB156_11
; %bb.10:
	global_load_dwordx2 v[12:13], v[16:17], off offset:2048
.LBB156_11:
	s_or_b64 exec, exec, s[10:11]
	v_add_u32_e32 v4, 0x140, v4
	v_cmp_gt_u32_e64 s[10:11], s35, v4
	v_pk_mov_b32 v[4:5], s[12:13], s[12:13] op_sel:[0,1]
	s_and_saveexec_b64 s[12:13], s[10:11]
	s_cbranch_execz .LBB156_13
; %bb.12:
	global_load_dwordx2 v[4:5], v[16:17], off offset:2560
.LBB156_13:
	s_or_b64 exec, exec, s[12:13]
	s_load_dword s12, s[4:5], 0x5c
	s_load_dword s7, s[4:5], 0x50
	s_add_u32 s13, s4, 0x50
	s_addc_u32 s14, s5, 0
	v_mov_b32_e32 v16, 0
	s_waitcnt lgkmcnt(0)
	s_lshr_b32 s15, s12, 16
	s_cmp_lt_u32 s6, s7
	s_cselect_b32 s12, 12, 18
	s_add_u32 s12, s13, s12
	s_addc_u32 s13, s14, 0
	global_load_ushort v23, v16, s[12:13]
	v_bfrev_b32_e32 v25, 1
	s_waitcnt vmcnt(1)
	v_cmp_lt_i64_e64 s[12:13], -1, v[2:3]
	s_mov_b32 s16, -1
	v_ashrrev_i32_e32 v17, 31, v3
	v_cndmask_b32_e64 v19, -1, v25, s[12:13]
	s_brev_b32 s17, -2
	v_xor_b32_e32 v2, v17, v2
	v_xor_b32_e32 v3, v19, v3
	v_mul_u32_u24_e32 v18, 5, v8
	v_cmp_ne_u64_e64 s[12:13], s[16:17], v[2:3]
	v_lshlrev_b32_e32 v22, 2, v18
	v_cndmask_b32_e64 v19, v25, v3, s[12:13]
	v_cndmask_b32_e64 v18, 0, v2, s[12:13]
	s_lshl_b32 s12, -1, s49
	v_bfe_u32 v24, v0, 10, 10
	v_bfe_u32 v26, v0, 20, 10
	v_lshrrev_b64 v[18:19], s48, v[18:19]
	s_not_b32 s33, s12
	v_mad_u32_u24 v19, v26, s15, v24
	v_and_b32_e32 v26, s33, v18
	v_and_b32_e32 v18, 1, v26
	v_add_co_u32_e64 v27, s[12:13], -1, v18
	v_lshlrev_b32_e32 v17, 30, v26
	v_addc_co_u32_e64 v28, s[12:13], 0, -1, s[12:13]
	v_cmp_ne_u32_e64 s[12:13], 0, v18
	v_cmp_gt_i64_e64 s[14:15], 0, v[16:17]
	v_not_b32_e32 v18, v17
	v_lshlrev_b32_e32 v17, 29, v26
	v_xor_b32_e32 v28, s13, v28
	v_xor_b32_e32 v27, s12, v27
	v_ashrrev_i32_e32 v18, 31, v18
	v_cmp_gt_i64_e64 s[12:13], 0, v[16:17]
	v_not_b32_e32 v29, v17
	v_lshlrev_b32_e32 v17, 28, v26
	v_and_b32_e32 v28, exec_hi, v28
	v_and_b32_e32 v27, exec_lo, v27
	v_xor_b32_e32 v30, s15, v18
	v_xor_b32_e32 v18, s14, v18
	v_ashrrev_i32_e32 v29, 31, v29
	v_cmp_gt_i64_e64 s[14:15], 0, v[16:17]
	v_not_b32_e32 v31, v17
	v_lshlrev_b32_e32 v17, 27, v26
	v_and_b32_e32 v28, v28, v30
	v_and_b32_e32 v18, v27, v18
	v_xor_b32_e32 v27, s13, v29
	v_xor_b32_e32 v29, s12, v29
	v_ashrrev_i32_e32 v30, 31, v31
	v_cmp_gt_i64_e64 s[12:13], 0, v[16:17]
	v_not_b32_e32 v31, v17
	v_lshlrev_b32_e32 v17, 26, v26
	v_and_b32_e32 v27, v28, v27
	v_and_b32_e32 v18, v18, v29
	v_xor_b32_e32 v28, s15, v30
	v_xor_b32_e32 v29, s14, v30
	v_ashrrev_i32_e32 v30, 31, v31
	v_not_b32_e32 v31, v17
	v_cmp_gt_i64_e64 s[14:15], 0, v[16:17]
	v_and_b32_e32 v27, v27, v28
	v_and_b32_e32 v18, v18, v29
	v_xor_b32_e32 v28, s13, v30
	v_xor_b32_e32 v29, s12, v30
	v_ashrrev_i32_e32 v30, 31, v31
	v_and_b32_e32 v27, v27, v28
	v_and_b32_e32 v18, v18, v29
	v_xor_b32_e32 v28, s15, v30
	v_xor_b32_e32 v29, s14, v30
	v_lshlrev_b32_e32 v17, 25, v26
	v_and_b32_e32 v27, v27, v28
	v_and_b32_e32 v28, v18, v29
	v_lshl_add_u32 v24, v26, 4, v26
	ds_write2_b32 v22, v16, v16 offset0:16 offset1:17
	ds_write2_b32 v22, v16, v16 offset0:18 offset1:19
	ds_write_b32 v22, v16 offset:80
	s_waitcnt lgkmcnt(0)
	s_barrier
	s_waitcnt lgkmcnt(0)
	; wave barrier
	s_waitcnt vmcnt(0)
	v_mad_u64_u32 v[18:19], s[12:13], v19, v23, v[8:9]
	v_cmp_gt_i64_e64 s[12:13], 0, v[16:17]
	v_not_b32_e32 v17, v17
	v_ashrrev_i32_e32 v17, 31, v17
	v_lshrrev_b32_e32 v30, 6, v18
	v_xor_b32_e32 v18, s13, v17
	v_xor_b32_e32 v17, s12, v17
	v_and_b32_e32 v23, v28, v17
	v_lshlrev_b32_e32 v17, 24, v26
	v_cmp_gt_i64_e64 s[12:13], 0, v[16:17]
	v_not_b32_e32 v17, v17
	v_ashrrev_i32_e32 v17, 31, v17
	v_and_b32_e32 v18, v27, v18
	v_xor_b32_e32 v19, s13, v17
	v_xor_b32_e32 v17, s12, v17
	v_and_b32_e32 v19, v18, v19
	v_and_b32_e32 v18, v23, v17
	v_mbcnt_lo_u32_b32 v17, v18, 0
	v_mbcnt_hi_u32_b32 v23, v19, v17
	v_cmp_eq_u32_e64 s[12:13], 0, v23
	v_cmp_ne_u64_e64 s[14:15], 0, v[18:19]
	v_add_lshl_u32 v24, v30, v24, 2
	s_and_b64 s[14:15], s[14:15], s[12:13]
	s_and_saveexec_b64 s[12:13], s[14:15]
	s_cbranch_execz .LBB156_15
; %bb.14:
	v_bcnt_u32_b32 v17, v18, 0
	v_bcnt_u32_b32 v17, v19, v17
	ds_write_b32 v24, v17 offset:64
.LBB156_15:
	s_or_b64 exec, exec, s[12:13]
	v_cmp_lt_i64_e64 s[12:13], -1, v[6:7]
	v_cndmask_b32_e64 v17, -1, v25, s[12:13]
	v_ashrrev_i32_e32 v18, 31, v7
	v_xor_b32_e32 v7, v17, v7
	v_xor_b32_e32 v6, v18, v6
	v_cmp_ne_u64_e64 s[12:13], s[16:17], v[6:7]
	v_cndmask_b32_e64 v19, v25, v7, s[12:13]
	v_cndmask_b32_e64 v18, 0, v6, s[12:13]
	v_lshrrev_b64 v[18:19], s48, v[18:19]
	v_and_b32_e32 v18, s33, v18
	v_lshl_add_u32 v17, v18, 4, v18
	v_add_lshl_u32 v26, v30, v17, 2
	v_and_b32_e32 v17, 1, v18
	v_add_co_u32_e64 v19, s[12:13], -1, v17
	v_addc_co_u32_e64 v27, s[12:13], 0, -1, s[12:13]
	v_cmp_ne_u32_e64 s[12:13], 0, v17
	v_xor_b32_e32 v17, s13, v27
	v_and_b32_e32 v27, exec_hi, v17
	v_lshlrev_b32_e32 v17, 30, v18
	v_xor_b32_e32 v19, s12, v19
	v_cmp_gt_i64_e64 s[12:13], 0, v[16:17]
	v_not_b32_e32 v17, v17
	v_ashrrev_i32_e32 v17, 31, v17
	v_and_b32_e32 v19, exec_lo, v19
	v_xor_b32_e32 v28, s13, v17
	v_xor_b32_e32 v17, s12, v17
	v_and_b32_e32 v19, v19, v17
	v_lshlrev_b32_e32 v17, 29, v18
	v_cmp_gt_i64_e64 s[12:13], 0, v[16:17]
	v_not_b32_e32 v17, v17
	v_ashrrev_i32_e32 v17, 31, v17
	v_and_b32_e32 v27, v27, v28
	v_xor_b32_e32 v28, s13, v17
	v_xor_b32_e32 v17, s12, v17
	v_and_b32_e32 v19, v19, v17
	v_lshlrev_b32_e32 v17, 28, v18
	v_cmp_gt_i64_e64 s[12:13], 0, v[16:17]
	v_not_b32_e32 v17, v17
	v_ashrrev_i32_e32 v17, 31, v17
	v_and_b32_e32 v27, v27, v28
	;; [unrolled: 8-line block ×5, first 2 shown]
	v_xor_b32_e32 v28, s13, v17
	v_xor_b32_e32 v17, s12, v17
	v_and_b32_e32 v19, v19, v17
	v_lshlrev_b32_e32 v17, 24, v18
	v_cmp_gt_i64_e64 s[12:13], 0, v[16:17]
	v_not_b32_e32 v16, v17
	v_ashrrev_i32_e32 v16, 31, v16
	v_xor_b32_e32 v17, s13, v16
	v_xor_b32_e32 v16, s12, v16
	; wave barrier
	ds_read_b32 v25, v26 offset:64
	v_and_b32_e32 v27, v27, v28
	v_and_b32_e32 v16, v19, v16
	;; [unrolled: 1-line block ×3, first 2 shown]
	v_mbcnt_lo_u32_b32 v18, v16, 0
	v_mbcnt_hi_u32_b32 v27, v17, v18
	v_cmp_eq_u32_e64 s[12:13], 0, v27
	v_cmp_ne_u64_e64 s[14:15], 0, v[16:17]
	s_and_b64 s[14:15], s[14:15], s[12:13]
	; wave barrier
	s_and_saveexec_b64 s[12:13], s[14:15]
	s_cbranch_execz .LBB156_17
; %bb.16:
	v_bcnt_u32_b32 v16, v16, 0
	v_bcnt_u32_b32 v16, v17, v16
	s_waitcnt lgkmcnt(0)
	v_add_u32_e32 v16, v25, v16
	ds_write_b32 v26, v16 offset:64
.LBB156_17:
	s_or_b64 exec, exec, s[12:13]
	v_bfrev_b32_e32 v32, 1
	v_cmp_lt_i64_e64 s[12:13], -1, v[10:11]
	v_cndmask_b32_e64 v16, -1, v32, s[12:13]
	v_ashrrev_i32_e32 v17, 31, v11
	v_xor_b32_e32 v11, v16, v11
	v_xor_b32_e32 v10, v17, v10
	v_cmp_ne_u64_e64 s[12:13], s[16:17], v[10:11]
	v_cndmask_b32_e64 v19, v32, v11, s[12:13]
	v_cndmask_b32_e64 v18, 0, v10, s[12:13]
	v_lshrrev_b64 v[18:19], s48, v[18:19]
	v_and_b32_e32 v18, s33, v18
	v_lshl_add_u32 v17, v18, 4, v18
	v_add_lshl_u32 v29, v30, v17, 2
	v_and_b32_e32 v17, 1, v18
	v_add_co_u32_e64 v19, s[12:13], -1, v17
	v_addc_co_u32_e64 v31, s[12:13], 0, -1, s[12:13]
	v_cmp_ne_u32_e64 s[12:13], 0, v17
	v_xor_b32_e32 v17, s13, v31
	v_mov_b32_e32 v16, 0
	v_and_b32_e32 v31, exec_hi, v17
	v_lshlrev_b32_e32 v17, 30, v18
	v_xor_b32_e32 v19, s12, v19
	v_cmp_gt_i64_e64 s[12:13], 0, v[16:17]
	v_not_b32_e32 v17, v17
	v_ashrrev_i32_e32 v17, 31, v17
	v_and_b32_e32 v19, exec_lo, v19
	v_xor_b32_e32 v33, s13, v17
	v_xor_b32_e32 v17, s12, v17
	v_and_b32_e32 v19, v19, v17
	v_lshlrev_b32_e32 v17, 29, v18
	v_cmp_gt_i64_e64 s[12:13], 0, v[16:17]
	v_not_b32_e32 v17, v17
	v_ashrrev_i32_e32 v17, 31, v17
	v_and_b32_e32 v31, v31, v33
	v_xor_b32_e32 v33, s13, v17
	v_xor_b32_e32 v17, s12, v17
	v_and_b32_e32 v19, v19, v17
	v_lshlrev_b32_e32 v17, 28, v18
	v_cmp_gt_i64_e64 s[12:13], 0, v[16:17]
	v_not_b32_e32 v17, v17
	v_ashrrev_i32_e32 v17, 31, v17
	v_and_b32_e32 v31, v31, v33
	;; [unrolled: 8-line block ×5, first 2 shown]
	v_xor_b32_e32 v33, s13, v17
	v_xor_b32_e32 v17, s12, v17
	v_and_b32_e32 v31, v31, v33
	v_and_b32_e32 v33, v19, v17
	v_lshlrev_b32_e32 v17, 24, v18
	v_cmp_gt_i64_e64 s[12:13], 0, v[16:17]
	v_not_b32_e32 v17, v17
	v_ashrrev_i32_e32 v17, 31, v17
	v_xor_b32_e32 v18, s13, v17
	v_xor_b32_e32 v17, s12, v17
	; wave barrier
	ds_read_b32 v28, v29 offset:64
	v_and_b32_e32 v19, v31, v18
	v_and_b32_e32 v18, v33, v17
	v_mbcnt_lo_u32_b32 v17, v18, 0
	v_mbcnt_hi_u32_b32 v31, v19, v17
	v_cmp_eq_u32_e64 s[12:13], 0, v31
	v_cmp_ne_u64_e64 s[14:15], 0, v[18:19]
	s_and_b64 s[14:15], s[14:15], s[12:13]
	; wave barrier
	s_and_saveexec_b64 s[12:13], s[14:15]
	s_cbranch_execz .LBB156_19
; %bb.18:
	v_bcnt_u32_b32 v17, v18, 0
	v_bcnt_u32_b32 v17, v19, v17
	s_waitcnt lgkmcnt(0)
	v_add_u32_e32 v17, v28, v17
	ds_write_b32 v29, v17 offset:64
.LBB156_19:
	s_or_b64 exec, exec, s[12:13]
	v_cmp_lt_i64_e64 s[12:13], -1, v[14:15]
	v_cndmask_b32_e64 v17, -1, v32, s[12:13]
	v_ashrrev_i32_e32 v18, 31, v15
	v_xor_b32_e32 v15, v17, v15
	v_xor_b32_e32 v14, v18, v14
	v_cmp_ne_u64_e64 s[12:13], s[16:17], v[14:15]
	v_cndmask_b32_e64 v19, v32, v15, s[12:13]
	v_cndmask_b32_e64 v18, 0, v14, s[12:13]
	v_lshrrev_b64 v[18:19], s48, v[18:19]
	v_and_b32_e32 v18, s33, v18
	v_lshl_add_u32 v17, v18, 4, v18
	v_add_lshl_u32 v33, v30, v17, 2
	v_and_b32_e32 v17, 1, v18
	v_add_co_u32_e64 v19, s[12:13], -1, v17
	v_addc_co_u32_e64 v34, s[12:13], 0, -1, s[12:13]
	v_cmp_ne_u32_e64 s[12:13], 0, v17
	v_xor_b32_e32 v17, s13, v34
	v_and_b32_e32 v34, exec_hi, v17
	v_lshlrev_b32_e32 v17, 30, v18
	v_xor_b32_e32 v19, s12, v19
	v_cmp_gt_i64_e64 s[12:13], 0, v[16:17]
	v_not_b32_e32 v17, v17
	v_ashrrev_i32_e32 v17, 31, v17
	v_and_b32_e32 v19, exec_lo, v19
	v_xor_b32_e32 v35, s13, v17
	v_xor_b32_e32 v17, s12, v17
	v_and_b32_e32 v19, v19, v17
	v_lshlrev_b32_e32 v17, 29, v18
	v_cmp_gt_i64_e64 s[12:13], 0, v[16:17]
	v_not_b32_e32 v17, v17
	v_ashrrev_i32_e32 v17, 31, v17
	v_and_b32_e32 v34, v34, v35
	v_xor_b32_e32 v35, s13, v17
	v_xor_b32_e32 v17, s12, v17
	v_and_b32_e32 v19, v19, v17
	v_lshlrev_b32_e32 v17, 28, v18
	v_cmp_gt_i64_e64 s[12:13], 0, v[16:17]
	v_not_b32_e32 v17, v17
	v_ashrrev_i32_e32 v17, 31, v17
	v_and_b32_e32 v34, v34, v35
	;; [unrolled: 8-line block ×5, first 2 shown]
	v_xor_b32_e32 v35, s13, v17
	v_xor_b32_e32 v17, s12, v17
	v_and_b32_e32 v19, v19, v17
	v_lshlrev_b32_e32 v17, 24, v18
	v_cmp_gt_i64_e64 s[12:13], 0, v[16:17]
	v_not_b32_e32 v16, v17
	v_ashrrev_i32_e32 v16, 31, v16
	v_xor_b32_e32 v17, s13, v16
	v_xor_b32_e32 v16, s12, v16
	; wave barrier
	ds_read_b32 v32, v33 offset:64
	v_and_b32_e32 v34, v34, v35
	v_and_b32_e32 v16, v19, v16
	;; [unrolled: 1-line block ×3, first 2 shown]
	v_mbcnt_lo_u32_b32 v18, v16, 0
	v_mbcnt_hi_u32_b32 v34, v17, v18
	v_cmp_eq_u32_e64 s[12:13], 0, v34
	v_cmp_ne_u64_e64 s[14:15], 0, v[16:17]
	s_and_b64 s[14:15], s[14:15], s[12:13]
	; wave barrier
	s_and_saveexec_b64 s[12:13], s[14:15]
	s_cbranch_execz .LBB156_21
; %bb.20:
	v_bcnt_u32_b32 v16, v16, 0
	v_bcnt_u32_b32 v16, v17, v16
	s_waitcnt lgkmcnt(0)
	v_add_u32_e32 v16, v32, v16
	ds_write_b32 v33, v16 offset:64
.LBB156_21:
	s_or_b64 exec, exec, s[12:13]
	v_bfrev_b32_e32 v39, 1
	v_cmp_lt_i64_e64 s[12:13], -1, v[12:13]
	v_cndmask_b32_e64 v16, -1, v39, s[12:13]
	v_ashrrev_i32_e32 v17, 31, v13
	v_xor_b32_e32 v13, v16, v13
	v_xor_b32_e32 v12, v17, v12
	v_cmp_ne_u64_e64 s[12:13], s[16:17], v[12:13]
	v_cndmask_b32_e64 v17, v39, v13, s[12:13]
	v_cndmask_b32_e64 v16, 0, v12, s[12:13]
	v_lshrrev_b64 v[16:17], s48, v[16:17]
	v_and_b32_e32 v16, s33, v16
	v_lshl_add_u32 v17, v16, 4, v16
	v_add_lshl_u32 v36, v30, v17, 2
	v_and_b32_e32 v17, 1, v16
	v_add_co_u32_e64 v19, s[12:13], -1, v17
	v_addc_co_u32_e64 v37, s[12:13], 0, -1, s[12:13]
	v_cmp_ne_u32_e64 s[12:13], 0, v17
	v_xor_b32_e32 v19, s12, v19
	v_mov_b32_e32 v18, 0
	v_xor_b32_e32 v17, s13, v37
	v_and_b32_e32 v37, exec_lo, v19
	v_lshlrev_b32_e32 v19, 30, v16
	v_cmp_gt_i64_e64 s[12:13], 0, v[18:19]
	v_not_b32_e32 v19, v19
	v_ashrrev_i32_e32 v19, 31, v19
	v_xor_b32_e32 v38, s13, v19
	v_xor_b32_e32 v19, s12, v19
	v_and_b32_e32 v37, v37, v19
	v_lshlrev_b32_e32 v19, 29, v16
	v_cmp_gt_i64_e64 s[12:13], 0, v[18:19]
	v_not_b32_e32 v19, v19
	v_and_b32_e32 v17, exec_hi, v17
	v_ashrrev_i32_e32 v19, 31, v19
	v_and_b32_e32 v17, v17, v38
	v_xor_b32_e32 v38, s13, v19
	v_xor_b32_e32 v19, s12, v19
	v_and_b32_e32 v37, v37, v19
	v_lshlrev_b32_e32 v19, 28, v16
	v_cmp_gt_i64_e64 s[12:13], 0, v[18:19]
	v_not_b32_e32 v19, v19
	v_ashrrev_i32_e32 v19, 31, v19
	v_and_b32_e32 v17, v17, v38
	v_xor_b32_e32 v38, s13, v19
	v_xor_b32_e32 v19, s12, v19
	v_and_b32_e32 v37, v37, v19
	v_lshlrev_b32_e32 v19, 27, v16
	v_cmp_gt_i64_e64 s[12:13], 0, v[18:19]
	v_not_b32_e32 v19, v19
	;; [unrolled: 8-line block ×4, first 2 shown]
	v_ashrrev_i32_e32 v19, 31, v19
	v_and_b32_e32 v17, v17, v38
	v_xor_b32_e32 v38, s13, v19
	v_xor_b32_e32 v19, s12, v19
	v_and_b32_e32 v37, v37, v19
	v_lshlrev_b32_e32 v19, 24, v16
	v_not_b32_e32 v16, v19
	v_cmp_gt_i64_e64 s[12:13], 0, v[18:19]
	v_ashrrev_i32_e32 v16, 31, v16
	v_xor_b32_e32 v19, s13, v16
	v_xor_b32_e32 v16, s12, v16
	; wave barrier
	ds_read_b32 v35, v36 offset:64
	v_and_b32_e32 v17, v17, v38
	v_and_b32_e32 v16, v37, v16
	;; [unrolled: 1-line block ×3, first 2 shown]
	v_mbcnt_lo_u32_b32 v19, v16, 0
	v_mbcnt_hi_u32_b32 v37, v17, v19
	v_cmp_eq_u32_e64 s[12:13], 0, v37
	v_cmp_ne_u64_e64 s[14:15], 0, v[16:17]
	s_and_b64 s[14:15], s[14:15], s[12:13]
	; wave barrier
	s_and_saveexec_b64 s[12:13], s[14:15]
	s_cbranch_execz .LBB156_23
; %bb.22:
	v_bcnt_u32_b32 v16, v16, 0
	v_bcnt_u32_b32 v16, v17, v16
	s_waitcnt lgkmcnt(0)
	v_add_u32_e32 v16, v35, v16
	ds_write_b32 v36, v16 offset:64
.LBB156_23:
	s_or_b64 exec, exec, s[12:13]
	v_cmp_lt_i64_e64 s[12:13], -1, v[4:5]
	v_cndmask_b32_e64 v16, -1, v39, s[12:13]
	v_ashrrev_i32_e32 v19, 31, v5
	v_xor_b32_e32 v17, v16, v5
	v_xor_b32_e32 v16, v19, v4
	v_cmp_ne_u64_e64 s[12:13], s[16:17], v[16:17]
	v_cndmask_b32_e64 v5, v39, v17, s[12:13]
	v_cndmask_b32_e64 v4, 0, v16, s[12:13]
	v_lshrrev_b64 v[4:5], s48, v[4:5]
	v_and_b32_e32 v4, s33, v4
	v_lshl_add_u32 v5, v4, 4, v4
	v_add_lshl_u32 v39, v5, v30, 2
	v_and_b32_e32 v5, 1, v4
	v_add_co_u32_e64 v19, s[12:13], -1, v5
	v_addc_co_u32_e64 v40, s[12:13], 0, -1, s[12:13]
	v_cmp_ne_u32_e64 s[12:13], 0, v5
	v_xor_b32_e32 v19, s12, v19
	v_xor_b32_e32 v5, s13, v40
	v_and_b32_e32 v40, exec_lo, v19
	v_lshlrev_b32_e32 v19, 30, v4
	v_cmp_gt_i64_e64 s[12:13], 0, v[18:19]
	v_not_b32_e32 v19, v19
	v_ashrrev_i32_e32 v19, 31, v19
	v_xor_b32_e32 v41, s13, v19
	v_xor_b32_e32 v19, s12, v19
	v_and_b32_e32 v40, v40, v19
	v_lshlrev_b32_e32 v19, 29, v4
	v_cmp_gt_i64_e64 s[12:13], 0, v[18:19]
	v_not_b32_e32 v19, v19
	v_and_b32_e32 v5, exec_hi, v5
	v_ashrrev_i32_e32 v19, 31, v19
	v_and_b32_e32 v5, v5, v41
	v_xor_b32_e32 v41, s13, v19
	v_xor_b32_e32 v19, s12, v19
	v_and_b32_e32 v40, v40, v19
	v_lshlrev_b32_e32 v19, 28, v4
	v_cmp_gt_i64_e64 s[12:13], 0, v[18:19]
	v_not_b32_e32 v19, v19
	v_ashrrev_i32_e32 v19, 31, v19
	v_and_b32_e32 v5, v5, v41
	v_xor_b32_e32 v41, s13, v19
	v_xor_b32_e32 v19, s12, v19
	v_and_b32_e32 v40, v40, v19
	v_lshlrev_b32_e32 v19, 27, v4
	v_cmp_gt_i64_e64 s[12:13], 0, v[18:19]
	v_not_b32_e32 v19, v19
	;; [unrolled: 8-line block ×4, first 2 shown]
	v_ashrrev_i32_e32 v19, 31, v19
	v_and_b32_e32 v5, v5, v41
	v_xor_b32_e32 v41, s13, v19
	v_xor_b32_e32 v19, s12, v19
	v_and_b32_e32 v40, v40, v19
	v_lshlrev_b32_e32 v19, 24, v4
	v_not_b32_e32 v4, v19
	v_cmp_gt_i64_e64 s[12:13], 0, v[18:19]
	v_ashrrev_i32_e32 v4, 31, v4
	v_xor_b32_e32 v18, s13, v4
	v_xor_b32_e32 v4, s12, v4
	; wave barrier
	ds_read_b32 v30, v39 offset:64
	v_and_b32_e32 v5, v5, v41
	v_and_b32_e32 v4, v40, v4
	;; [unrolled: 1-line block ×3, first 2 shown]
	v_mbcnt_lo_u32_b32 v18, v4, 0
	v_mbcnt_hi_u32_b32 v40, v5, v18
	v_cmp_eq_u32_e64 s[12:13], 0, v40
	v_cmp_ne_u64_e64 s[14:15], 0, v[4:5]
	v_add_u32_e32 v38, 64, v22
	s_and_b64 s[14:15], s[14:15], s[12:13]
	; wave barrier
	s_and_saveexec_b64 s[12:13], s[14:15]
	s_cbranch_execz .LBB156_25
; %bb.24:
	v_bcnt_u32_b32 v4, v4, 0
	v_bcnt_u32_b32 v4, v5, v4
	s_waitcnt lgkmcnt(0)
	v_add_u32_e32 v4, v30, v4
	ds_write_b32 v39, v4 offset:64
.LBB156_25:
	s_or_b64 exec, exec, s[12:13]
	; wave barrier
	s_waitcnt lgkmcnt(0)
	s_barrier
	ds_read2_b32 v[18:19], v22 offset0:16 offset1:17
	ds_read2_b32 v[4:5], v38 offset0:2 offset1:3
	ds_read_b32 v41, v38 offset:16
	v_cmp_lt_u32_e64 s[20:21], 31, v21
	s_waitcnt lgkmcnt(1)
	v_add3_u32 v42, v19, v18, v4
	s_waitcnt lgkmcnt(0)
	v_add3_u32 v41, v42, v5, v41
	v_and_b32_e32 v42, 15, v21
	v_cmp_eq_u32_e64 s[12:13], 0, v42
	v_mov_b32_dpp v43, v41 row_shr:1 row_mask:0xf bank_mask:0xf
	v_cndmask_b32_e64 v43, v43, 0, s[12:13]
	v_add_u32_e32 v41, v43, v41
	v_cmp_lt_u32_e64 s[14:15], 1, v42
	v_cmp_lt_u32_e64 s[16:17], 3, v42
	v_mov_b32_dpp v43, v41 row_shr:2 row_mask:0xf bank_mask:0xf
	v_cndmask_b32_e64 v43, 0, v43, s[14:15]
	v_add_u32_e32 v41, v41, v43
	v_cmp_lt_u32_e64 s[18:19], 7, v42
	s_nop 0
	v_mov_b32_dpp v43, v41 row_shr:4 row_mask:0xf bank_mask:0xf
	v_cndmask_b32_e64 v43, 0, v43, s[16:17]
	v_add_u32_e32 v41, v41, v43
	s_nop 1
	v_mov_b32_dpp v43, v41 row_shr:8 row_mask:0xf bank_mask:0xf
	v_cndmask_b32_e64 v42, 0, v43, s[18:19]
	v_add_u32_e32 v41, v41, v42
	v_bfe_i32 v43, v21, 4, 1
	s_nop 0
	v_mov_b32_dpp v42, v41 row_bcast:15 row_mask:0xf bank_mask:0xf
	v_and_b32_e32 v42, v43, v42
	v_add_u32_e32 v41, v41, v42
	v_and_b32_e32 v43, 63, v8
	s_nop 0
	v_mov_b32_dpp v42, v41 row_bcast:31 row_mask:0xf bank_mask:0xf
	v_cndmask_b32_e64 v42, 0, v42, s[20:21]
	v_add_u32_e32 v41, v41, v42
	v_lshrrev_b32_e32 v42, 6, v8
	v_cmp_eq_u32_e64 s[20:21], 63, v43
	s_and_saveexec_b64 s[22:23], s[20:21]
	s_cbranch_execz .LBB156_27
; %bb.26:
	v_lshlrev_b32_e32 v43, 2, v42
	ds_write_b32 v43, v41
.LBB156_27:
	s_or_b64 exec, exec, s[22:23]
	v_cmp_gt_u32_e64 s[20:21], 16, v8
	s_waitcnt lgkmcnt(0)
	s_barrier
	s_and_saveexec_b64 s[22:23], s[20:21]
	s_cbranch_execz .LBB156_29
; %bb.28:
	v_lshlrev_b32_e32 v43, 2, v8
	ds_read_b32 v44, v43
	s_waitcnt lgkmcnt(0)
	s_nop 0
	v_mov_b32_dpp v45, v44 row_shr:1 row_mask:0xf bank_mask:0xf
	v_cndmask_b32_e64 v45, v45, 0, s[12:13]
	v_add_u32_e32 v44, v45, v44
	s_nop 1
	v_mov_b32_dpp v45, v44 row_shr:2 row_mask:0xf bank_mask:0xf
	v_cndmask_b32_e64 v45, 0, v45, s[14:15]
	v_add_u32_e32 v44, v44, v45
	s_nop 1
	v_mov_b32_dpp v45, v44 row_shr:4 row_mask:0xf bank_mask:0xf
	v_cndmask_b32_e64 v45, 0, v45, s[16:17]
	v_add_u32_e32 v44, v44, v45
	s_nop 1
	v_mov_b32_dpp v45, v44 row_shr:8 row_mask:0xf bank_mask:0xf
	v_cndmask_b32_e64 v45, 0, v45, s[18:19]
	v_add_u32_e32 v44, v44, v45
	ds_write_b32 v43, v44
.LBB156_29:
	s_or_b64 exec, exec, s[22:23]
	v_cmp_lt_u32_e64 s[12:13], 63, v8
	v_mov_b32_e32 v43, 0
	s_waitcnt lgkmcnt(0)
	s_barrier
	s_and_saveexec_b64 s[14:15], s[12:13]
	s_cbranch_execz .LBB156_31
; %bb.30:
	v_lshl_add_u32 v42, v42, 2, -4
	ds_read_b32 v43, v42
.LBB156_31:
	s_or_b64 exec, exec, s[14:15]
	v_add_u32_e32 v42, -1, v21
	v_and_b32_e32 v44, 64, v21
	v_cmp_lt_i32_e64 s[12:13], v42, v44
	v_cndmask_b32_e64 v42, v42, v21, s[12:13]
	s_waitcnt lgkmcnt(0)
	v_add_u32_e32 v41, v43, v41
	v_lshlrev_b32_e32 v42, 2, v42
	ds_bpermute_b32 v41, v42, v41
	v_cmp_eq_u32_e64 s[12:13], 0, v21
	s_waitcnt lgkmcnt(0)
	v_cndmask_b32_e64 v21, v41, v43, s[12:13]
	v_cmp_ne_u32_e64 s[12:13], 0, v8
	v_cndmask_b32_e64 v21, 0, v21, s[12:13]
	v_add_u32_e32 v18, v21, v18
	v_add_u32_e32 v19, v18, v19
	;; [unrolled: 1-line block ×4, first 2 shown]
	ds_write2_b32 v22, v21, v18 offset0:16 offset1:17
	ds_write2_b32 v38, v19, v4 offset0:2 offset1:3
	ds_write_b32 v38, v5 offset:16
	s_waitcnt lgkmcnt(0)
	s_barrier
	ds_read_b32 v22, v24 offset:64
	ds_read_b32 v38, v26 offset:64
	;; [unrolled: 1-line block ×6, first 2 shown]
	s_movk_i32 s12, 0x100
	v_cmp_gt_u32_e64 s[12:13], s12, v8
	v_pk_mov_b32 v[4:5], 0, 0
                                        ; implicit-def: $vgpr21
	s_and_saveexec_b64 s[16:17], s[12:13]
	s_cbranch_execz .LBB156_35
; %bb.32:
	v_mul_u32_u24_e32 v4, 17, v8
	v_lshlrev_b32_e32 v21, 2, v4
	ds_read_b32 v4, v21 offset:64
	s_movk_i32 s14, 0xff
	v_cmp_ne_u32_e64 s[14:15], s14, v8
	v_mov_b32_e32 v5, 0x1800
	s_and_saveexec_b64 s[18:19], s[14:15]
	s_cbranch_execz .LBB156_34
; %bb.33:
	ds_read_b32 v5, v21 offset:132
.LBB156_34:
	s_or_b64 exec, exec, s[18:19]
	s_waitcnt lgkmcnt(0)
	v_sub_u32_e32 v21, v5, v4
	v_mov_b32_e32 v5, 0
.LBB156_35:
	s_or_b64 exec, exec, s[16:17]
	v_add_u32_e32 v29, v40, v30
	v_add_u32_e32 v30, v37, v35
	;; [unrolled: 1-line block ×5, first 2 shown]
	s_waitcnt lgkmcnt(5)
	v_add_lshl_u32 v22, v22, v23, 3
	s_waitcnt lgkmcnt(4)
	v_add_lshl_u32 v23, v25, v38, 3
	;; [unrolled: 2-line block ×6, first 2 shown]
	s_barrier
	ds_write_b64 v22, v[2:3] offset:2048
	ds_write_b64 v23, v[6:7] offset:2048
	;; [unrolled: 1-line block ×6, first 2 shown]
	s_waitcnt lgkmcnt(0)
	s_barrier
	s_and_saveexec_b64 s[16:17], s[12:13]
	s_cbranch_execz .LBB156_45
; %bb.36:
	v_lshl_or_b32 v2, s6, 8, v8
	v_mov_b32_e32 v3, 0
	v_lshlrev_b64 v[6:7], 2, v[2:3]
	v_mov_b32_e32 v12, s31
	v_add_co_u32_e64 v6, s[14:15], s30, v6
	v_addc_co_u32_e64 v7, s[14:15], v12, v7, s[14:15]
	v_or_b32_e32 v2, 2.0, v21
	s_mov_b64 s[18:19], 0
	s_brev_b32 s24, 1
	s_mov_b32 s25, s6
	v_mov_b32_e32 v13, 0
	global_store_dword v[6:7], v2, off
                                        ; implicit-def: $sgpr14_sgpr15
	s_branch .LBB156_38
.LBB156_37:                             ;   in Loop: Header=BB156_38 Depth=1
	s_or_b64 exec, exec, s[20:21]
	v_and_b32_e32 v10, 0x3fffffff, v14
	v_add_u32_e32 v13, v10, v13
	v_cmp_eq_u32_e64 s[14:15], s24, v2
	s_and_b64 s[20:21], exec, s[14:15]
	s_or_b64 s[18:19], s[20:21], s[18:19]
	s_andn2_b64 exec, exec, s[18:19]
	s_cbranch_execz .LBB156_44
.LBB156_38:                             ; =>This Loop Header: Depth=1
                                        ;     Child Loop BB156_41 Depth 2
	s_or_b64 s[14:15], s[14:15], exec
	s_cmp_eq_u32 s25, 0
	s_cbranch_scc1 .LBB156_43
; %bb.39:                               ;   in Loop: Header=BB156_38 Depth=1
	s_add_i32 s25, s25, -1
	v_lshl_or_b32 v2, s25, 8, v8
	v_lshlrev_b64 v[10:11], 2, v[2:3]
	v_add_co_u32_e64 v10, s[14:15], s30, v10
	v_addc_co_u32_e64 v11, s[14:15], v12, v11, s[14:15]
	global_load_dword v14, v[10:11], off glc
	s_waitcnt vmcnt(0)
	v_and_b32_e32 v2, -2.0, v14
	v_cmp_eq_u32_e64 s[14:15], 0, v2
	s_and_saveexec_b64 s[20:21], s[14:15]
	s_cbranch_execz .LBB156_37
; %bb.40:                               ;   in Loop: Header=BB156_38 Depth=1
	s_mov_b64 s[22:23], 0
.LBB156_41:                             ;   Parent Loop BB156_38 Depth=1
                                        ; =>  This Inner Loop Header: Depth=2
	global_load_dword v14, v[10:11], off glc
	s_waitcnt vmcnt(0)
	v_and_b32_e32 v2, -2.0, v14
	v_cmp_ne_u32_e64 s[14:15], 0, v2
	s_or_b64 s[22:23], s[14:15], s[22:23]
	s_andn2_b64 exec, exec, s[22:23]
	s_cbranch_execnz .LBB156_41
; %bb.42:                               ;   in Loop: Header=BB156_38 Depth=1
	s_or_b64 exec, exec, s[22:23]
	s_branch .LBB156_37
.LBB156_43:                             ;   in Loop: Header=BB156_38 Depth=1
                                        ; implicit-def: $sgpr25
	s_and_b64 s[20:21], exec, s[14:15]
	s_or_b64 s[18:19], s[20:21], s[18:19]
	s_andn2_b64 exec, exec, s[18:19]
	s_cbranch_execnz .LBB156_38
.LBB156_44:
	s_or_b64 exec, exec, s[18:19]
	v_add_u32_e32 v2, v13, v21
	v_or_b32_e32 v2, 0x80000000, v2
	global_store_dword v[6:7], v2, off
	v_lshlrev_b32_e32 v6, 3, v8
	global_load_dwordx2 v[2:3], v6, s[44:45]
	v_sub_co_u32_e64 v7, s[14:15], v13, v4
	v_subb_co_u32_e64 v10, s[14:15], 0, v5, s[14:15]
	s_waitcnt vmcnt(0)
	v_add_co_u32_e64 v2, s[14:15], v7, v2
	v_addc_co_u32_e64 v3, s[14:15], v10, v3, s[14:15]
	ds_write_b64 v6, v[2:3]
.LBB156_45:
	s_or_b64 exec, exec, s[16:17]
	v_cmp_gt_u32_e64 s[14:15], s35, v8
	v_lshlrev_b32_e32 v28, 3, v8
	s_waitcnt lgkmcnt(0)
	s_barrier
	s_and_saveexec_b64 s[18:19], s[14:15]
	s_cbranch_execz .LBB156_47
; %bb.46:
	ds_read_b64 v[2:3], v28 offset:2048
	s_mov_b32 s16, -1
	s_brev_b32 s17, -2
	v_bfrev_b32_e32 v10, 1
	s_waitcnt lgkmcnt(0)
	v_cmp_ne_u64_e64 s[16:17], s[16:17], v[2:3]
	v_cndmask_b32_e64 v7, v10, v3, s[16:17]
	v_cndmask_b32_e64 v6, 0, v2, s[16:17]
	v_lshrrev_b64 v[6:7], s48, v[6:7]
	v_and_b32_e32 v6, s33, v6
	v_lshlrev_b32_e32 v6, 3, v6
	ds_read_b64 v[6:7], v6
	v_cmp_lt_i64_e64 s[16:17], -1, v[2:3]
	v_cndmask_b32_e64 v10, v10, -1, s[16:17]
	v_ashrrev_i32_e32 v11, 31, v3
	v_xor_b32_e32 v3, v10, v3
	s_waitcnt lgkmcnt(0)
	v_lshlrev_b64 v[6:7], 3, v[6:7]
	v_mov_b32_e32 v10, s39
	v_add_co_u32_e64 v6, s[16:17], s38, v6
	v_addc_co_u32_e64 v7, s[16:17], v10, v7, s[16:17]
	v_not_b32_e32 v11, v11
	v_add_co_u32_e64 v6, s[16:17], v6, v28
	v_xor_b32_e32 v2, v11, v2
	v_addc_co_u32_e64 v7, s[16:17], 0, v7, s[16:17]
	global_store_dwordx2 v[6:7], v[2:3], off
.LBB156_47:
	s_or_b64 exec, exec, s[18:19]
	v_or_b32_e32 v2, 0x400, v8
	v_cmp_gt_u32_e64 s[16:17], s35, v2
	v_lshlrev_b32_e32 v29, 3, v2
	s_and_saveexec_b64 s[20:21], s[16:17]
	s_cbranch_execz .LBB156_49
; %bb.48:
	ds_read_b64 v[2:3], v28 offset:10240
	s_mov_b32 s18, -1
	s_brev_b32 s19, -2
	v_bfrev_b32_e32 v10, 1
	s_waitcnt lgkmcnt(0)
	v_cmp_ne_u64_e64 s[18:19], s[18:19], v[2:3]
	v_cndmask_b32_e64 v7, v10, v3, s[18:19]
	v_cndmask_b32_e64 v6, 0, v2, s[18:19]
	v_lshrrev_b64 v[6:7], s48, v[6:7]
	v_and_b32_e32 v6, s33, v6
	v_lshlrev_b32_e32 v6, 3, v6
	ds_read_b64 v[6:7], v6
	v_cmp_lt_i64_e64 s[18:19], -1, v[2:3]
	v_cndmask_b32_e64 v10, v10, -1, s[18:19]
	v_ashrrev_i32_e32 v11, 31, v3
	v_xor_b32_e32 v3, v10, v3
	s_waitcnt lgkmcnt(0)
	v_lshlrev_b64 v[6:7], 3, v[6:7]
	v_mov_b32_e32 v10, s39
	v_add_co_u32_e64 v6, s[18:19], s38, v6
	v_addc_co_u32_e64 v7, s[18:19], v10, v7, s[18:19]
	v_not_b32_e32 v11, v11
	v_add_co_u32_e64 v6, s[18:19], v6, v29
	v_xor_b32_e32 v2, v11, v2
	v_addc_co_u32_e64 v7, s[18:19], 0, v7, s[18:19]
	global_store_dwordx2 v[6:7], v[2:3], off
.LBB156_49:
	s_or_b64 exec, exec, s[20:21]
	v_or_b32_e32 v2, 0x800, v8
	v_cmp_gt_u32_e64 s[18:19], s35, v2
	v_lshlrev_b32_e32 v30, 3, v2
	s_and_saveexec_b64 s[22:23], s[18:19]
	s_cbranch_execz .LBB156_51
; %bb.50:
	ds_read_b64 v[2:3], v28 offset:18432
	s_mov_b32 s20, -1
	s_brev_b32 s21, -2
	v_bfrev_b32_e32 v10, 1
	s_waitcnt lgkmcnt(0)
	v_cmp_ne_u64_e64 s[20:21], s[20:21], v[2:3]
	v_cndmask_b32_e64 v7, v10, v3, s[20:21]
	v_cndmask_b32_e64 v6, 0, v2, s[20:21]
	v_lshrrev_b64 v[6:7], s48, v[6:7]
	v_and_b32_e32 v6, s33, v6
	v_lshlrev_b32_e32 v6, 3, v6
	ds_read_b64 v[6:7], v6
	v_cmp_lt_i64_e64 s[20:21], -1, v[2:3]
	v_cndmask_b32_e64 v10, v10, -1, s[20:21]
	v_ashrrev_i32_e32 v11, 31, v3
	v_xor_b32_e32 v3, v10, v3
	s_waitcnt lgkmcnt(0)
	v_lshlrev_b64 v[6:7], 3, v[6:7]
	v_mov_b32_e32 v10, s39
	v_add_co_u32_e64 v6, s[20:21], s38, v6
	v_addc_co_u32_e64 v7, s[20:21], v10, v7, s[20:21]
	v_not_b32_e32 v11, v11
	v_add_co_u32_e64 v6, s[20:21], v6, v30
	v_xor_b32_e32 v2, v11, v2
	v_addc_co_u32_e64 v7, s[20:21], 0, v7, s[20:21]
	global_store_dwordx2 v[6:7], v[2:3], off
.LBB156_51:
	s_or_b64 exec, exec, s[22:23]
	v_or_b32_e32 v2, 0xc00, v8
	v_cmp_gt_u32_e64 s[20:21], s35, v2
	v_lshlrev_b32_e32 v31, 3, v2
	s_and_saveexec_b64 s[24:25], s[20:21]
	s_cbranch_execz .LBB156_53
; %bb.52:
	ds_read_b64 v[2:3], v28 offset:26624
	s_mov_b32 s22, -1
	s_brev_b32 s23, -2
	v_bfrev_b32_e32 v10, 1
	s_waitcnt lgkmcnt(0)
	v_cmp_ne_u64_e64 s[22:23], s[22:23], v[2:3]
	v_cndmask_b32_e64 v7, v10, v3, s[22:23]
	v_cndmask_b32_e64 v6, 0, v2, s[22:23]
	v_lshrrev_b64 v[6:7], s48, v[6:7]
	v_and_b32_e32 v6, s33, v6
	v_lshlrev_b32_e32 v6, 3, v6
	ds_read_b64 v[6:7], v6
	v_cmp_lt_i64_e64 s[22:23], -1, v[2:3]
	v_cndmask_b32_e64 v10, v10, -1, s[22:23]
	v_ashrrev_i32_e32 v11, 31, v3
	v_xor_b32_e32 v3, v10, v3
	s_waitcnt lgkmcnt(0)
	v_lshlrev_b64 v[6:7], 3, v[6:7]
	v_mov_b32_e32 v10, s39
	v_add_co_u32_e64 v6, s[22:23], s38, v6
	v_addc_co_u32_e64 v7, s[22:23], v10, v7, s[22:23]
	v_not_b32_e32 v11, v11
	v_add_co_u32_e64 v6, s[22:23], v6, v31
	v_xor_b32_e32 v2, v11, v2
	v_addc_co_u32_e64 v7, s[22:23], 0, v7, s[22:23]
	global_store_dwordx2 v[6:7], v[2:3], off
.LBB156_53:
	s_or_b64 exec, exec, s[24:25]
	v_or_b32_e32 v2, 0x1000, v8
	v_cmp_gt_u32_e64 s[22:23], s35, v2
	v_lshlrev_b32_e32 v32, 3, v2
	s_and_saveexec_b64 s[28:29], s[22:23]
	s_cbranch_execz .LBB156_55
; %bb.54:
	ds_read_b64 v[2:3], v28 offset:34816
	s_mov_b32 s24, -1
	s_brev_b32 s25, -2
	v_bfrev_b32_e32 v10, 1
	s_waitcnt lgkmcnt(0)
	v_cmp_ne_u64_e64 s[24:25], s[24:25], v[2:3]
	v_cndmask_b32_e64 v7, v10, v3, s[24:25]
	v_cndmask_b32_e64 v6, 0, v2, s[24:25]
	v_lshrrev_b64 v[6:7], s48, v[6:7]
	v_and_b32_e32 v6, s33, v6
	v_lshlrev_b32_e32 v6, 3, v6
	ds_read_b64 v[6:7], v6
	v_cmp_lt_i64_e64 s[24:25], -1, v[2:3]
	v_cndmask_b32_e64 v10, v10, -1, s[24:25]
	v_ashrrev_i32_e32 v11, 31, v3
	v_xor_b32_e32 v3, v10, v3
	s_waitcnt lgkmcnt(0)
	v_lshlrev_b64 v[6:7], 3, v[6:7]
	v_mov_b32_e32 v10, s39
	v_add_co_u32_e64 v6, s[24:25], s38, v6
	v_addc_co_u32_e64 v7, s[24:25], v10, v7, s[24:25]
	v_not_b32_e32 v11, v11
	v_add_co_u32_e64 v6, s[24:25], v6, v32
	v_xor_b32_e32 v2, v11, v2
	v_addc_co_u32_e64 v7, s[24:25], 0, v7, s[24:25]
	global_store_dwordx2 v[6:7], v[2:3], off
.LBB156_55:
	s_or_b64 exec, exec, s[28:29]
	v_or_b32_e32 v2, 0x1400, v8
	v_cmp_gt_u32_e64 s[24:25], s35, v2
	v_lshlrev_b32_e32 v33, 3, v2
	s_and_saveexec_b64 s[52:53], s[24:25]
	s_cbranch_execz .LBB156_57
; %bb.56:
	ds_read_b64 v[2:3], v28 offset:43008
	s_mov_b32 s28, -1
	s_brev_b32 s29, -2
	v_bfrev_b32_e32 v10, 1
	s_waitcnt lgkmcnt(0)
	v_cmp_ne_u64_e64 s[28:29], s[28:29], v[2:3]
	v_cndmask_b32_e64 v7, v10, v3, s[28:29]
	v_cndmask_b32_e64 v6, 0, v2, s[28:29]
	v_lshrrev_b64 v[6:7], s48, v[6:7]
	v_and_b32_e32 v6, s33, v6
	v_lshlrev_b32_e32 v6, 3, v6
	ds_read_b64 v[6:7], v6
	v_cmp_lt_i64_e64 s[28:29], -1, v[2:3]
	v_cndmask_b32_e64 v10, v10, -1, s[28:29]
	v_ashrrev_i32_e32 v11, 31, v3
	v_xor_b32_e32 v3, v10, v3
	s_waitcnt lgkmcnt(0)
	v_lshlrev_b64 v[6:7], 3, v[6:7]
	v_mov_b32_e32 v10, s39
	v_add_co_u32_e64 v6, s[28:29], s38, v6
	v_addc_co_u32_e64 v7, s[28:29], v10, v7, s[28:29]
	v_not_b32_e32 v11, v11
	v_add_co_u32_e64 v6, s[28:29], v6, v33
	v_xor_b32_e32 v2, v11, v2
	v_addc_co_u32_e64 v7, s[28:29], 0, v7, s[28:29]
	global_store_dwordx2 v[6:7], v[2:3], off
.LBB156_57:
	s_or_b64 exec, exec, s[52:53]
	s_add_u32 s28, s40, s50
	s_addc_u32 s29, s41, s51
	v_mov_b32_e32 v2, s29
	v_add_co_u32_e64 v3, s[28:29], s28, v9
	v_addc_co_u32_e64 v2, s[28:29], 0, v2, s[28:29]
	v_add_co_u32_e64 v18, s[28:29], v3, v20
	v_addc_co_u32_e64 v19, s[28:29], 0, v2, s[28:29]
                                        ; implicit-def: $vgpr2_vgpr3
	s_and_saveexec_b64 s[28:29], vcc
	s_xor_b64 s[28:29], exec, s[28:29]
	s_cbranch_execnz .LBB156_127
; %bb.58:
	s_or_b64 exec, exec, s[28:29]
                                        ; implicit-def: $vgpr6_vgpr7
	s_and_saveexec_b64 s[28:29], s[0:1]
	s_cbranch_execnz .LBB156_128
.LBB156_59:
	s_or_b64 exec, exec, s[28:29]
                                        ; implicit-def: $vgpr10_vgpr11
	s_and_saveexec_b64 s[0:1], s[2:3]
	s_cbranch_execnz .LBB156_129
.LBB156_60:
	s_or_b64 exec, exec, s[0:1]
                                        ; implicit-def: $vgpr12_vgpr13
	s_and_saveexec_b64 s[0:1], s[26:27]
	s_cbranch_execnz .LBB156_130
.LBB156_61:
	s_or_b64 exec, exec, s[0:1]
                                        ; implicit-def: $vgpr14_vgpr15
	s_and_saveexec_b64 s[0:1], s[8:9]
	s_cbranch_execnz .LBB156_131
.LBB156_62:
	s_or_b64 exec, exec, s[0:1]
                                        ; implicit-def: $vgpr16_vgpr17
	s_and_saveexec_b64 s[0:1], s[10:11]
	s_cbranch_execz .LBB156_64
.LBB156_63:
	global_load_dwordx2 v[16:17], v[18:19], off offset:2560
.LBB156_64:
	s_or_b64 exec, exec, s[0:1]
	v_mov_b32_e32 v9, 0
	v_mov_b32_e32 v20, 0
	s_and_saveexec_b64 s[0:1], s[14:15]
	s_cbranch_execz .LBB156_66
; %bb.65:
	ds_read_b64 v[18:19], v28 offset:2048
	s_mov_b32 s2, -1
	s_brev_b32 s3, -2
	v_bfrev_b32_e32 v20, 1
	s_waitcnt lgkmcnt(0)
	v_cmp_ne_u64_e32 vcc, s[2:3], v[18:19]
	v_cndmask_b32_e32 v19, v20, v19, vcc
	v_cndmask_b32_e32 v18, 0, v18, vcc
	v_lshrrev_b64 v[18:19], s48, v[18:19]
	v_and_b32_e32 v20, s33, v18
.LBB156_66:
	s_or_b64 exec, exec, s[0:1]
	s_and_saveexec_b64 s[0:1], s[16:17]
	s_cbranch_execz .LBB156_68
; %bb.67:
	ds_read_b64 v[18:19], v28 offset:10240
	s_mov_b32 s2, -1
	s_brev_b32 s3, -2
	v_bfrev_b32_e32 v9, 1
	s_waitcnt lgkmcnt(0)
	v_cmp_ne_u64_e32 vcc, s[2:3], v[18:19]
	v_cndmask_b32_e32 v19, v9, v19, vcc
	v_cndmask_b32_e32 v18, 0, v18, vcc
	v_lshrrev_b64 v[18:19], s48, v[18:19]
	v_and_b32_e32 v9, s33, v18
.LBB156_68:
	s_or_b64 exec, exec, s[0:1]
	v_mov_b32_e32 v18, 0
	v_mov_b32_e32 v34, 0
	s_and_saveexec_b64 s[0:1], s[18:19]
	s_cbranch_execz .LBB156_70
; %bb.69:
	ds_read_b64 v[34:35], v28 offset:18432
	s_mov_b32 s2, -1
	s_brev_b32 s3, -2
	v_bfrev_b32_e32 v19, 1
	s_waitcnt lgkmcnt(0)
	v_cmp_ne_u64_e32 vcc, s[2:3], v[34:35]
	v_cndmask_b32_e32 v35, v19, v35, vcc
	v_cndmask_b32_e32 v34, 0, v34, vcc
	v_lshrrev_b64 v[34:35], s48, v[34:35]
	v_and_b32_e32 v34, s33, v34
.LBB156_70:
	s_or_b64 exec, exec, s[0:1]
	s_and_saveexec_b64 s[0:1], s[20:21]
	s_cbranch_execz .LBB156_72
; %bb.71:
	ds_read_b64 v[18:19], v28 offset:26624
	s_mov_b32 s2, -1
	s_brev_b32 s3, -2
	v_bfrev_b32_e32 v35, 1
	s_waitcnt lgkmcnt(0)
	v_cmp_ne_u64_e32 vcc, s[2:3], v[18:19]
	v_cndmask_b32_e32 v19, v35, v19, vcc
	v_cndmask_b32_e32 v18, 0, v18, vcc
	v_lshrrev_b64 v[18:19], s48, v[18:19]
	v_and_b32_e32 v18, s33, v18
.LBB156_72:
	;; [unrolled: 32-line block ×3, first 2 shown]
	s_or_b64 exec, exec, s[0:1]
	s_barrier
	s_waitcnt vmcnt(0)
	ds_write_b64 v22, v[2:3] offset:2048
	ds_write_b64 v23, v[6:7] offset:2048
	;; [unrolled: 1-line block ×6, first 2 shown]
	s_waitcnt lgkmcnt(0)
	s_barrier
	s_and_saveexec_b64 s[0:1], s[14:15]
	s_cbranch_execnz .LBB156_132
; %bb.77:
	s_or_b64 exec, exec, s[0:1]
	s_and_saveexec_b64 s[0:1], s[16:17]
	s_cbranch_execnz .LBB156_133
.LBB156_78:
	s_or_b64 exec, exec, s[0:1]
	s_and_saveexec_b64 s[0:1], s[18:19]
	s_cbranch_execnz .LBB156_134
.LBB156_79:
	s_or_b64 exec, exec, s[0:1]
	s_and_saveexec_b64 s[0:1], s[20:21]
	s_cbranch_execnz .LBB156_135
.LBB156_80:
	s_or_b64 exec, exec, s[0:1]
	s_and_saveexec_b64 s[0:1], s[22:23]
	s_cbranch_execnz .LBB156_136
.LBB156_81:
	s_or_b64 exec, exec, s[0:1]
	s_and_saveexec_b64 s[0:1], s[24:25]
	s_cbranch_execz .LBB156_83
.LBB156_82:
	v_lshlrev_b32_e32 v2, 3, v19
	ds_read_b64 v[2:3], v2
	ds_read_b64 v[6:7], v28 offset:43008
	v_mov_b32_e32 v9, s43
	s_waitcnt lgkmcnt(1)
	v_lshlrev_b64 v[2:3], 3, v[2:3]
	v_add_co_u32_e32 v2, vcc, s42, v2
	v_addc_co_u32_e32 v3, vcc, v9, v3, vcc
	v_add_co_u32_e32 v2, vcc, v2, v33
	v_addc_co_u32_e32 v3, vcc, 0, v3, vcc
	s_waitcnt lgkmcnt(0)
	global_store_dwordx2 v[2:3], v[6:7], off
.LBB156_83:
	s_or_b64 exec, exec, s[0:1]
	s_add_i32 s7, s7, -1
	s_cmp_eq_u32 s6, s7
	s_cselect_b64 s[0:1], -1, 0
	s_and_b64 s[2:3], s[12:13], s[0:1]
	s_mov_b64 s[0:1], 0
	s_mov_b64 s[10:11], 0
                                        ; implicit-def: $vgpr2_vgpr3
	s_and_saveexec_b64 s[8:9], s[2:3]
	s_xor_b64 s[2:3], exec, s[8:9]
; %bb.84:
	v_add_co_u32_e32 v2, vcc, v4, v21
	s_mov_b64 s[10:11], exec
	v_mov_b32_e32 v9, 0
	v_addc_co_u32_e32 v3, vcc, 0, v5, vcc
; %bb.85:
	s_or_b64 exec, exec, s[2:3]
	s_and_b64 vcc, exec, s[0:1]
	s_cbranch_vccnz .LBB156_87
	s_branch .LBB156_124
.LBB156_86:
	s_mov_b64 s[10:11], 0
                                        ; implicit-def: $vgpr2_vgpr3
                                        ; implicit-def: $vgpr8_vgpr9
	s_cbranch_execz .LBB156_124
.LBB156_87:
	s_mov_b32 s35, 0
	s_lshl_b64 s[12:13], s[34:35], 3
	v_and_b32_e32 v8, 0x3ff, v0
	s_add_u32 s0, s36, s12
	v_mbcnt_hi_u32_b32 v9, -1, v1
	s_addc_u32 s1, s37, s13
	v_and_b32_e32 v1, 0x3c0, v8
	v_lshlrev_b32_e32 v18, 3, v9
	v_mul_u32_u24_e32 v1, 6, v1
	v_mov_b32_e32 v2, s1
	v_add_co_u32_e32 v3, vcc, s0, v18
	s_load_dword s7, s[4:5], 0x50
	s_load_dword s0, s[4:5], 0x5c
	v_addc_co_u32_e32 v2, vcc, 0, v2, vcc
	v_lshlrev_b32_e32 v19, 3, v1
	v_add_co_u32_e32 v16, vcc, v3, v19
	v_addc_co_u32_e32 v17, vcc, 0, v2, vcc
	global_load_dwordx2 v[24:25], v[16:17], off
	s_add_u32 s1, s4, 0x50
	s_addc_u32 s2, s5, 0
	s_waitcnt lgkmcnt(0)
	s_lshr_b32 s4, s0, 16
	s_cmp_lt_u32 s6, s7
	s_cselect_b32 s0, 12, 18
	s_add_u32 s0, s1, s0
	v_mov_b32_e32 v4, 0
	s_addc_u32 s1, s2, 0
	global_load_ushort v5, v4, s[0:1]
	v_mul_u32_u24_e32 v2, 5, v8
	v_lshlrev_b32_e32 v20, 2, v2
	ds_write2_b32 v20, v4, v4 offset0:16 offset1:17
	ds_write2_b32 v20, v4, v4 offset0:18 offset1:19
	ds_write_b32 v20, v4 offset:80
	global_load_dwordx2 v[2:3], v[16:17], off offset:512
	global_load_dwordx2 v[14:15], v[16:17], off offset:1024
	;; [unrolled: 1-line block ×5, first 2 shown]
	v_bfrev_b32_e32 v23, 1
	v_bfe_u32 v1, v0, 10, 10
	v_bfe_u32 v0, v0, 20, 10
	s_mov_b32 s2, -1
	v_mad_u32_u24 v21, v0, s4, v1
	s_brev_b32 s3, -2
	s_lshl_b32 s0, -1, s49
	s_not_b32 s16, s0
	s_waitcnt lgkmcnt(0)
	s_barrier
	s_waitcnt lgkmcnt(0)
	; wave barrier
	s_waitcnt vmcnt(6)
	v_cmp_lt_i64_e32 vcc, -1, v[24:25]
	v_cndmask_b32_e32 v0, -1, v23, vcc
	v_ashrrev_i32_e32 v16, 31, v25
	v_xor_b32_e32 v1, v0, v25
	v_xor_b32_e32 v0, v16, v24
	v_cmp_ne_u64_e32 vcc, s[2:3], v[0:1]
	v_cndmask_b32_e32 v17, v23, v1, vcc
	v_cndmask_b32_e32 v16, 0, v0, vcc
	v_lshrrev_b64 v[16:17], s48, v[16:17]
	s_waitcnt vmcnt(5)
	v_mad_u64_u32 v[24:25], s[0:1], v21, v5, v[8:9]
	v_and_b32_e32 v16, s16, v16
	v_lshrrev_b32_e32 v26, 6, v24
	v_lshl_add_u32 v17, v16, 4, v16
	v_and_b32_e32 v22, 1, v16
	v_add_lshl_u32 v21, v26, v17, 2
	v_add_co_u32_e32 v17, vcc, -1, v22
	v_lshlrev_b32_e32 v5, 30, v16
	v_addc_co_u32_e64 v24, s[0:1], 0, -1, vcc
	v_cmp_ne_u32_e32 vcc, 0, v22
	v_cmp_gt_i64_e64 s[0:1], 0, v[4:5]
	v_not_b32_e32 v22, v5
	v_lshlrev_b32_e32 v5, 29, v16
	v_xor_b32_e32 v24, vcc_hi, v24
	v_xor_b32_e32 v17, vcc_lo, v17
	v_ashrrev_i32_e32 v22, 31, v22
	v_cmp_gt_i64_e32 vcc, 0, v[4:5]
	v_not_b32_e32 v25, v5
	v_lshlrev_b32_e32 v5, 28, v16
	v_and_b32_e32 v24, exec_hi, v24
	v_and_b32_e32 v17, exec_lo, v17
	v_xor_b32_e32 v27, s1, v22
	v_xor_b32_e32 v22, s0, v22
	v_ashrrev_i32_e32 v25, 31, v25
	v_cmp_gt_i64_e64 s[0:1], 0, v[4:5]
	v_not_b32_e32 v5, v5
	v_and_b32_e32 v24, v24, v27
	v_and_b32_e32 v17, v17, v22
	v_xor_b32_e32 v22, vcc_hi, v25
	v_xor_b32_e32 v25, vcc_lo, v25
	v_ashrrev_i32_e32 v5, 31, v5
	v_and_b32_e32 v22, v24, v22
	v_and_b32_e32 v17, v17, v25
	v_xor_b32_e32 v24, s1, v5
	v_xor_b32_e32 v5, s0, v5
	v_and_b32_e32 v17, v17, v5
	v_lshlrev_b32_e32 v5, 27, v16
	v_cmp_gt_i64_e32 vcc, 0, v[4:5]
	v_not_b32_e32 v5, v5
	v_ashrrev_i32_e32 v5, 31, v5
	v_and_b32_e32 v22, v22, v24
	v_xor_b32_e32 v24, vcc_hi, v5
	v_xor_b32_e32 v5, vcc_lo, v5
	v_and_b32_e32 v17, v17, v5
	v_lshlrev_b32_e32 v5, 26, v16
	v_cmp_gt_i64_e32 vcc, 0, v[4:5]
	v_not_b32_e32 v5, v5
	v_ashrrev_i32_e32 v5, 31, v5
	v_and_b32_e32 v22, v22, v24
	v_xor_b32_e32 v24, vcc_hi, v5
	v_xor_b32_e32 v5, vcc_lo, v5
	;; [unrolled: 8-line block ×3, first 2 shown]
	v_and_b32_e32 v22, v22, v24
	v_and_b32_e32 v24, v17, v5
	v_lshlrev_b32_e32 v5, 24, v16
	v_cmp_gt_i64_e32 vcc, 0, v[4:5]
	v_not_b32_e32 v5, v5
	v_ashrrev_i32_e32 v5, 31, v5
	v_xor_b32_e32 v16, vcc_hi, v5
	v_xor_b32_e32 v5, vcc_lo, v5
	v_and_b32_e32 v17, v22, v16
	v_and_b32_e32 v16, v24, v5
	v_mbcnt_lo_u32_b32 v5, v16, 0
	v_mbcnt_hi_u32_b32 v22, v17, v5
	v_cmp_eq_u32_e32 vcc, 0, v22
	v_cmp_ne_u64_e64 s[0:1], 0, v[16:17]
	s_and_b64 s[4:5], s[0:1], vcc
	s_and_saveexec_b64 s[0:1], s[4:5]
	s_cbranch_execz .LBB156_89
; %bb.88:
	v_bcnt_u32_b32 v5, v16, 0
	v_bcnt_u32_b32 v5, v17, v5
	ds_write_b32 v21, v5 offset:64
.LBB156_89:
	s_or_b64 exec, exec, s[0:1]
	s_waitcnt vmcnt(4)
	v_cmp_lt_i64_e32 vcc, -1, v[2:3]
	v_cndmask_b32_e32 v5, -1, v23, vcc
	v_ashrrev_i32_e32 v16, 31, v3
	v_xor_b32_e32 v3, v5, v3
	v_xor_b32_e32 v2, v16, v2
	v_cmp_ne_u64_e32 vcc, s[2:3], v[2:3]
	v_cndmask_b32_e32 v17, v23, v3, vcc
	v_cndmask_b32_e32 v16, 0, v2, vcc
	v_lshrrev_b64 v[16:17], s48, v[16:17]
	v_and_b32_e32 v16, s16, v16
	v_lshl_add_u32 v5, v16, 4, v16
	v_add_lshl_u32 v24, v26, v5, 2
	v_and_b32_e32 v5, 1, v16
	v_add_co_u32_e32 v17, vcc, -1, v5
	v_addc_co_u32_e64 v25, s[0:1], 0, -1, vcc
	v_cmp_ne_u32_e32 vcc, 0, v5
	v_xor_b32_e32 v5, vcc_hi, v25
	v_and_b32_e32 v25, exec_hi, v5
	v_lshlrev_b32_e32 v5, 30, v16
	v_xor_b32_e32 v17, vcc_lo, v17
	v_cmp_gt_i64_e32 vcc, 0, v[4:5]
	v_not_b32_e32 v5, v5
	v_ashrrev_i32_e32 v5, 31, v5
	v_and_b32_e32 v17, exec_lo, v17
	v_xor_b32_e32 v27, vcc_hi, v5
	v_xor_b32_e32 v5, vcc_lo, v5
	v_and_b32_e32 v17, v17, v5
	v_lshlrev_b32_e32 v5, 29, v16
	v_cmp_gt_i64_e32 vcc, 0, v[4:5]
	v_not_b32_e32 v5, v5
	v_ashrrev_i32_e32 v5, 31, v5
	v_and_b32_e32 v25, v25, v27
	v_xor_b32_e32 v27, vcc_hi, v5
	v_xor_b32_e32 v5, vcc_lo, v5
	v_and_b32_e32 v17, v17, v5
	v_lshlrev_b32_e32 v5, 28, v16
	v_cmp_gt_i64_e32 vcc, 0, v[4:5]
	v_not_b32_e32 v5, v5
	v_ashrrev_i32_e32 v5, 31, v5
	v_and_b32_e32 v25, v25, v27
	;; [unrolled: 8-line block ×5, first 2 shown]
	v_xor_b32_e32 v27, vcc_hi, v5
	v_xor_b32_e32 v5, vcc_lo, v5
	v_and_b32_e32 v17, v17, v5
	v_lshlrev_b32_e32 v5, 24, v16
	v_cmp_gt_i64_e32 vcc, 0, v[4:5]
	v_not_b32_e32 v4, v5
	v_ashrrev_i32_e32 v4, 31, v4
	v_xor_b32_e32 v5, vcc_hi, v4
	v_xor_b32_e32 v4, vcc_lo, v4
	; wave barrier
	ds_read_b32 v23, v24 offset:64
	v_and_b32_e32 v25, v25, v27
	v_and_b32_e32 v4, v17, v4
	;; [unrolled: 1-line block ×3, first 2 shown]
	v_mbcnt_lo_u32_b32 v16, v4, 0
	v_mbcnt_hi_u32_b32 v25, v5, v16
	v_cmp_eq_u32_e32 vcc, 0, v25
	v_cmp_ne_u64_e64 s[0:1], 0, v[4:5]
	s_and_b64 s[2:3], s[0:1], vcc
	; wave barrier
	s_and_saveexec_b64 s[0:1], s[2:3]
	s_cbranch_execz .LBB156_91
; %bb.90:
	v_bcnt_u32_b32 v4, v4, 0
	v_bcnt_u32_b32 v4, v5, v4
	s_waitcnt lgkmcnt(0)
	v_add_u32_e32 v4, v23, v4
	ds_write_b32 v24, v4 offset:64
.LBB156_91:
	s_or_b64 exec, exec, s[0:1]
	v_bfrev_b32_e32 v30, 1
	s_waitcnt vmcnt(3)
	v_cmp_lt_i64_e32 vcc, -1, v[14:15]
	s_mov_b32 s2, -1
	v_cndmask_b32_e32 v4, -1, v30, vcc
	v_ashrrev_i32_e32 v16, 31, v15
	s_brev_b32 s3, -2
	v_xor_b32_e32 v5, v4, v15
	v_xor_b32_e32 v4, v16, v14
	v_cmp_ne_u64_e32 vcc, s[2:3], v[4:5]
	v_cndmask_b32_e32 v17, v30, v5, vcc
	v_cndmask_b32_e32 v16, 0, v4, vcc
	v_lshrrev_b64 v[16:17], s48, v[16:17]
	v_and_b32_e32 v16, s16, v16
	v_lshl_add_u32 v15, v16, 4, v16
	v_add_lshl_u32 v28, v26, v15, 2
	v_and_b32_e32 v15, 1, v16
	v_add_co_u32_e32 v17, vcc, -1, v15
	v_addc_co_u32_e64 v29, s[0:1], 0, -1, vcc
	v_cmp_ne_u32_e32 vcc, 0, v15
	v_xor_b32_e32 v15, vcc_hi, v29
	v_mov_b32_e32 v14, 0
	v_and_b32_e32 v29, exec_hi, v15
	v_lshlrev_b32_e32 v15, 30, v16
	v_xor_b32_e32 v17, vcc_lo, v17
	v_cmp_gt_i64_e32 vcc, 0, v[14:15]
	v_not_b32_e32 v15, v15
	v_ashrrev_i32_e32 v15, 31, v15
	v_and_b32_e32 v17, exec_lo, v17
	v_xor_b32_e32 v31, vcc_hi, v15
	v_xor_b32_e32 v15, vcc_lo, v15
	v_and_b32_e32 v17, v17, v15
	v_lshlrev_b32_e32 v15, 29, v16
	v_cmp_gt_i64_e32 vcc, 0, v[14:15]
	v_not_b32_e32 v15, v15
	v_ashrrev_i32_e32 v15, 31, v15
	v_and_b32_e32 v29, v29, v31
	v_xor_b32_e32 v31, vcc_hi, v15
	v_xor_b32_e32 v15, vcc_lo, v15
	v_and_b32_e32 v17, v17, v15
	v_lshlrev_b32_e32 v15, 28, v16
	v_cmp_gt_i64_e32 vcc, 0, v[14:15]
	v_not_b32_e32 v15, v15
	v_ashrrev_i32_e32 v15, 31, v15
	v_and_b32_e32 v29, v29, v31
	;; [unrolled: 8-line block ×5, first 2 shown]
	v_xor_b32_e32 v31, vcc_hi, v15
	v_xor_b32_e32 v15, vcc_lo, v15
	v_and_b32_e32 v29, v29, v31
	v_and_b32_e32 v31, v17, v15
	v_lshlrev_b32_e32 v15, 24, v16
	v_cmp_gt_i64_e32 vcc, 0, v[14:15]
	v_not_b32_e32 v15, v15
	v_ashrrev_i32_e32 v15, 31, v15
	v_xor_b32_e32 v16, vcc_hi, v15
	v_xor_b32_e32 v15, vcc_lo, v15
	; wave barrier
	ds_read_b32 v27, v28 offset:64
	v_and_b32_e32 v17, v29, v16
	v_and_b32_e32 v16, v31, v15
	v_mbcnt_lo_u32_b32 v15, v16, 0
	v_mbcnt_hi_u32_b32 v29, v17, v15
	v_cmp_eq_u32_e32 vcc, 0, v29
	v_cmp_ne_u64_e64 s[0:1], 0, v[16:17]
	s_and_b64 s[4:5], s[0:1], vcc
	; wave barrier
	s_and_saveexec_b64 s[0:1], s[4:5]
	s_cbranch_execz .LBB156_93
; %bb.92:
	v_bcnt_u32_b32 v15, v16, 0
	v_bcnt_u32_b32 v15, v17, v15
	s_waitcnt lgkmcnt(0)
	v_add_u32_e32 v15, v27, v15
	ds_write_b32 v28, v15 offset:64
.LBB156_93:
	s_or_b64 exec, exec, s[0:1]
	s_waitcnt vmcnt(2)
	v_cmp_lt_i64_e32 vcc, -1, v[12:13]
	v_cndmask_b32_e32 v15, -1, v30, vcc
	v_ashrrev_i32_e32 v16, 31, v13
	v_xor_b32_e32 v13, v15, v13
	v_xor_b32_e32 v12, v16, v12
	v_cmp_ne_u64_e32 vcc, s[2:3], v[12:13]
	v_cndmask_b32_e32 v17, v30, v13, vcc
	v_cndmask_b32_e32 v16, 0, v12, vcc
	v_lshrrev_b64 v[16:17], s48, v[16:17]
	v_and_b32_e32 v16, s16, v16
	v_lshl_add_u32 v15, v16, 4, v16
	v_add_lshl_u32 v31, v26, v15, 2
	v_and_b32_e32 v15, 1, v16
	v_add_co_u32_e32 v17, vcc, -1, v15
	v_addc_co_u32_e64 v32, s[0:1], 0, -1, vcc
	v_cmp_ne_u32_e32 vcc, 0, v15
	v_xor_b32_e32 v15, vcc_hi, v32
	v_and_b32_e32 v32, exec_hi, v15
	v_lshlrev_b32_e32 v15, 30, v16
	v_xor_b32_e32 v17, vcc_lo, v17
	v_cmp_gt_i64_e32 vcc, 0, v[14:15]
	v_not_b32_e32 v15, v15
	v_ashrrev_i32_e32 v15, 31, v15
	v_and_b32_e32 v17, exec_lo, v17
	v_xor_b32_e32 v33, vcc_hi, v15
	v_xor_b32_e32 v15, vcc_lo, v15
	v_and_b32_e32 v17, v17, v15
	v_lshlrev_b32_e32 v15, 29, v16
	v_cmp_gt_i64_e32 vcc, 0, v[14:15]
	v_not_b32_e32 v15, v15
	v_ashrrev_i32_e32 v15, 31, v15
	v_and_b32_e32 v32, v32, v33
	v_xor_b32_e32 v33, vcc_hi, v15
	v_xor_b32_e32 v15, vcc_lo, v15
	v_and_b32_e32 v17, v17, v15
	v_lshlrev_b32_e32 v15, 28, v16
	v_cmp_gt_i64_e32 vcc, 0, v[14:15]
	v_not_b32_e32 v15, v15
	v_ashrrev_i32_e32 v15, 31, v15
	v_and_b32_e32 v32, v32, v33
	;; [unrolled: 8-line block ×5, first 2 shown]
	v_xor_b32_e32 v33, vcc_hi, v15
	v_xor_b32_e32 v15, vcc_lo, v15
	v_and_b32_e32 v17, v17, v15
	v_lshlrev_b32_e32 v15, 24, v16
	v_cmp_gt_i64_e32 vcc, 0, v[14:15]
	v_not_b32_e32 v14, v15
	v_ashrrev_i32_e32 v14, 31, v14
	v_xor_b32_e32 v15, vcc_hi, v14
	v_xor_b32_e32 v14, vcc_lo, v14
	; wave barrier
	ds_read_b32 v30, v31 offset:64
	v_and_b32_e32 v32, v32, v33
	v_and_b32_e32 v14, v17, v14
	;; [unrolled: 1-line block ×3, first 2 shown]
	v_mbcnt_lo_u32_b32 v16, v14, 0
	v_mbcnt_hi_u32_b32 v32, v15, v16
	v_cmp_eq_u32_e32 vcc, 0, v32
	v_cmp_ne_u64_e64 s[0:1], 0, v[14:15]
	s_and_b64 s[2:3], s[0:1], vcc
	; wave barrier
	s_and_saveexec_b64 s[0:1], s[2:3]
	s_cbranch_execz .LBB156_95
; %bb.94:
	v_bcnt_u32_b32 v14, v14, 0
	v_bcnt_u32_b32 v14, v15, v14
	s_waitcnt lgkmcnt(0)
	v_add_u32_e32 v14, v30, v14
	ds_write_b32 v31, v14 offset:64
.LBB156_95:
	s_or_b64 exec, exec, s[0:1]
	v_bfrev_b32_e32 v37, 1
	s_waitcnt vmcnt(1)
	v_cmp_lt_i64_e32 vcc, -1, v[10:11]
	s_mov_b32 s2, -1
	v_cndmask_b32_e32 v14, -1, v37, vcc
	v_ashrrev_i32_e32 v16, 31, v11
	s_brev_b32 s3, -2
	v_xor_b32_e32 v15, v14, v11
	v_xor_b32_e32 v14, v16, v10
	v_cmp_ne_u64_e32 vcc, s[2:3], v[14:15]
	v_cndmask_b32_e32 v17, v37, v15, vcc
	v_cndmask_b32_e32 v16, 0, v14, vcc
	v_lshrrev_b64 v[16:17], s48, v[16:17]
	v_and_b32_e32 v16, s16, v16
	v_lshl_add_u32 v11, v16, 4, v16
	v_add_lshl_u32 v34, v11, v26, 2
	v_and_b32_e32 v11, 1, v16
	v_add_co_u32_e32 v17, vcc, -1, v11
	v_addc_co_u32_e64 v35, s[0:1], 0, -1, vcc
	v_cmp_ne_u32_e32 vcc, 0, v11
	v_xor_b32_e32 v11, vcc_hi, v35
	v_mov_b32_e32 v10, 0
	v_and_b32_e32 v35, exec_hi, v11
	v_lshlrev_b32_e32 v11, 30, v16
	v_xor_b32_e32 v17, vcc_lo, v17
	v_cmp_gt_i64_e32 vcc, 0, v[10:11]
	v_not_b32_e32 v11, v11
	v_ashrrev_i32_e32 v11, 31, v11
	v_and_b32_e32 v17, exec_lo, v17
	v_xor_b32_e32 v36, vcc_hi, v11
	v_xor_b32_e32 v11, vcc_lo, v11
	v_and_b32_e32 v17, v17, v11
	v_lshlrev_b32_e32 v11, 29, v16
	v_cmp_gt_i64_e32 vcc, 0, v[10:11]
	v_not_b32_e32 v11, v11
	v_ashrrev_i32_e32 v11, 31, v11
	v_and_b32_e32 v35, v35, v36
	v_xor_b32_e32 v36, vcc_hi, v11
	v_xor_b32_e32 v11, vcc_lo, v11
	v_and_b32_e32 v17, v17, v11
	v_lshlrev_b32_e32 v11, 28, v16
	v_cmp_gt_i64_e32 vcc, 0, v[10:11]
	v_not_b32_e32 v11, v11
	v_ashrrev_i32_e32 v11, 31, v11
	v_and_b32_e32 v35, v35, v36
	;; [unrolled: 8-line block ×5, first 2 shown]
	v_xor_b32_e32 v36, vcc_hi, v11
	v_xor_b32_e32 v11, vcc_lo, v11
	v_and_b32_e32 v35, v35, v36
	v_and_b32_e32 v36, v17, v11
	v_lshlrev_b32_e32 v11, 24, v16
	v_cmp_gt_i64_e32 vcc, 0, v[10:11]
	v_not_b32_e32 v11, v11
	v_ashrrev_i32_e32 v11, 31, v11
	v_xor_b32_e32 v16, vcc_hi, v11
	v_xor_b32_e32 v11, vcc_lo, v11
	; wave barrier
	ds_read_b32 v33, v34 offset:64
	v_and_b32_e32 v17, v35, v16
	v_and_b32_e32 v16, v36, v11
	v_mbcnt_lo_u32_b32 v11, v16, 0
	v_mbcnt_hi_u32_b32 v35, v17, v11
	v_cmp_eq_u32_e32 vcc, 0, v35
	v_cmp_ne_u64_e64 s[0:1], 0, v[16:17]
	s_and_b64 s[4:5], s[0:1], vcc
	; wave barrier
	s_and_saveexec_b64 s[0:1], s[4:5]
	s_cbranch_execz .LBB156_97
; %bb.96:
	v_bcnt_u32_b32 v11, v16, 0
	v_bcnt_u32_b32 v11, v17, v11
	s_waitcnt lgkmcnt(0)
	v_add_u32_e32 v11, v33, v11
	ds_write_b32 v34, v11 offset:64
.LBB156_97:
	s_or_b64 exec, exec, s[0:1]
	s_waitcnt vmcnt(0)
	v_cmp_lt_i64_e32 vcc, -1, v[6:7]
	v_cndmask_b32_e32 v11, -1, v37, vcc
	v_ashrrev_i32_e32 v16, 31, v7
	v_xor_b32_e32 v7, v11, v7
	v_xor_b32_e32 v6, v16, v6
	v_cmp_ne_u64_e32 vcc, s[2:3], v[6:7]
	v_cndmask_b32_e32 v17, v37, v7, vcc
	v_cndmask_b32_e32 v16, 0, v6, vcc
	v_lshrrev_b64 v[16:17], s48, v[16:17]
	v_and_b32_e32 v16, s16, v16
	v_lshl_add_u32 v11, v16, 4, v16
	v_add_lshl_u32 v37, v11, v26, 2
	v_and_b32_e32 v11, 1, v16
	v_add_co_u32_e32 v17, vcc, -1, v11
	v_addc_co_u32_e64 v38, s[0:1], 0, -1, vcc
	v_cmp_ne_u32_e32 vcc, 0, v11
	v_xor_b32_e32 v11, vcc_hi, v38
	v_and_b32_e32 v38, exec_hi, v11
	v_lshlrev_b32_e32 v11, 30, v16
	v_xor_b32_e32 v17, vcc_lo, v17
	v_cmp_gt_i64_e32 vcc, 0, v[10:11]
	v_not_b32_e32 v11, v11
	v_ashrrev_i32_e32 v11, 31, v11
	v_and_b32_e32 v17, exec_lo, v17
	v_xor_b32_e32 v39, vcc_hi, v11
	v_xor_b32_e32 v11, vcc_lo, v11
	v_and_b32_e32 v17, v17, v11
	v_lshlrev_b32_e32 v11, 29, v16
	v_cmp_gt_i64_e32 vcc, 0, v[10:11]
	v_not_b32_e32 v11, v11
	v_ashrrev_i32_e32 v11, 31, v11
	v_and_b32_e32 v38, v38, v39
	v_xor_b32_e32 v39, vcc_hi, v11
	v_xor_b32_e32 v11, vcc_lo, v11
	v_and_b32_e32 v17, v17, v11
	v_lshlrev_b32_e32 v11, 28, v16
	v_cmp_gt_i64_e32 vcc, 0, v[10:11]
	v_not_b32_e32 v11, v11
	v_ashrrev_i32_e32 v11, 31, v11
	v_and_b32_e32 v38, v38, v39
	v_xor_b32_e32 v39, vcc_hi, v11
	v_xor_b32_e32 v11, vcc_lo, v11
	v_and_b32_e32 v17, v17, v11
	v_lshlrev_b32_e32 v11, 27, v16
	v_cmp_gt_i64_e32 vcc, 0, v[10:11]
	v_not_b32_e32 v11, v11
	v_ashrrev_i32_e32 v11, 31, v11
	v_and_b32_e32 v38, v38, v39
	v_xor_b32_e32 v39, vcc_hi, v11
	v_xor_b32_e32 v11, vcc_lo, v11
	v_and_b32_e32 v17, v17, v11
	v_lshlrev_b32_e32 v11, 26, v16
	v_cmp_gt_i64_e32 vcc, 0, v[10:11]
	v_not_b32_e32 v11, v11
	v_ashrrev_i32_e32 v11, 31, v11
	v_and_b32_e32 v38, v38, v39
	v_xor_b32_e32 v39, vcc_hi, v11
	v_xor_b32_e32 v11, vcc_lo, v11
	v_and_b32_e32 v17, v17, v11
	v_lshlrev_b32_e32 v11, 25, v16
	v_cmp_gt_i64_e32 vcc, 0, v[10:11]
	v_not_b32_e32 v11, v11
	v_ashrrev_i32_e32 v11, 31, v11
	v_and_b32_e32 v38, v38, v39
	v_xor_b32_e32 v39, vcc_hi, v11
	v_xor_b32_e32 v11, vcc_lo, v11
	v_and_b32_e32 v17, v17, v11
	v_lshlrev_b32_e32 v11, 24, v16
	v_cmp_gt_i64_e32 vcc, 0, v[10:11]
	v_not_b32_e32 v10, v11
	v_ashrrev_i32_e32 v10, 31, v10
	v_xor_b32_e32 v11, vcc_hi, v10
	v_xor_b32_e32 v10, vcc_lo, v10
	; wave barrier
	ds_read_b32 v26, v37 offset:64
	v_and_b32_e32 v38, v38, v39
	v_and_b32_e32 v10, v17, v10
	;; [unrolled: 1-line block ×3, first 2 shown]
	v_mbcnt_lo_u32_b32 v16, v10, 0
	v_mbcnt_hi_u32_b32 v38, v11, v16
	v_cmp_eq_u32_e32 vcc, 0, v38
	v_cmp_ne_u64_e64 s[0:1], 0, v[10:11]
	v_add_u32_e32 v36, 64, v20
	s_and_b64 s[2:3], s[0:1], vcc
	; wave barrier
	s_and_saveexec_b64 s[0:1], s[2:3]
	s_cbranch_execz .LBB156_99
; %bb.98:
	v_bcnt_u32_b32 v10, v10, 0
	v_bcnt_u32_b32 v10, v11, v10
	s_waitcnt lgkmcnt(0)
	v_add_u32_e32 v10, v26, v10
	ds_write_b32 v37, v10 offset:64
.LBB156_99:
	s_or_b64 exec, exec, s[0:1]
	; wave barrier
	s_waitcnt lgkmcnt(0)
	s_barrier
	ds_read2_b32 v[16:17], v20 offset0:16 offset1:17
	ds_read2_b32 v[10:11], v36 offset0:2 offset1:3
	ds_read_b32 v39, v36 offset:16
	v_cmp_lt_u32_e64 s[8:9], 31, v9
	s_waitcnt lgkmcnt(1)
	v_add3_u32 v40, v17, v16, v10
	s_waitcnt lgkmcnt(0)
	v_add3_u32 v39, v40, v11, v39
	v_and_b32_e32 v40, 15, v9
	v_cmp_eq_u32_e32 vcc, 0, v40
	v_mov_b32_dpp v41, v39 row_shr:1 row_mask:0xf bank_mask:0xf
	v_cndmask_b32_e64 v41, v41, 0, vcc
	v_add_u32_e32 v39, v41, v39
	v_cmp_lt_u32_e64 s[0:1], 1, v40
	v_cmp_lt_u32_e64 s[2:3], 3, v40
	v_mov_b32_dpp v41, v39 row_shr:2 row_mask:0xf bank_mask:0xf
	v_cndmask_b32_e64 v41, 0, v41, s[0:1]
	v_add_u32_e32 v39, v39, v41
	v_cmp_lt_u32_e64 s[4:5], 7, v40
	s_nop 0
	v_mov_b32_dpp v41, v39 row_shr:4 row_mask:0xf bank_mask:0xf
	v_cndmask_b32_e64 v41, 0, v41, s[2:3]
	v_add_u32_e32 v39, v39, v41
	s_nop 1
	v_mov_b32_dpp v41, v39 row_shr:8 row_mask:0xf bank_mask:0xf
	v_cndmask_b32_e64 v40, 0, v41, s[4:5]
	v_add_u32_e32 v39, v39, v40
	v_bfe_i32 v41, v9, 4, 1
	s_nop 0
	v_mov_b32_dpp v40, v39 row_bcast:15 row_mask:0xf bank_mask:0xf
	v_and_b32_e32 v40, v41, v40
	v_add_u32_e32 v39, v39, v40
	v_and_b32_e32 v41, 63, v8
	s_nop 0
	v_mov_b32_dpp v40, v39 row_bcast:31 row_mask:0xf bank_mask:0xf
	v_cndmask_b32_e64 v40, 0, v40, s[8:9]
	v_add_u32_e32 v39, v39, v40
	v_lshrrev_b32_e32 v40, 6, v8
	v_cmp_eq_u32_e64 s[8:9], 63, v41
	s_and_saveexec_b64 s[14:15], s[8:9]
	s_cbranch_execz .LBB156_101
; %bb.100:
	v_lshlrev_b32_e32 v41, 2, v40
	ds_write_b32 v41, v39
.LBB156_101:
	s_or_b64 exec, exec, s[14:15]
	v_cmp_gt_u32_e64 s[8:9], 16, v8
	s_waitcnt lgkmcnt(0)
	s_barrier
	s_and_saveexec_b64 s[14:15], s[8:9]
	s_cbranch_execz .LBB156_103
; %bb.102:
	v_lshlrev_b32_e32 v41, 2, v8
	ds_read_b32 v42, v41
	s_waitcnt lgkmcnt(0)
	s_nop 0
	v_mov_b32_dpp v43, v42 row_shr:1 row_mask:0xf bank_mask:0xf
	v_cndmask_b32_e64 v43, v43, 0, vcc
	v_add_u32_e32 v42, v43, v42
	s_nop 1
	v_mov_b32_dpp v43, v42 row_shr:2 row_mask:0xf bank_mask:0xf
	v_cndmask_b32_e64 v43, 0, v43, s[0:1]
	v_add_u32_e32 v42, v42, v43
	s_nop 1
	v_mov_b32_dpp v43, v42 row_shr:4 row_mask:0xf bank_mask:0xf
	v_cndmask_b32_e64 v43, 0, v43, s[2:3]
	;; [unrolled: 4-line block ×3, first 2 shown]
	v_add_u32_e32 v42, v42, v43
	ds_write_b32 v41, v42
.LBB156_103:
	s_or_b64 exec, exec, s[14:15]
	v_cmp_lt_u32_e32 vcc, 63, v8
	v_mov_b32_e32 v41, 0
	s_waitcnt lgkmcnt(0)
	s_barrier
	s_and_saveexec_b64 s[0:1], vcc
	s_cbranch_execz .LBB156_105
; %bb.104:
	v_lshl_add_u32 v40, v40, 2, -4
	ds_read_b32 v41, v40
.LBB156_105:
	s_or_b64 exec, exec, s[0:1]
	v_add_u32_e32 v40, -1, v9
	v_and_b32_e32 v42, 64, v9
	v_cmp_lt_i32_e32 vcc, v40, v42
	v_cndmask_b32_e32 v40, v40, v9, vcc
	s_waitcnt lgkmcnt(0)
	v_add_u32_e32 v39, v41, v39
	v_lshlrev_b32_e32 v40, 2, v40
	ds_bpermute_b32 v39, v40, v39
	v_cmp_eq_u32_e32 vcc, 0, v9
	s_movk_i32 s2, 0xff
	s_movk_i32 s3, 0x100
	v_cmp_lt_u32_e64 s[0:1], s2, v8
	s_waitcnt lgkmcnt(0)
	v_cndmask_b32_e32 v9, v39, v41, vcc
	v_cmp_ne_u32_e32 vcc, 0, v8
	v_cndmask_b32_e32 v9, 0, v9, vcc
	v_add_u32_e32 v16, v9, v16
	v_add_u32_e32 v17, v16, v17
	;; [unrolled: 1-line block ×4, first 2 shown]
	ds_write2_b32 v20, v9, v16 offset0:16 offset1:17
	ds_write2_b32 v36, v17, v10 offset0:2 offset1:3
	ds_write_b32 v36, v11 offset:16
	s_waitcnt lgkmcnt(0)
	s_barrier
	ds_read_b32 v21, v21 offset:64
	ds_read_b32 v36, v24 offset:64
	;; [unrolled: 1-line block ×6, first 2 shown]
	v_cmp_gt_u32_e32 vcc, s3, v8
	v_pk_mov_b32 v[10:11], 0, 0
                                        ; implicit-def: $vgpr20
	s_and_saveexec_b64 s[4:5], vcc
	s_cbranch_execz .LBB156_109
; %bb.106:
	v_mul_u32_u24_e32 v10, 17, v8
	v_lshlrev_b32_e32 v20, 2, v10
	ds_read_b32 v10, v20 offset:64
	v_cmp_ne_u32_e64 s[2:3], s2, v8
	v_mov_b32_e32 v11, 0x1800
	s_and_saveexec_b64 s[8:9], s[2:3]
	s_cbranch_execz .LBB156_108
; %bb.107:
	ds_read_b32 v11, v20 offset:132
.LBB156_108:
	s_or_b64 exec, exec, s[8:9]
	s_waitcnt lgkmcnt(0)
	v_sub_u32_e32 v20, v11, v10
	v_mov_b32_e32 v11, 0
.LBB156_109:
	s_or_b64 exec, exec, s[4:5]
	v_add_u32_e32 v26, v38, v26
	v_add_u32_e32 v28, v35, v33
	;; [unrolled: 1-line block ×5, first 2 shown]
	s_waitcnt lgkmcnt(5)
	v_add_lshl_u32 v21, v21, v22, 3
	s_waitcnt lgkmcnt(4)
	v_add_lshl_u32 v22, v23, v36, 3
	;; [unrolled: 2-line block ×6, first 2 shown]
	s_barrier
	ds_write_b64 v21, v[0:1] offset:2048
	ds_write_b64 v22, v[2:3] offset:2048
	;; [unrolled: 1-line block ×6, first 2 shown]
	s_waitcnt lgkmcnt(0)
	s_barrier
	s_and_saveexec_b64 s[2:3], s[0:1]
	s_xor_b64 s[0:1], exec, s[2:3]
; %bb.110:
	v_mov_b32_e32 v9, 0
; %bb.111:
	s_andn2_saveexec_b64 s[2:3], s[0:1]
	s_cbranch_execz .LBB156_121
; %bb.112:
	v_lshl_or_b32 v0, s6, 8, v8
	v_mov_b32_e32 v1, 0
	v_lshlrev_b64 v[2:3], 2, v[0:1]
	v_mov_b32_e32 v7, s31
	v_add_co_u32_e64 v2, s[0:1], s30, v2
	v_addc_co_u32_e64 v3, s[0:1], v7, v3, s[0:1]
	v_or_b32_e32 v0, 2.0, v20
	s_mov_b64 s[4:5], 0
	s_brev_b32 s17, 1
	s_mov_b32 s18, s6
	v_mov_b32_e32 v6, 0
	global_store_dword v[2:3], v0, off
                                        ; implicit-def: $sgpr0_sgpr1
	s_branch .LBB156_115
.LBB156_113:                            ;   in Loop: Header=BB156_115 Depth=1
	s_or_b64 exec, exec, s[14:15]
.LBB156_114:                            ;   in Loop: Header=BB156_115 Depth=1
	s_or_b64 exec, exec, s[8:9]
	v_and_b32_e32 v4, 0x3fffffff, v9
	v_add_u32_e32 v6, v4, v6
	v_cmp_eq_u32_e64 s[0:1], s17, v0
	s_and_b64 s[8:9], exec, s[0:1]
	s_or_b64 s[4:5], s[8:9], s[4:5]
	s_andn2_b64 exec, exec, s[4:5]
	s_cbranch_execz .LBB156_120
.LBB156_115:                            ; =>This Loop Header: Depth=1
                                        ;     Child Loop BB156_118 Depth 2
	s_or_b64 s[0:1], s[0:1], exec
	s_cmp_eq_u32 s18, 0
	s_cbranch_scc1 .LBB156_119
; %bb.116:                              ;   in Loop: Header=BB156_115 Depth=1
	s_add_i32 s18, s18, -1
	v_lshl_or_b32 v0, s18, 8, v8
	v_lshlrev_b64 v[4:5], 2, v[0:1]
	v_add_co_u32_e64 v4, s[0:1], s30, v4
	v_addc_co_u32_e64 v5, s[0:1], v7, v5, s[0:1]
	global_load_dword v9, v[4:5], off glc
	s_waitcnt vmcnt(0)
	v_and_b32_e32 v0, -2.0, v9
	v_cmp_eq_u32_e64 s[0:1], 0, v0
	s_and_saveexec_b64 s[8:9], s[0:1]
	s_cbranch_execz .LBB156_114
; %bb.117:                              ;   in Loop: Header=BB156_115 Depth=1
	s_mov_b64 s[14:15], 0
.LBB156_118:                            ;   Parent Loop BB156_115 Depth=1
                                        ; =>  This Inner Loop Header: Depth=2
	global_load_dword v9, v[4:5], off glc
	s_waitcnt vmcnt(0)
	v_and_b32_e32 v0, -2.0, v9
	v_cmp_ne_u32_e64 s[0:1], 0, v0
	s_or_b64 s[14:15], s[0:1], s[14:15]
	s_andn2_b64 exec, exec, s[14:15]
	s_cbranch_execnz .LBB156_118
	s_branch .LBB156_113
.LBB156_119:                            ;   in Loop: Header=BB156_115 Depth=1
                                        ; implicit-def: $sgpr18
	s_and_b64 s[8:9], exec, s[0:1]
	s_or_b64 s[4:5], s[8:9], s[4:5]
	s_andn2_b64 exec, exec, s[4:5]
	s_cbranch_execnz .LBB156_115
.LBB156_120:
	s_or_b64 exec, exec, s[4:5]
	v_add_u32_e32 v0, v6, v20
	v_or_b32_e32 v0, 0x80000000, v0
	global_store_dword v[2:3], v0, off
	v_lshlrev_b32_e32 v2, 3, v8
	global_load_dwordx2 v[0:1], v2, s[44:45]
	v_sub_co_u32_e64 v3, s[0:1], v6, v10
	v_subb_co_u32_e64 v4, s[0:1], 0, v11, s[0:1]
	v_mov_b32_e32 v9, 0
	s_waitcnt vmcnt(0)
	v_add_co_u32_e64 v0, s[0:1], v3, v0
	v_addc_co_u32_e64 v1, s[0:1], v4, v1, s[0:1]
	ds_write_b64 v2, v[0:1]
.LBB156_121:
	s_or_b64 exec, exec, s[2:3]
	v_lshlrev_b32_e32 v27, 3, v8
	s_waitcnt lgkmcnt(0)
	s_barrier
	v_lshlrev_b32_e32 v28, 3, v8
	ds_read2st64_b64 v[0:3], v27 offset0:20 offset1:36
	ds_read_b64 v[12:13], v28 offset:2048
	s_mov_b32 s2, -1
	ds_read2st64_b64 v[4:7], v27 offset0:52 offset1:68
	s_brev_b32 s3, -2
	v_bfrev_b32_e32 v46, 1
	s_waitcnt lgkmcnt(2)
	v_cmp_ne_u64_e64 s[0:1], s[2:3], v[2:3]
	v_cndmask_b32_e64 v15, v46, v3, s[0:1]
	v_cndmask_b32_e64 v14, 0, v2, s[0:1]
	v_lshrrev_b64 v[14:15], s48, v[14:15]
	v_and_b32_e32 v14, s16, v14
	s_waitcnt lgkmcnt(0)
	v_cmp_ne_u64_e64 s[0:1], s[2:3], v[6:7]
	v_lshlrev_b32_e32 v29, 3, v14
	v_cndmask_b32_e64 v15, v46, v7, s[0:1]
	v_cndmask_b32_e64 v14, 0, v6, s[0:1]
	v_cmp_ne_u64_e64 s[0:1], s[2:3], v[12:13]
	v_cndmask_b32_e64 v33, v46, v13, s[0:1]
	v_cndmask_b32_e64 v32, 0, v12, s[0:1]
	v_lshrrev_b64 v[14:15], s48, v[14:15]
	v_lshrrev_b64 v[32:33], s48, v[32:33]
	v_and_b32_e32 v14, s16, v14
	v_cmp_lt_i64_e64 s[0:1], -1, v[12:13]
	v_ashrrev_i32_e32 v33, 31, v13
	v_lshlrev_b32_e32 v47, 3, v14
	v_and_b32_e32 v34, s16, v32
	v_cndmask_b32_e64 v32, v46, -1, s[0:1]
	v_not_b32_e32 v35, v33
	v_cmp_ne_u64_e64 s[0:1], s[2:3], v[0:1]
	ds_read_b64 v[16:17], v47
	ds_read_b64 v[30:31], v29
	ds_read_b64 v[14:15], v27 offset:43008
	v_xor_b32_e32 v33, v32, v13
	v_xor_b32_e32 v32, v35, v12
	v_cndmask_b32_e64 v13, v46, v1, s[0:1]
	v_cndmask_b32_e64 v12, 0, v0, s[0:1]
	v_lshrrev_b64 v[12:13], s48, v[12:13]
	v_and_b32_e32 v12, s16, v12
	v_cmp_ne_u64_e64 s[0:1], s[2:3], v[4:5]
	v_lshlrev_b32_e32 v49, 3, v12
	v_cndmask_b32_e64 v13, v46, v5, s[0:1]
	v_cndmask_b32_e64 v12, 0, v4, s[0:1]
	v_lshrrev_b64 v[12:13], s48, v[12:13]
	v_and_b32_e32 v12, s16, v12
	s_waitcnt lgkmcnt(0)
	v_cmp_ne_u64_e64 s[0:1], s[2:3], v[14:15]
	v_lshlrev_b32_e32 v50, 3, v12
	v_cndmask_b32_e64 v13, v46, v15, s[0:1]
	v_cndmask_b32_e64 v12, 0, v14, s[0:1]
	v_lshlrev_b32_e32 v48, 3, v34
	v_lshrrev_b64 v[12:13], s48, v[12:13]
	v_and_b32_e32 v34, s16, v12
	ds_read_b64 v[12:13], v48
	v_mov_b32_e32 v40, s39
	v_lshlrev_b32_e32 v51, 3, v34
	ds_read_b64 v[34:35], v49
	ds_read_b64 v[36:37], v50
	;; [unrolled: 1-line block ×3, first 2 shown]
	v_or_b32_e32 v52, 0x2000, v27
	s_waitcnt lgkmcnt(3)
	v_lshlrev_b64 v[12:13], 3, v[12:13]
	v_add_co_u32_e64 v41, s[0:1], s38, v12
	v_addc_co_u32_e64 v42, s[0:1], v40, v13, s[0:1]
	v_lshlrev_b64 v[12:13], 3, v[8:9]
	v_add_co_u32_e64 v40, s[0:1], v41, v12
	v_addc_co_u32_e64 v41, s[0:1], v42, v13, s[0:1]
	global_store_dwordx2 v[40:41], v[32:33], off
	v_cmp_lt_i64_e64 s[0:1], -1, v[0:1]
	v_ashrrev_i32_e32 v33, 31, v1
	v_cndmask_b32_e64 v32, v46, -1, s[0:1]
	v_not_b32_e32 v33, v33
	v_xor_b32_e32 v1, v32, v1
	v_xor_b32_e32 v0, v33, v0
	s_waitcnt lgkmcnt(2)
	v_lshlrev_b64 v[32:33], 3, v[34:35]
	v_mov_b32_e32 v34, s39
	v_add_co_u32_e64 v32, s[0:1], s38, v32
	v_addc_co_u32_e64 v33, s[0:1], v34, v33, s[0:1]
	v_add_co_u32_e64 v32, s[0:1], v32, v52
	v_addc_co_u32_e64 v33, s[0:1], 0, v33, s[0:1]
	s_add_u32 s0, s40, s12
	s_addc_u32 s1, s41, s13
	global_store_dwordx2 v[32:33], v[0:1], off
	v_mov_b32_e32 v0, s1
	v_add_co_u32_e64 v1, s[0:1], s0, v18
	v_addc_co_u32_e64 v18, s[0:1], 0, v0, s[0:1]
	v_add_co_u32_e64 v0, s[0:1], v1, v19
	v_addc_co_u32_e64 v1, s[0:1], 0, v18, s[0:1]
	global_load_dwordx2 v[18:19], v[0:1], off
	global_load_dwordx2 v[32:33], v[0:1], off offset:512
	global_load_dwordx2 v[34:35], v[0:1], off offset:1024
	;; [unrolled: 1-line block ×5, first 2 shown]
	v_cmp_lt_i64_e64 s[0:1], -1, v[2:3]
	v_ashrrev_i32_e32 v1, 31, v3
	v_cndmask_b32_e64 v0, v46, -1, s[0:1]
	v_not_b32_e32 v53, v1
	v_xor_b32_e32 v1, v0, v3
	v_xor_b32_e32 v0, v53, v2
	v_lshlrev_b64 v[2:3], 3, v[30:31]
	v_mov_b32_e32 v30, s39
	v_add_co_u32_e64 v2, s[0:1], s38, v2
	v_addc_co_u32_e64 v3, s[0:1], v30, v3, s[0:1]
	v_or_b32_e32 v30, 0x4000, v27
	v_add_co_u32_e64 v2, s[0:1], v2, v30
	v_addc_co_u32_e64 v3, s[0:1], 0, v3, s[0:1]
	global_store_dwordx2 v[2:3], v[0:1], off
	v_cmp_lt_i64_e64 s[0:1], -1, v[4:5]
	v_ashrrev_i32_e32 v1, 31, v5
	v_cndmask_b32_e64 v0, v46, -1, s[0:1]
	v_not_b32_e32 v2, v1
	v_xor_b32_e32 v1, v0, v5
	v_xor_b32_e32 v0, v2, v4
	s_waitcnt lgkmcnt(1)
	v_lshlrev_b64 v[2:3], 3, v[36:37]
	v_mov_b32_e32 v4, s39
	v_add_co_u32_e64 v2, s[0:1], s38, v2
	v_addc_co_u32_e64 v3, s[0:1], v4, v3, s[0:1]
	v_or_b32_e32 v31, 0x6000, v27
	v_add_co_u32_e64 v2, s[0:1], v2, v31
	v_addc_co_u32_e64 v3, s[0:1], 0, v3, s[0:1]
	global_store_dwordx2 v[2:3], v[0:1], off
	v_cmp_lt_i64_e64 s[0:1], -1, v[6:7]
	v_ashrrev_i32_e32 v1, 31, v7
	v_cndmask_b32_e64 v0, v46, -1, s[0:1]
	v_not_b32_e32 v2, v1
	v_xor_b32_e32 v1, v0, v7
	v_xor_b32_e32 v0, v2, v6
	v_lshlrev_b64 v[2:3], 3, v[16:17]
	v_add_co_u32_e64 v2, s[0:1], s38, v2
	v_addc_co_u32_e64 v3, s[0:1], v4, v3, s[0:1]
	v_or_b32_e32 v36, 0x8000, v27
	v_add_co_u32_e64 v2, s[0:1], v2, v36
	v_addc_co_u32_e64 v3, s[0:1], 0, v3, s[0:1]
	global_store_dwordx2 v[2:3], v[0:1], off
	v_cmp_lt_i64_e64 s[0:1], -1, v[14:15]
	v_ashrrev_i32_e32 v1, 31, v15
	v_cndmask_b32_e64 v0, v46, -1, s[0:1]
	v_not_b32_e32 v2, v1
	v_xor_b32_e32 v1, v0, v15
	v_xor_b32_e32 v0, v2, v14
	s_waitcnt lgkmcnt(0)
	v_lshlrev_b64 v[2:3], 3, v[38:39]
	v_add_co_u32_e64 v2, s[0:1], s38, v2
	v_addc_co_u32_e64 v3, s[0:1], v4, v3, s[0:1]
	v_or_b32_e32 v37, 0xa000, v27
	v_add_co_u32_e64 v2, s[0:1], v2, v37
	v_addc_co_u32_e64 v3, s[0:1], 0, v3, s[0:1]
	global_store_dwordx2 v[2:3], v[0:1], off
	s_barrier
	s_waitcnt vmcnt(9)
	ds_write_b64 v21, v[18:19] offset:2048
	s_waitcnt vmcnt(8)
	ds_write_b64 v22, v[32:33] offset:2048
	;; [unrolled: 2-line block ×6, first 2 shown]
	s_waitcnt lgkmcnt(0)
	s_barrier
	ds_read_b64 v[0:1], v48
	ds_read_b64 v[2:3], v28 offset:2048
	ds_read_b64 v[4:5], v49
	ds_read_b64 v[6:7], v27 offset:43008
	v_mov_b32_e32 v14, s43
	s_waitcnt lgkmcnt(3)
	v_lshlrev_b64 v[0:1], 3, v[0:1]
	v_add_co_u32_e64 v0, s[0:1], s42, v0
	v_addc_co_u32_e64 v1, s[0:1], v14, v1, s[0:1]
	v_add_co_u32_e64 v0, s[0:1], v0, v12
	v_addc_co_u32_e64 v1, s[0:1], v1, v13, s[0:1]
	s_waitcnt lgkmcnt(1)
	v_lshlrev_b64 v[4:5], 3, v[4:5]
	v_mov_b32_e32 v12, s43
	v_add_co_u32_e64 v4, s[0:1], s42, v4
	global_store_dwordx2 v[0:1], v[2:3], off
	ds_read2st64_b64 v[0:3], v27 offset0:20 offset1:36
	v_addc_co_u32_e64 v5, s[0:1], v12, v5, s[0:1]
	ds_read_b64 v[12:13], v29
	v_add_co_u32_e64 v4, s[0:1], v4, v52
	v_addc_co_u32_e64 v5, s[0:1], 0, v5, s[0:1]
	s_waitcnt lgkmcnt(1)
	global_store_dwordx2 v[4:5], v[0:1], off
	s_waitcnt lgkmcnt(0)
	v_lshlrev_b64 v[0:1], 3, v[12:13]
	v_mov_b32_e32 v12, s43
	v_add_co_u32_e64 v0, s[0:1], s42, v0
	ds_read_b64 v[4:5], v50
	ds_read_b64 v[14:15], v47
	;; [unrolled: 1-line block ×3, first 2 shown]
	v_addc_co_u32_e64 v1, s[0:1], v12, v1, s[0:1]
	v_add_co_u32_e64 v0, s[0:1], v0, v30
	v_addc_co_u32_e64 v1, s[0:1], 0, v1, s[0:1]
	global_store_dwordx2 v[0:1], v[2:3], off
	ds_read2st64_b64 v[0:3], v27 offset0:52 offset1:68
	s_waitcnt lgkmcnt(3)
	v_lshlrev_b64 v[4:5], 3, v[4:5]
	v_add_co_u32_e64 v4, s[0:1], s42, v4
	v_addc_co_u32_e64 v5, s[0:1], v12, v5, s[0:1]
	v_add_co_u32_e64 v4, s[0:1], v4, v31
	v_addc_co_u32_e64 v5, s[0:1], 0, v5, s[0:1]
	s_waitcnt lgkmcnt(0)
	global_store_dwordx2 v[4:5], v[0:1], off
	v_lshlrev_b64 v[0:1], 3, v[14:15]
	v_mov_b32_e32 v4, s43
	v_add_co_u32_e64 v0, s[0:1], s42, v0
	v_addc_co_u32_e64 v1, s[0:1], v4, v1, s[0:1]
	v_add_co_u32_e64 v0, s[0:1], v0, v36
	v_addc_co_u32_e64 v1, s[0:1], 0, v1, s[0:1]
	global_store_dwordx2 v[0:1], v[2:3], off
	v_lshlrev_b64 v[0:1], 3, v[16:17]
	v_mov_b32_e32 v2, s43
	v_add_co_u32_e64 v0, s[0:1], s42, v0
	v_addc_co_u32_e64 v1, s[0:1], v2, v1, s[0:1]
	v_add_co_u32_e64 v0, s[0:1], v0, v37
	s_add_i32 s7, s7, -1
	v_addc_co_u32_e64 v1, s[0:1], 0, v1, s[0:1]
	s_cmp_eq_u32 s6, s7
	s_cselect_b64 s[0:1], -1, 0
	s_and_b64 s[2:3], vcc, s[0:1]
	global_store_dwordx2 v[0:1], v[6:7], off
                                        ; implicit-def: $vgpr2_vgpr3
	s_and_saveexec_b64 s[0:1], s[2:3]
; %bb.122:
	v_add_co_u32_e32 v2, vcc, v10, v20
	v_addc_co_u32_e32 v3, vcc, 0, v11, vcc
	s_or_b64 s[10:11], s[10:11], exec
; %bb.123:
	s_or_b64 exec, exec, s[0:1]
.LBB156_124:
	s_and_saveexec_b64 s[0:1], s[10:11]
	s_cbranch_execnz .LBB156_126
; %bb.125:
	s_endpgm
.LBB156_126:
	v_lshlrev_b32_e32 v4, 3, v8
	ds_read_b64 v[4:5], v4
	v_lshlrev_b64 v[0:1], 3, v[8:9]
	v_mov_b32_e32 v6, s47
	v_add_co_u32_e32 v0, vcc, s46, v0
	v_addc_co_u32_e32 v1, vcc, v6, v1, vcc
	s_waitcnt lgkmcnt(0)
	v_add_co_u32_e32 v2, vcc, v4, v2
	v_addc_co_u32_e32 v3, vcc, v5, v3, vcc
	global_store_dwordx2 v[0:1], v[2:3], off
	s_endpgm
.LBB156_127:
	global_load_dwordx2 v[2:3], v[18:19], off
	s_or_b64 exec, exec, s[28:29]
                                        ; implicit-def: $vgpr6_vgpr7
	s_and_saveexec_b64 s[28:29], s[0:1]
	s_cbranch_execz .LBB156_59
.LBB156_128:
	global_load_dwordx2 v[6:7], v[18:19], off offset:512
	s_or_b64 exec, exec, s[28:29]
                                        ; implicit-def: $vgpr10_vgpr11
	s_and_saveexec_b64 s[0:1], s[2:3]
	s_cbranch_execz .LBB156_60
.LBB156_129:
	global_load_dwordx2 v[10:11], v[18:19], off offset:1024
	s_or_b64 exec, exec, s[0:1]
                                        ; implicit-def: $vgpr12_vgpr13
	s_and_saveexec_b64 s[0:1], s[26:27]
	s_cbranch_execz .LBB156_61
.LBB156_130:
	global_load_dwordx2 v[12:13], v[18:19], off offset:1536
	s_or_b64 exec, exec, s[0:1]
                                        ; implicit-def: $vgpr14_vgpr15
	s_and_saveexec_b64 s[0:1], s[8:9]
	s_cbranch_execz .LBB156_62
.LBB156_131:
	global_load_dwordx2 v[14:15], v[18:19], off offset:2048
	s_or_b64 exec, exec, s[0:1]
                                        ; implicit-def: $vgpr16_vgpr17
	s_and_saveexec_b64 s[0:1], s[10:11]
	s_cbranch_execnz .LBB156_63
	s_branch .LBB156_64
.LBB156_132:
	v_lshlrev_b32_e32 v2, 3, v20
	ds_read_b64 v[2:3], v2
	ds_read_b64 v[6:7], v28 offset:2048
	v_mov_b32_e32 v10, s43
	s_waitcnt lgkmcnt(1)
	v_lshlrev_b64 v[2:3], 3, v[2:3]
	v_add_co_u32_e32 v2, vcc, s42, v2
	v_addc_co_u32_e32 v3, vcc, v10, v3, vcc
	v_add_co_u32_e32 v2, vcc, v2, v28
	v_addc_co_u32_e32 v3, vcc, 0, v3, vcc
	s_waitcnt lgkmcnt(0)
	global_store_dwordx2 v[2:3], v[6:7], off
	s_or_b64 exec, exec, s[0:1]
	s_and_saveexec_b64 s[0:1], s[16:17]
	s_cbranch_execz .LBB156_78
.LBB156_133:
	v_lshlrev_b32_e32 v2, 3, v9
	ds_read_b64 v[2:3], v2
	ds_read_b64 v[6:7], v28 offset:10240
	v_mov_b32_e32 v9, s43
	s_waitcnt lgkmcnt(1)
	v_lshlrev_b64 v[2:3], 3, v[2:3]
	v_add_co_u32_e32 v2, vcc, s42, v2
	v_addc_co_u32_e32 v3, vcc, v9, v3, vcc
	v_add_co_u32_e32 v2, vcc, v2, v29
	v_addc_co_u32_e32 v3, vcc, 0, v3, vcc
	s_waitcnt lgkmcnt(0)
	global_store_dwordx2 v[2:3], v[6:7], off
	s_or_b64 exec, exec, s[0:1]
	s_and_saveexec_b64 s[0:1], s[18:19]
	s_cbranch_execz .LBB156_79
.LBB156_134:
	v_lshlrev_b32_e32 v2, 3, v34
	ds_read_b64 v[2:3], v2
	ds_read_b64 v[6:7], v28 offset:18432
	v_mov_b32_e32 v9, s43
	s_waitcnt lgkmcnt(1)
	v_lshlrev_b64 v[2:3], 3, v[2:3]
	v_add_co_u32_e32 v2, vcc, s42, v2
	v_addc_co_u32_e32 v3, vcc, v9, v3, vcc
	v_add_co_u32_e32 v2, vcc, v2, v30
	v_addc_co_u32_e32 v3, vcc, 0, v3, vcc
	s_waitcnt lgkmcnt(0)
	global_store_dwordx2 v[2:3], v[6:7], off
	s_or_b64 exec, exec, s[0:1]
	s_and_saveexec_b64 s[0:1], s[20:21]
	s_cbranch_execz .LBB156_80
.LBB156_135:
	v_lshlrev_b32_e32 v2, 3, v18
	ds_read_b64 v[2:3], v2
	ds_read_b64 v[6:7], v28 offset:26624
	v_mov_b32_e32 v9, s43
	s_waitcnt lgkmcnt(1)
	v_lshlrev_b64 v[2:3], 3, v[2:3]
	v_add_co_u32_e32 v2, vcc, s42, v2
	v_addc_co_u32_e32 v3, vcc, v9, v3, vcc
	v_add_co_u32_e32 v2, vcc, v2, v31
	v_addc_co_u32_e32 v3, vcc, 0, v3, vcc
	s_waitcnt lgkmcnt(0)
	global_store_dwordx2 v[2:3], v[6:7], off
	s_or_b64 exec, exec, s[0:1]
	s_and_saveexec_b64 s[0:1], s[22:23]
	s_cbranch_execz .LBB156_81
.LBB156_136:
	v_lshlrev_b32_e32 v2, 3, v35
	ds_read_b64 v[2:3], v2
	ds_read_b64 v[6:7], v28 offset:34816
	v_mov_b32_e32 v9, s43
	s_waitcnt lgkmcnt(1)
	v_lshlrev_b64 v[2:3], 3, v[2:3]
	v_add_co_u32_e32 v2, vcc, s42, v2
	v_addc_co_u32_e32 v3, vcc, v9, v3, vcc
	v_add_co_u32_e32 v2, vcc, v2, v32
	v_addc_co_u32_e32 v3, vcc, 0, v3, vcc
	s_waitcnt lgkmcnt(0)
	global_store_dwordx2 v[2:3], v[6:7], off
	s_or_b64 exec, exec, s[0:1]
	s_and_saveexec_b64 s[0:1], s[24:25]
	s_cbranch_execnz .LBB156_82
	s_branch .LBB156_83
	.section	.rodata,"a",@progbits
	.p2align	6, 0x0
	.amdhsa_kernel _ZN7rocprim17ROCPRIM_304000_NS6detail25onesweep_iteration_kernelINS1_34wrapped_radix_sort_onesweep_configINS0_14default_configEdN2at4cuda3cub6detail10OpaqueTypeILi8EEEEELb0EPKdPdPKSA_PSA_mNS0_19identity_decomposerEEEvT1_T2_T3_T4_jPT5_SO_PNS1_23onesweep_lookback_stateET6_jjj
		.amdhsa_group_segment_fixed_size 51200
		.amdhsa_private_segment_fixed_size 0
		.amdhsa_kernarg_size 336
		.amdhsa_user_sgpr_count 6
		.amdhsa_user_sgpr_private_segment_buffer 1
		.amdhsa_user_sgpr_dispatch_ptr 0
		.amdhsa_user_sgpr_queue_ptr 0
		.amdhsa_user_sgpr_kernarg_segment_ptr 1
		.amdhsa_user_sgpr_dispatch_id 0
		.amdhsa_user_sgpr_flat_scratch_init 0
		.amdhsa_user_sgpr_kernarg_preload_length 0
		.amdhsa_user_sgpr_kernarg_preload_offset 0
		.amdhsa_user_sgpr_private_segment_size 0
		.amdhsa_uses_dynamic_stack 0
		.amdhsa_system_sgpr_private_segment_wavefront_offset 0
		.amdhsa_system_sgpr_workgroup_id_x 1
		.amdhsa_system_sgpr_workgroup_id_y 0
		.amdhsa_system_sgpr_workgroup_id_z 0
		.amdhsa_system_sgpr_workgroup_info 0
		.amdhsa_system_vgpr_workitem_id 2
		.amdhsa_next_free_vgpr 54
		.amdhsa_next_free_sgpr 54
		.amdhsa_accum_offset 56
		.amdhsa_reserve_vcc 1
		.amdhsa_reserve_flat_scratch 0
		.amdhsa_float_round_mode_32 0
		.amdhsa_float_round_mode_16_64 0
		.amdhsa_float_denorm_mode_32 3
		.amdhsa_float_denorm_mode_16_64 3
		.amdhsa_dx10_clamp 1
		.amdhsa_ieee_mode 1
		.amdhsa_fp16_overflow 0
		.amdhsa_tg_split 0
		.amdhsa_exception_fp_ieee_invalid_op 0
		.amdhsa_exception_fp_denorm_src 0
		.amdhsa_exception_fp_ieee_div_zero 0
		.amdhsa_exception_fp_ieee_overflow 0
		.amdhsa_exception_fp_ieee_underflow 0
		.amdhsa_exception_fp_ieee_inexact 0
		.amdhsa_exception_int_div_zero 0
	.end_amdhsa_kernel
	.section	.text._ZN7rocprim17ROCPRIM_304000_NS6detail25onesweep_iteration_kernelINS1_34wrapped_radix_sort_onesweep_configINS0_14default_configEdN2at4cuda3cub6detail10OpaqueTypeILi8EEEEELb0EPKdPdPKSA_PSA_mNS0_19identity_decomposerEEEvT1_T2_T3_T4_jPT5_SO_PNS1_23onesweep_lookback_stateET6_jjj,"axG",@progbits,_ZN7rocprim17ROCPRIM_304000_NS6detail25onesweep_iteration_kernelINS1_34wrapped_radix_sort_onesweep_configINS0_14default_configEdN2at4cuda3cub6detail10OpaqueTypeILi8EEEEELb0EPKdPdPKSA_PSA_mNS0_19identity_decomposerEEEvT1_T2_T3_T4_jPT5_SO_PNS1_23onesweep_lookback_stateET6_jjj,comdat
.Lfunc_end156:
	.size	_ZN7rocprim17ROCPRIM_304000_NS6detail25onesweep_iteration_kernelINS1_34wrapped_radix_sort_onesweep_configINS0_14default_configEdN2at4cuda3cub6detail10OpaqueTypeILi8EEEEELb0EPKdPdPKSA_PSA_mNS0_19identity_decomposerEEEvT1_T2_T3_T4_jPT5_SO_PNS1_23onesweep_lookback_stateET6_jjj, .Lfunc_end156-_ZN7rocprim17ROCPRIM_304000_NS6detail25onesweep_iteration_kernelINS1_34wrapped_radix_sort_onesweep_configINS0_14default_configEdN2at4cuda3cub6detail10OpaqueTypeILi8EEEEELb0EPKdPdPKSA_PSA_mNS0_19identity_decomposerEEEvT1_T2_T3_T4_jPT5_SO_PNS1_23onesweep_lookback_stateET6_jjj
                                        ; -- End function
	.section	.AMDGPU.csdata,"",@progbits
; Kernel info:
; codeLenInByte = 12684
; NumSgprs: 58
; NumVgprs: 54
; NumAgprs: 0
; TotalNumVgprs: 54
; ScratchSize: 0
; MemoryBound: 0
; FloatMode: 240
; IeeeMode: 1
; LDSByteSize: 51200 bytes/workgroup (compile time only)
; SGPRBlocks: 7
; VGPRBlocks: 6
; NumSGPRsForWavesPerEU: 58
; NumVGPRsForWavesPerEU: 54
; AccumOffset: 56
; Occupancy: 4
; WaveLimiterHint : 1
; COMPUTE_PGM_RSRC2:SCRATCH_EN: 0
; COMPUTE_PGM_RSRC2:USER_SGPR: 6
; COMPUTE_PGM_RSRC2:TRAP_HANDLER: 0
; COMPUTE_PGM_RSRC2:TGID_X_EN: 1
; COMPUTE_PGM_RSRC2:TGID_Y_EN: 0
; COMPUTE_PGM_RSRC2:TGID_Z_EN: 0
; COMPUTE_PGM_RSRC2:TIDIG_COMP_CNT: 2
; COMPUTE_PGM_RSRC3_GFX90A:ACCUM_OFFSET: 13
; COMPUTE_PGM_RSRC3_GFX90A:TG_SPLIT: 0
	.section	.text._ZN7rocprim17ROCPRIM_304000_NS6detail25onesweep_iteration_kernelINS1_34wrapped_radix_sort_onesweep_configINS0_14default_configEdN2at4cuda3cub6detail10OpaqueTypeILi8EEEEELb0EPdSC_PSA_SD_mNS0_19identity_decomposerEEEvT1_T2_T3_T4_jPT5_SK_PNS1_23onesweep_lookback_stateET6_jjj,"axG",@progbits,_ZN7rocprim17ROCPRIM_304000_NS6detail25onesweep_iteration_kernelINS1_34wrapped_radix_sort_onesweep_configINS0_14default_configEdN2at4cuda3cub6detail10OpaqueTypeILi8EEEEELb0EPdSC_PSA_SD_mNS0_19identity_decomposerEEEvT1_T2_T3_T4_jPT5_SK_PNS1_23onesweep_lookback_stateET6_jjj,comdat
	.protected	_ZN7rocprim17ROCPRIM_304000_NS6detail25onesweep_iteration_kernelINS1_34wrapped_radix_sort_onesweep_configINS0_14default_configEdN2at4cuda3cub6detail10OpaqueTypeILi8EEEEELb0EPdSC_PSA_SD_mNS0_19identity_decomposerEEEvT1_T2_T3_T4_jPT5_SK_PNS1_23onesweep_lookback_stateET6_jjj ; -- Begin function _ZN7rocprim17ROCPRIM_304000_NS6detail25onesweep_iteration_kernelINS1_34wrapped_radix_sort_onesweep_configINS0_14default_configEdN2at4cuda3cub6detail10OpaqueTypeILi8EEEEELb0EPdSC_PSA_SD_mNS0_19identity_decomposerEEEvT1_T2_T3_T4_jPT5_SK_PNS1_23onesweep_lookback_stateET6_jjj
	.globl	_ZN7rocprim17ROCPRIM_304000_NS6detail25onesweep_iteration_kernelINS1_34wrapped_radix_sort_onesweep_configINS0_14default_configEdN2at4cuda3cub6detail10OpaqueTypeILi8EEEEELb0EPdSC_PSA_SD_mNS0_19identity_decomposerEEEvT1_T2_T3_T4_jPT5_SK_PNS1_23onesweep_lookback_stateET6_jjj
	.p2align	8
	.type	_ZN7rocprim17ROCPRIM_304000_NS6detail25onesweep_iteration_kernelINS1_34wrapped_radix_sort_onesweep_configINS0_14default_configEdN2at4cuda3cub6detail10OpaqueTypeILi8EEEEELb0EPdSC_PSA_SD_mNS0_19identity_decomposerEEEvT1_T2_T3_T4_jPT5_SK_PNS1_23onesweep_lookback_stateET6_jjj,@function
_ZN7rocprim17ROCPRIM_304000_NS6detail25onesweep_iteration_kernelINS1_34wrapped_radix_sort_onesweep_configINS0_14default_configEdN2at4cuda3cub6detail10OpaqueTypeILi8EEEEELb0EPdSC_PSA_SD_mNS0_19identity_decomposerEEEvT1_T2_T3_T4_jPT5_SK_PNS1_23onesweep_lookback_stateET6_jjj: ; @_ZN7rocprim17ROCPRIM_304000_NS6detail25onesweep_iteration_kernelINS1_34wrapped_radix_sort_onesweep_configINS0_14default_configEdN2at4cuda3cub6detail10OpaqueTypeILi8EEEEELb0EPdSC_PSA_SD_mNS0_19identity_decomposerEEEvT1_T2_T3_T4_jPT5_SK_PNS1_23onesweep_lookback_stateET6_jjj
; %bb.0:
	s_load_dwordx4 s[48:51], s[4:5], 0x44
	s_load_dwordx8 s[36:43], s[4:5], 0x0
	s_load_dwordx4 s[44:47], s[4:5], 0x28
	s_load_dwordx2 s[30:31], s[4:5], 0x38
	s_mul_i32 s34, s6, 0x1800
	s_waitcnt lgkmcnt(0)
	s_cmp_ge_u32 s6, s50
	v_mbcnt_lo_u32_b32 v1, -1, 0
	s_cbranch_scc0 .LBB157_86
; %bb.1:
	s_load_dword s0, s[4:5], 0x20
	s_mul_i32 s1, s50, 0xffffe800
	s_mov_b32 s35, 0
	s_lshl_b64 s[50:51], s[34:35], 3
	v_and_b32_e32 v8, 0x3ff, v0
	s_waitcnt lgkmcnt(0)
	s_add_i32 s35, s1, s0
	s_add_u32 s0, s36, s50
	v_mbcnt_hi_u32_b32 v21, -1, v1
	s_addc_u32 s1, s37, s51
	v_and_b32_e32 v2, 0x3c0, v8
	v_lshlrev_b32_e32 v9, 3, v21
	v_mul_u32_u24_e32 v2, 6, v2
	v_mov_b32_e32 v3, s1
	v_add_co_u32_e32 v4, vcc, s0, v9
	v_addc_co_u32_e32 v3, vcc, 0, v3, vcc
	v_lshlrev_b32_e32 v20, 3, v2
	s_mov_b32 s2, -1
	v_add_co_u32_e32 v16, vcc, v4, v20
	s_brev_b32 s3, -2
	v_addc_co_u32_e32 v17, vcc, 0, v3, vcc
	v_or_b32_e32 v4, v21, v2
	v_cmp_gt_u32_e32 vcc, s35, v4
	v_pk_mov_b32 v[2:3], s[2:3], s[2:3] op_sel:[0,1]
	s_and_saveexec_b64 s[0:1], vcc
	s_cbranch_execz .LBB157_3
; %bb.2:
	global_load_dwordx2 v[2:3], v[16:17], off
.LBB157_3:
	s_or_b64 exec, exec, s[0:1]
	v_add_u32_e32 v5, 64, v4
	v_cmp_gt_u32_e64 s[0:1], s35, v5
	v_pk_mov_b32 v[6:7], s[2:3], s[2:3] op_sel:[0,1]
	s_and_saveexec_b64 s[2:3], s[0:1]
	s_cbranch_execz .LBB157_5
; %bb.4:
	global_load_dwordx2 v[6:7], v[16:17], off offset:512
.LBB157_5:
	s_or_b64 exec, exec, s[2:3]
	s_mov_b32 s8, -1
	v_add_u32_e32 v5, 0x80, v4
	s_brev_b32 s9, -2
	v_cmp_gt_u32_e64 s[2:3], s35, v5
	v_pk_mov_b32 v[10:11], s[8:9], s[8:9] op_sel:[0,1]
	s_and_saveexec_b64 s[10:11], s[2:3]
	s_cbranch_execz .LBB157_7
; %bb.6:
	global_load_dwordx2 v[10:11], v[16:17], off offset:1024
.LBB157_7:
	s_or_b64 exec, exec, s[10:11]
	v_add_u32_e32 v5, 0xc0, v4
	v_cmp_gt_u32_e64 s[26:27], s35, v5
	v_pk_mov_b32 v[14:15], s[8:9], s[8:9] op_sel:[0,1]
	s_and_saveexec_b64 s[8:9], s[26:27]
	s_cbranch_execz .LBB157_9
; %bb.8:
	global_load_dwordx2 v[14:15], v[16:17], off offset:1536
.LBB157_9:
	s_or_b64 exec, exec, s[8:9]
	s_mov_b32 s12, -1
	v_add_u32_e32 v5, 0x100, v4
	s_brev_b32 s13, -2
	v_cmp_gt_u32_e64 s[8:9], s35, v5
	v_pk_mov_b32 v[12:13], s[12:13], s[12:13] op_sel:[0,1]
	s_and_saveexec_b64 s[10:11], s[8:9]
	s_cbranch_execz .LBB157_11
; %bb.10:
	global_load_dwordx2 v[12:13], v[16:17], off offset:2048
.LBB157_11:
	s_or_b64 exec, exec, s[10:11]
	v_add_u32_e32 v4, 0x140, v4
	v_cmp_gt_u32_e64 s[10:11], s35, v4
	v_pk_mov_b32 v[4:5], s[12:13], s[12:13] op_sel:[0,1]
	s_and_saveexec_b64 s[12:13], s[10:11]
	s_cbranch_execz .LBB157_13
; %bb.12:
	global_load_dwordx2 v[4:5], v[16:17], off offset:2560
.LBB157_13:
	s_or_b64 exec, exec, s[12:13]
	s_load_dword s12, s[4:5], 0x5c
	s_load_dword s7, s[4:5], 0x50
	s_add_u32 s13, s4, 0x50
	s_addc_u32 s14, s5, 0
	v_mov_b32_e32 v16, 0
	s_waitcnt lgkmcnt(0)
	s_lshr_b32 s15, s12, 16
	s_cmp_lt_u32 s6, s7
	s_cselect_b32 s12, 12, 18
	s_add_u32 s12, s13, s12
	s_addc_u32 s13, s14, 0
	global_load_ushort v23, v16, s[12:13]
	v_bfrev_b32_e32 v25, 1
	s_waitcnt vmcnt(1)
	v_cmp_lt_i64_e64 s[12:13], -1, v[2:3]
	s_mov_b32 s16, -1
	v_ashrrev_i32_e32 v17, 31, v3
	v_cndmask_b32_e64 v19, -1, v25, s[12:13]
	s_brev_b32 s17, -2
	v_xor_b32_e32 v2, v17, v2
	v_xor_b32_e32 v3, v19, v3
	v_mul_u32_u24_e32 v18, 5, v8
	v_cmp_ne_u64_e64 s[12:13], s[16:17], v[2:3]
	v_lshlrev_b32_e32 v22, 2, v18
	v_cndmask_b32_e64 v19, v25, v3, s[12:13]
	v_cndmask_b32_e64 v18, 0, v2, s[12:13]
	s_lshl_b32 s12, -1, s49
	v_bfe_u32 v24, v0, 10, 10
	v_bfe_u32 v26, v0, 20, 10
	v_lshrrev_b64 v[18:19], s48, v[18:19]
	s_not_b32 s33, s12
	v_mad_u32_u24 v19, v26, s15, v24
	v_and_b32_e32 v26, s33, v18
	v_and_b32_e32 v18, 1, v26
	v_add_co_u32_e64 v27, s[12:13], -1, v18
	v_lshlrev_b32_e32 v17, 30, v26
	v_addc_co_u32_e64 v28, s[12:13], 0, -1, s[12:13]
	v_cmp_ne_u32_e64 s[12:13], 0, v18
	v_cmp_gt_i64_e64 s[14:15], 0, v[16:17]
	v_not_b32_e32 v18, v17
	v_lshlrev_b32_e32 v17, 29, v26
	v_xor_b32_e32 v28, s13, v28
	v_xor_b32_e32 v27, s12, v27
	v_ashrrev_i32_e32 v18, 31, v18
	v_cmp_gt_i64_e64 s[12:13], 0, v[16:17]
	v_not_b32_e32 v29, v17
	v_lshlrev_b32_e32 v17, 28, v26
	v_and_b32_e32 v28, exec_hi, v28
	v_and_b32_e32 v27, exec_lo, v27
	v_xor_b32_e32 v30, s15, v18
	v_xor_b32_e32 v18, s14, v18
	v_ashrrev_i32_e32 v29, 31, v29
	v_cmp_gt_i64_e64 s[14:15], 0, v[16:17]
	v_not_b32_e32 v31, v17
	v_lshlrev_b32_e32 v17, 27, v26
	v_and_b32_e32 v28, v28, v30
	v_and_b32_e32 v18, v27, v18
	v_xor_b32_e32 v27, s13, v29
	v_xor_b32_e32 v29, s12, v29
	v_ashrrev_i32_e32 v30, 31, v31
	v_cmp_gt_i64_e64 s[12:13], 0, v[16:17]
	v_not_b32_e32 v31, v17
	v_lshlrev_b32_e32 v17, 26, v26
	v_and_b32_e32 v27, v28, v27
	v_and_b32_e32 v18, v18, v29
	v_xor_b32_e32 v28, s15, v30
	v_xor_b32_e32 v29, s14, v30
	v_ashrrev_i32_e32 v30, 31, v31
	v_not_b32_e32 v31, v17
	v_cmp_gt_i64_e64 s[14:15], 0, v[16:17]
	v_and_b32_e32 v27, v27, v28
	v_and_b32_e32 v18, v18, v29
	v_xor_b32_e32 v28, s13, v30
	v_xor_b32_e32 v29, s12, v30
	v_ashrrev_i32_e32 v30, 31, v31
	v_and_b32_e32 v27, v27, v28
	v_and_b32_e32 v18, v18, v29
	v_xor_b32_e32 v28, s15, v30
	v_xor_b32_e32 v29, s14, v30
	v_lshlrev_b32_e32 v17, 25, v26
	v_and_b32_e32 v27, v27, v28
	v_and_b32_e32 v28, v18, v29
	v_lshl_add_u32 v24, v26, 4, v26
	ds_write2_b32 v22, v16, v16 offset0:16 offset1:17
	ds_write2_b32 v22, v16, v16 offset0:18 offset1:19
	ds_write_b32 v22, v16 offset:80
	s_waitcnt lgkmcnt(0)
	s_barrier
	s_waitcnt lgkmcnt(0)
	; wave barrier
	s_waitcnt vmcnt(0)
	v_mad_u64_u32 v[18:19], s[12:13], v19, v23, v[8:9]
	v_cmp_gt_i64_e64 s[12:13], 0, v[16:17]
	v_not_b32_e32 v17, v17
	v_ashrrev_i32_e32 v17, 31, v17
	v_lshrrev_b32_e32 v30, 6, v18
	v_xor_b32_e32 v18, s13, v17
	v_xor_b32_e32 v17, s12, v17
	v_and_b32_e32 v23, v28, v17
	v_lshlrev_b32_e32 v17, 24, v26
	v_cmp_gt_i64_e64 s[12:13], 0, v[16:17]
	v_not_b32_e32 v17, v17
	v_ashrrev_i32_e32 v17, 31, v17
	v_and_b32_e32 v18, v27, v18
	v_xor_b32_e32 v19, s13, v17
	v_xor_b32_e32 v17, s12, v17
	v_and_b32_e32 v19, v18, v19
	v_and_b32_e32 v18, v23, v17
	v_mbcnt_lo_u32_b32 v17, v18, 0
	v_mbcnt_hi_u32_b32 v23, v19, v17
	v_cmp_eq_u32_e64 s[12:13], 0, v23
	v_cmp_ne_u64_e64 s[14:15], 0, v[18:19]
	v_add_lshl_u32 v24, v30, v24, 2
	s_and_b64 s[14:15], s[14:15], s[12:13]
	s_and_saveexec_b64 s[12:13], s[14:15]
	s_cbranch_execz .LBB157_15
; %bb.14:
	v_bcnt_u32_b32 v17, v18, 0
	v_bcnt_u32_b32 v17, v19, v17
	ds_write_b32 v24, v17 offset:64
.LBB157_15:
	s_or_b64 exec, exec, s[12:13]
	v_cmp_lt_i64_e64 s[12:13], -1, v[6:7]
	v_cndmask_b32_e64 v17, -1, v25, s[12:13]
	v_ashrrev_i32_e32 v18, 31, v7
	v_xor_b32_e32 v7, v17, v7
	v_xor_b32_e32 v6, v18, v6
	v_cmp_ne_u64_e64 s[12:13], s[16:17], v[6:7]
	v_cndmask_b32_e64 v19, v25, v7, s[12:13]
	v_cndmask_b32_e64 v18, 0, v6, s[12:13]
	v_lshrrev_b64 v[18:19], s48, v[18:19]
	v_and_b32_e32 v18, s33, v18
	v_lshl_add_u32 v17, v18, 4, v18
	v_add_lshl_u32 v26, v30, v17, 2
	v_and_b32_e32 v17, 1, v18
	v_add_co_u32_e64 v19, s[12:13], -1, v17
	v_addc_co_u32_e64 v27, s[12:13], 0, -1, s[12:13]
	v_cmp_ne_u32_e64 s[12:13], 0, v17
	v_xor_b32_e32 v17, s13, v27
	v_and_b32_e32 v27, exec_hi, v17
	v_lshlrev_b32_e32 v17, 30, v18
	v_xor_b32_e32 v19, s12, v19
	v_cmp_gt_i64_e64 s[12:13], 0, v[16:17]
	v_not_b32_e32 v17, v17
	v_ashrrev_i32_e32 v17, 31, v17
	v_and_b32_e32 v19, exec_lo, v19
	v_xor_b32_e32 v28, s13, v17
	v_xor_b32_e32 v17, s12, v17
	v_and_b32_e32 v19, v19, v17
	v_lshlrev_b32_e32 v17, 29, v18
	v_cmp_gt_i64_e64 s[12:13], 0, v[16:17]
	v_not_b32_e32 v17, v17
	v_ashrrev_i32_e32 v17, 31, v17
	v_and_b32_e32 v27, v27, v28
	v_xor_b32_e32 v28, s13, v17
	v_xor_b32_e32 v17, s12, v17
	v_and_b32_e32 v19, v19, v17
	v_lshlrev_b32_e32 v17, 28, v18
	v_cmp_gt_i64_e64 s[12:13], 0, v[16:17]
	v_not_b32_e32 v17, v17
	v_ashrrev_i32_e32 v17, 31, v17
	v_and_b32_e32 v27, v27, v28
	;; [unrolled: 8-line block ×5, first 2 shown]
	v_xor_b32_e32 v28, s13, v17
	v_xor_b32_e32 v17, s12, v17
	v_and_b32_e32 v19, v19, v17
	v_lshlrev_b32_e32 v17, 24, v18
	v_cmp_gt_i64_e64 s[12:13], 0, v[16:17]
	v_not_b32_e32 v16, v17
	v_ashrrev_i32_e32 v16, 31, v16
	v_xor_b32_e32 v17, s13, v16
	v_xor_b32_e32 v16, s12, v16
	; wave barrier
	ds_read_b32 v25, v26 offset:64
	v_and_b32_e32 v27, v27, v28
	v_and_b32_e32 v16, v19, v16
	;; [unrolled: 1-line block ×3, first 2 shown]
	v_mbcnt_lo_u32_b32 v18, v16, 0
	v_mbcnt_hi_u32_b32 v27, v17, v18
	v_cmp_eq_u32_e64 s[12:13], 0, v27
	v_cmp_ne_u64_e64 s[14:15], 0, v[16:17]
	s_and_b64 s[14:15], s[14:15], s[12:13]
	; wave barrier
	s_and_saveexec_b64 s[12:13], s[14:15]
	s_cbranch_execz .LBB157_17
; %bb.16:
	v_bcnt_u32_b32 v16, v16, 0
	v_bcnt_u32_b32 v16, v17, v16
	s_waitcnt lgkmcnt(0)
	v_add_u32_e32 v16, v25, v16
	ds_write_b32 v26, v16 offset:64
.LBB157_17:
	s_or_b64 exec, exec, s[12:13]
	v_bfrev_b32_e32 v32, 1
	v_cmp_lt_i64_e64 s[12:13], -1, v[10:11]
	v_cndmask_b32_e64 v16, -1, v32, s[12:13]
	v_ashrrev_i32_e32 v17, 31, v11
	v_xor_b32_e32 v11, v16, v11
	v_xor_b32_e32 v10, v17, v10
	v_cmp_ne_u64_e64 s[12:13], s[16:17], v[10:11]
	v_cndmask_b32_e64 v19, v32, v11, s[12:13]
	v_cndmask_b32_e64 v18, 0, v10, s[12:13]
	v_lshrrev_b64 v[18:19], s48, v[18:19]
	v_and_b32_e32 v18, s33, v18
	v_lshl_add_u32 v17, v18, 4, v18
	v_add_lshl_u32 v29, v30, v17, 2
	v_and_b32_e32 v17, 1, v18
	v_add_co_u32_e64 v19, s[12:13], -1, v17
	v_addc_co_u32_e64 v31, s[12:13], 0, -1, s[12:13]
	v_cmp_ne_u32_e64 s[12:13], 0, v17
	v_xor_b32_e32 v17, s13, v31
	v_mov_b32_e32 v16, 0
	v_and_b32_e32 v31, exec_hi, v17
	v_lshlrev_b32_e32 v17, 30, v18
	v_xor_b32_e32 v19, s12, v19
	v_cmp_gt_i64_e64 s[12:13], 0, v[16:17]
	v_not_b32_e32 v17, v17
	v_ashrrev_i32_e32 v17, 31, v17
	v_and_b32_e32 v19, exec_lo, v19
	v_xor_b32_e32 v33, s13, v17
	v_xor_b32_e32 v17, s12, v17
	v_and_b32_e32 v19, v19, v17
	v_lshlrev_b32_e32 v17, 29, v18
	v_cmp_gt_i64_e64 s[12:13], 0, v[16:17]
	v_not_b32_e32 v17, v17
	v_ashrrev_i32_e32 v17, 31, v17
	v_and_b32_e32 v31, v31, v33
	v_xor_b32_e32 v33, s13, v17
	v_xor_b32_e32 v17, s12, v17
	v_and_b32_e32 v19, v19, v17
	v_lshlrev_b32_e32 v17, 28, v18
	v_cmp_gt_i64_e64 s[12:13], 0, v[16:17]
	v_not_b32_e32 v17, v17
	v_ashrrev_i32_e32 v17, 31, v17
	v_and_b32_e32 v31, v31, v33
	;; [unrolled: 8-line block ×5, first 2 shown]
	v_xor_b32_e32 v33, s13, v17
	v_xor_b32_e32 v17, s12, v17
	v_and_b32_e32 v31, v31, v33
	v_and_b32_e32 v33, v19, v17
	v_lshlrev_b32_e32 v17, 24, v18
	v_cmp_gt_i64_e64 s[12:13], 0, v[16:17]
	v_not_b32_e32 v17, v17
	v_ashrrev_i32_e32 v17, 31, v17
	v_xor_b32_e32 v18, s13, v17
	v_xor_b32_e32 v17, s12, v17
	; wave barrier
	ds_read_b32 v28, v29 offset:64
	v_and_b32_e32 v19, v31, v18
	v_and_b32_e32 v18, v33, v17
	v_mbcnt_lo_u32_b32 v17, v18, 0
	v_mbcnt_hi_u32_b32 v31, v19, v17
	v_cmp_eq_u32_e64 s[12:13], 0, v31
	v_cmp_ne_u64_e64 s[14:15], 0, v[18:19]
	s_and_b64 s[14:15], s[14:15], s[12:13]
	; wave barrier
	s_and_saveexec_b64 s[12:13], s[14:15]
	s_cbranch_execz .LBB157_19
; %bb.18:
	v_bcnt_u32_b32 v17, v18, 0
	v_bcnt_u32_b32 v17, v19, v17
	s_waitcnt lgkmcnt(0)
	v_add_u32_e32 v17, v28, v17
	ds_write_b32 v29, v17 offset:64
.LBB157_19:
	s_or_b64 exec, exec, s[12:13]
	v_cmp_lt_i64_e64 s[12:13], -1, v[14:15]
	v_cndmask_b32_e64 v17, -1, v32, s[12:13]
	v_ashrrev_i32_e32 v18, 31, v15
	v_xor_b32_e32 v15, v17, v15
	v_xor_b32_e32 v14, v18, v14
	v_cmp_ne_u64_e64 s[12:13], s[16:17], v[14:15]
	v_cndmask_b32_e64 v19, v32, v15, s[12:13]
	v_cndmask_b32_e64 v18, 0, v14, s[12:13]
	v_lshrrev_b64 v[18:19], s48, v[18:19]
	v_and_b32_e32 v18, s33, v18
	v_lshl_add_u32 v17, v18, 4, v18
	v_add_lshl_u32 v33, v30, v17, 2
	v_and_b32_e32 v17, 1, v18
	v_add_co_u32_e64 v19, s[12:13], -1, v17
	v_addc_co_u32_e64 v34, s[12:13], 0, -1, s[12:13]
	v_cmp_ne_u32_e64 s[12:13], 0, v17
	v_xor_b32_e32 v17, s13, v34
	v_and_b32_e32 v34, exec_hi, v17
	v_lshlrev_b32_e32 v17, 30, v18
	v_xor_b32_e32 v19, s12, v19
	v_cmp_gt_i64_e64 s[12:13], 0, v[16:17]
	v_not_b32_e32 v17, v17
	v_ashrrev_i32_e32 v17, 31, v17
	v_and_b32_e32 v19, exec_lo, v19
	v_xor_b32_e32 v35, s13, v17
	v_xor_b32_e32 v17, s12, v17
	v_and_b32_e32 v19, v19, v17
	v_lshlrev_b32_e32 v17, 29, v18
	v_cmp_gt_i64_e64 s[12:13], 0, v[16:17]
	v_not_b32_e32 v17, v17
	v_ashrrev_i32_e32 v17, 31, v17
	v_and_b32_e32 v34, v34, v35
	v_xor_b32_e32 v35, s13, v17
	v_xor_b32_e32 v17, s12, v17
	v_and_b32_e32 v19, v19, v17
	v_lshlrev_b32_e32 v17, 28, v18
	v_cmp_gt_i64_e64 s[12:13], 0, v[16:17]
	v_not_b32_e32 v17, v17
	v_ashrrev_i32_e32 v17, 31, v17
	v_and_b32_e32 v34, v34, v35
	;; [unrolled: 8-line block ×5, first 2 shown]
	v_xor_b32_e32 v35, s13, v17
	v_xor_b32_e32 v17, s12, v17
	v_and_b32_e32 v19, v19, v17
	v_lshlrev_b32_e32 v17, 24, v18
	v_cmp_gt_i64_e64 s[12:13], 0, v[16:17]
	v_not_b32_e32 v16, v17
	v_ashrrev_i32_e32 v16, 31, v16
	v_xor_b32_e32 v17, s13, v16
	v_xor_b32_e32 v16, s12, v16
	; wave barrier
	ds_read_b32 v32, v33 offset:64
	v_and_b32_e32 v34, v34, v35
	v_and_b32_e32 v16, v19, v16
	;; [unrolled: 1-line block ×3, first 2 shown]
	v_mbcnt_lo_u32_b32 v18, v16, 0
	v_mbcnt_hi_u32_b32 v34, v17, v18
	v_cmp_eq_u32_e64 s[12:13], 0, v34
	v_cmp_ne_u64_e64 s[14:15], 0, v[16:17]
	s_and_b64 s[14:15], s[14:15], s[12:13]
	; wave barrier
	s_and_saveexec_b64 s[12:13], s[14:15]
	s_cbranch_execz .LBB157_21
; %bb.20:
	v_bcnt_u32_b32 v16, v16, 0
	v_bcnt_u32_b32 v16, v17, v16
	s_waitcnt lgkmcnt(0)
	v_add_u32_e32 v16, v32, v16
	ds_write_b32 v33, v16 offset:64
.LBB157_21:
	s_or_b64 exec, exec, s[12:13]
	v_bfrev_b32_e32 v39, 1
	v_cmp_lt_i64_e64 s[12:13], -1, v[12:13]
	v_cndmask_b32_e64 v16, -1, v39, s[12:13]
	v_ashrrev_i32_e32 v17, 31, v13
	v_xor_b32_e32 v13, v16, v13
	v_xor_b32_e32 v12, v17, v12
	v_cmp_ne_u64_e64 s[12:13], s[16:17], v[12:13]
	v_cndmask_b32_e64 v17, v39, v13, s[12:13]
	v_cndmask_b32_e64 v16, 0, v12, s[12:13]
	v_lshrrev_b64 v[16:17], s48, v[16:17]
	v_and_b32_e32 v16, s33, v16
	v_lshl_add_u32 v17, v16, 4, v16
	v_add_lshl_u32 v36, v30, v17, 2
	v_and_b32_e32 v17, 1, v16
	v_add_co_u32_e64 v19, s[12:13], -1, v17
	v_addc_co_u32_e64 v37, s[12:13], 0, -1, s[12:13]
	v_cmp_ne_u32_e64 s[12:13], 0, v17
	v_xor_b32_e32 v19, s12, v19
	v_mov_b32_e32 v18, 0
	v_xor_b32_e32 v17, s13, v37
	v_and_b32_e32 v37, exec_lo, v19
	v_lshlrev_b32_e32 v19, 30, v16
	v_cmp_gt_i64_e64 s[12:13], 0, v[18:19]
	v_not_b32_e32 v19, v19
	v_ashrrev_i32_e32 v19, 31, v19
	v_xor_b32_e32 v38, s13, v19
	v_xor_b32_e32 v19, s12, v19
	v_and_b32_e32 v37, v37, v19
	v_lshlrev_b32_e32 v19, 29, v16
	v_cmp_gt_i64_e64 s[12:13], 0, v[18:19]
	v_not_b32_e32 v19, v19
	v_and_b32_e32 v17, exec_hi, v17
	v_ashrrev_i32_e32 v19, 31, v19
	v_and_b32_e32 v17, v17, v38
	v_xor_b32_e32 v38, s13, v19
	v_xor_b32_e32 v19, s12, v19
	v_and_b32_e32 v37, v37, v19
	v_lshlrev_b32_e32 v19, 28, v16
	v_cmp_gt_i64_e64 s[12:13], 0, v[18:19]
	v_not_b32_e32 v19, v19
	v_ashrrev_i32_e32 v19, 31, v19
	v_and_b32_e32 v17, v17, v38
	v_xor_b32_e32 v38, s13, v19
	v_xor_b32_e32 v19, s12, v19
	v_and_b32_e32 v37, v37, v19
	v_lshlrev_b32_e32 v19, 27, v16
	v_cmp_gt_i64_e64 s[12:13], 0, v[18:19]
	v_not_b32_e32 v19, v19
	;; [unrolled: 8-line block ×4, first 2 shown]
	v_ashrrev_i32_e32 v19, 31, v19
	v_and_b32_e32 v17, v17, v38
	v_xor_b32_e32 v38, s13, v19
	v_xor_b32_e32 v19, s12, v19
	v_and_b32_e32 v37, v37, v19
	v_lshlrev_b32_e32 v19, 24, v16
	v_not_b32_e32 v16, v19
	v_cmp_gt_i64_e64 s[12:13], 0, v[18:19]
	v_ashrrev_i32_e32 v16, 31, v16
	v_xor_b32_e32 v19, s13, v16
	v_xor_b32_e32 v16, s12, v16
	; wave barrier
	ds_read_b32 v35, v36 offset:64
	v_and_b32_e32 v17, v17, v38
	v_and_b32_e32 v16, v37, v16
	;; [unrolled: 1-line block ×3, first 2 shown]
	v_mbcnt_lo_u32_b32 v19, v16, 0
	v_mbcnt_hi_u32_b32 v37, v17, v19
	v_cmp_eq_u32_e64 s[12:13], 0, v37
	v_cmp_ne_u64_e64 s[14:15], 0, v[16:17]
	s_and_b64 s[14:15], s[14:15], s[12:13]
	; wave barrier
	s_and_saveexec_b64 s[12:13], s[14:15]
	s_cbranch_execz .LBB157_23
; %bb.22:
	v_bcnt_u32_b32 v16, v16, 0
	v_bcnt_u32_b32 v16, v17, v16
	s_waitcnt lgkmcnt(0)
	v_add_u32_e32 v16, v35, v16
	ds_write_b32 v36, v16 offset:64
.LBB157_23:
	s_or_b64 exec, exec, s[12:13]
	v_cmp_lt_i64_e64 s[12:13], -1, v[4:5]
	v_cndmask_b32_e64 v16, -1, v39, s[12:13]
	v_ashrrev_i32_e32 v19, 31, v5
	v_xor_b32_e32 v17, v16, v5
	v_xor_b32_e32 v16, v19, v4
	v_cmp_ne_u64_e64 s[12:13], s[16:17], v[16:17]
	v_cndmask_b32_e64 v5, v39, v17, s[12:13]
	v_cndmask_b32_e64 v4, 0, v16, s[12:13]
	v_lshrrev_b64 v[4:5], s48, v[4:5]
	v_and_b32_e32 v4, s33, v4
	v_lshl_add_u32 v5, v4, 4, v4
	v_add_lshl_u32 v39, v5, v30, 2
	v_and_b32_e32 v5, 1, v4
	v_add_co_u32_e64 v19, s[12:13], -1, v5
	v_addc_co_u32_e64 v40, s[12:13], 0, -1, s[12:13]
	v_cmp_ne_u32_e64 s[12:13], 0, v5
	v_xor_b32_e32 v19, s12, v19
	v_xor_b32_e32 v5, s13, v40
	v_and_b32_e32 v40, exec_lo, v19
	v_lshlrev_b32_e32 v19, 30, v4
	v_cmp_gt_i64_e64 s[12:13], 0, v[18:19]
	v_not_b32_e32 v19, v19
	v_ashrrev_i32_e32 v19, 31, v19
	v_xor_b32_e32 v41, s13, v19
	v_xor_b32_e32 v19, s12, v19
	v_and_b32_e32 v40, v40, v19
	v_lshlrev_b32_e32 v19, 29, v4
	v_cmp_gt_i64_e64 s[12:13], 0, v[18:19]
	v_not_b32_e32 v19, v19
	v_and_b32_e32 v5, exec_hi, v5
	v_ashrrev_i32_e32 v19, 31, v19
	v_and_b32_e32 v5, v5, v41
	v_xor_b32_e32 v41, s13, v19
	v_xor_b32_e32 v19, s12, v19
	v_and_b32_e32 v40, v40, v19
	v_lshlrev_b32_e32 v19, 28, v4
	v_cmp_gt_i64_e64 s[12:13], 0, v[18:19]
	v_not_b32_e32 v19, v19
	v_ashrrev_i32_e32 v19, 31, v19
	v_and_b32_e32 v5, v5, v41
	v_xor_b32_e32 v41, s13, v19
	v_xor_b32_e32 v19, s12, v19
	v_and_b32_e32 v40, v40, v19
	v_lshlrev_b32_e32 v19, 27, v4
	v_cmp_gt_i64_e64 s[12:13], 0, v[18:19]
	v_not_b32_e32 v19, v19
	;; [unrolled: 8-line block ×4, first 2 shown]
	v_ashrrev_i32_e32 v19, 31, v19
	v_and_b32_e32 v5, v5, v41
	v_xor_b32_e32 v41, s13, v19
	v_xor_b32_e32 v19, s12, v19
	v_and_b32_e32 v40, v40, v19
	v_lshlrev_b32_e32 v19, 24, v4
	v_not_b32_e32 v4, v19
	v_cmp_gt_i64_e64 s[12:13], 0, v[18:19]
	v_ashrrev_i32_e32 v4, 31, v4
	v_xor_b32_e32 v18, s13, v4
	v_xor_b32_e32 v4, s12, v4
	; wave barrier
	ds_read_b32 v30, v39 offset:64
	v_and_b32_e32 v5, v5, v41
	v_and_b32_e32 v4, v40, v4
	;; [unrolled: 1-line block ×3, first 2 shown]
	v_mbcnt_lo_u32_b32 v18, v4, 0
	v_mbcnt_hi_u32_b32 v40, v5, v18
	v_cmp_eq_u32_e64 s[12:13], 0, v40
	v_cmp_ne_u64_e64 s[14:15], 0, v[4:5]
	v_add_u32_e32 v38, 64, v22
	s_and_b64 s[14:15], s[14:15], s[12:13]
	; wave barrier
	s_and_saveexec_b64 s[12:13], s[14:15]
	s_cbranch_execz .LBB157_25
; %bb.24:
	v_bcnt_u32_b32 v4, v4, 0
	v_bcnt_u32_b32 v4, v5, v4
	s_waitcnt lgkmcnt(0)
	v_add_u32_e32 v4, v30, v4
	ds_write_b32 v39, v4 offset:64
.LBB157_25:
	s_or_b64 exec, exec, s[12:13]
	; wave barrier
	s_waitcnt lgkmcnt(0)
	s_barrier
	ds_read2_b32 v[18:19], v22 offset0:16 offset1:17
	ds_read2_b32 v[4:5], v38 offset0:2 offset1:3
	ds_read_b32 v41, v38 offset:16
	v_cmp_lt_u32_e64 s[20:21], 31, v21
	s_waitcnt lgkmcnt(1)
	v_add3_u32 v42, v19, v18, v4
	s_waitcnt lgkmcnt(0)
	v_add3_u32 v41, v42, v5, v41
	v_and_b32_e32 v42, 15, v21
	v_cmp_eq_u32_e64 s[12:13], 0, v42
	v_mov_b32_dpp v43, v41 row_shr:1 row_mask:0xf bank_mask:0xf
	v_cndmask_b32_e64 v43, v43, 0, s[12:13]
	v_add_u32_e32 v41, v43, v41
	v_cmp_lt_u32_e64 s[14:15], 1, v42
	v_cmp_lt_u32_e64 s[16:17], 3, v42
	v_mov_b32_dpp v43, v41 row_shr:2 row_mask:0xf bank_mask:0xf
	v_cndmask_b32_e64 v43, 0, v43, s[14:15]
	v_add_u32_e32 v41, v41, v43
	v_cmp_lt_u32_e64 s[18:19], 7, v42
	s_nop 0
	v_mov_b32_dpp v43, v41 row_shr:4 row_mask:0xf bank_mask:0xf
	v_cndmask_b32_e64 v43, 0, v43, s[16:17]
	v_add_u32_e32 v41, v41, v43
	s_nop 1
	v_mov_b32_dpp v43, v41 row_shr:8 row_mask:0xf bank_mask:0xf
	v_cndmask_b32_e64 v42, 0, v43, s[18:19]
	v_add_u32_e32 v41, v41, v42
	v_bfe_i32 v43, v21, 4, 1
	s_nop 0
	v_mov_b32_dpp v42, v41 row_bcast:15 row_mask:0xf bank_mask:0xf
	v_and_b32_e32 v42, v43, v42
	v_add_u32_e32 v41, v41, v42
	v_and_b32_e32 v43, 63, v8
	s_nop 0
	v_mov_b32_dpp v42, v41 row_bcast:31 row_mask:0xf bank_mask:0xf
	v_cndmask_b32_e64 v42, 0, v42, s[20:21]
	v_add_u32_e32 v41, v41, v42
	v_lshrrev_b32_e32 v42, 6, v8
	v_cmp_eq_u32_e64 s[20:21], 63, v43
	s_and_saveexec_b64 s[22:23], s[20:21]
	s_cbranch_execz .LBB157_27
; %bb.26:
	v_lshlrev_b32_e32 v43, 2, v42
	ds_write_b32 v43, v41
.LBB157_27:
	s_or_b64 exec, exec, s[22:23]
	v_cmp_gt_u32_e64 s[20:21], 16, v8
	s_waitcnt lgkmcnt(0)
	s_barrier
	s_and_saveexec_b64 s[22:23], s[20:21]
	s_cbranch_execz .LBB157_29
; %bb.28:
	v_lshlrev_b32_e32 v43, 2, v8
	ds_read_b32 v44, v43
	s_waitcnt lgkmcnt(0)
	s_nop 0
	v_mov_b32_dpp v45, v44 row_shr:1 row_mask:0xf bank_mask:0xf
	v_cndmask_b32_e64 v45, v45, 0, s[12:13]
	v_add_u32_e32 v44, v45, v44
	s_nop 1
	v_mov_b32_dpp v45, v44 row_shr:2 row_mask:0xf bank_mask:0xf
	v_cndmask_b32_e64 v45, 0, v45, s[14:15]
	v_add_u32_e32 v44, v44, v45
	;; [unrolled: 4-line block ×4, first 2 shown]
	ds_write_b32 v43, v44
.LBB157_29:
	s_or_b64 exec, exec, s[22:23]
	v_cmp_lt_u32_e64 s[12:13], 63, v8
	v_mov_b32_e32 v43, 0
	s_waitcnt lgkmcnt(0)
	s_barrier
	s_and_saveexec_b64 s[14:15], s[12:13]
	s_cbranch_execz .LBB157_31
; %bb.30:
	v_lshl_add_u32 v42, v42, 2, -4
	ds_read_b32 v43, v42
.LBB157_31:
	s_or_b64 exec, exec, s[14:15]
	v_add_u32_e32 v42, -1, v21
	v_and_b32_e32 v44, 64, v21
	v_cmp_lt_i32_e64 s[12:13], v42, v44
	v_cndmask_b32_e64 v42, v42, v21, s[12:13]
	s_waitcnt lgkmcnt(0)
	v_add_u32_e32 v41, v43, v41
	v_lshlrev_b32_e32 v42, 2, v42
	ds_bpermute_b32 v41, v42, v41
	v_cmp_eq_u32_e64 s[12:13], 0, v21
	s_waitcnt lgkmcnt(0)
	v_cndmask_b32_e64 v21, v41, v43, s[12:13]
	v_cmp_ne_u32_e64 s[12:13], 0, v8
	v_cndmask_b32_e64 v21, 0, v21, s[12:13]
	v_add_u32_e32 v18, v21, v18
	v_add_u32_e32 v19, v18, v19
	;; [unrolled: 1-line block ×4, first 2 shown]
	ds_write2_b32 v22, v21, v18 offset0:16 offset1:17
	ds_write2_b32 v38, v19, v4 offset0:2 offset1:3
	ds_write_b32 v38, v5 offset:16
	s_waitcnt lgkmcnt(0)
	s_barrier
	ds_read_b32 v22, v24 offset:64
	ds_read_b32 v38, v26 offset:64
	;; [unrolled: 1-line block ×6, first 2 shown]
	s_movk_i32 s12, 0x100
	v_cmp_gt_u32_e64 s[12:13], s12, v8
	v_pk_mov_b32 v[4:5], 0, 0
                                        ; implicit-def: $vgpr21
	s_and_saveexec_b64 s[16:17], s[12:13]
	s_cbranch_execz .LBB157_35
; %bb.32:
	v_mul_u32_u24_e32 v4, 17, v8
	v_lshlrev_b32_e32 v21, 2, v4
	ds_read_b32 v4, v21 offset:64
	s_movk_i32 s14, 0xff
	v_cmp_ne_u32_e64 s[14:15], s14, v8
	v_mov_b32_e32 v5, 0x1800
	s_and_saveexec_b64 s[18:19], s[14:15]
	s_cbranch_execz .LBB157_34
; %bb.33:
	ds_read_b32 v5, v21 offset:132
.LBB157_34:
	s_or_b64 exec, exec, s[18:19]
	s_waitcnt lgkmcnt(0)
	v_sub_u32_e32 v21, v5, v4
	v_mov_b32_e32 v5, 0
.LBB157_35:
	s_or_b64 exec, exec, s[16:17]
	v_add_u32_e32 v29, v40, v30
	v_add_u32_e32 v30, v37, v35
	;; [unrolled: 1-line block ×5, first 2 shown]
	s_waitcnt lgkmcnt(5)
	v_add_lshl_u32 v22, v22, v23, 3
	s_waitcnt lgkmcnt(4)
	v_add_lshl_u32 v23, v25, v38, 3
	;; [unrolled: 2-line block ×6, first 2 shown]
	s_barrier
	ds_write_b64 v22, v[2:3] offset:2048
	ds_write_b64 v23, v[6:7] offset:2048
	;; [unrolled: 1-line block ×6, first 2 shown]
	s_waitcnt lgkmcnt(0)
	s_barrier
	s_and_saveexec_b64 s[16:17], s[12:13]
	s_cbranch_execz .LBB157_45
; %bb.36:
	v_lshl_or_b32 v2, s6, 8, v8
	v_mov_b32_e32 v3, 0
	v_lshlrev_b64 v[6:7], 2, v[2:3]
	v_mov_b32_e32 v12, s31
	v_add_co_u32_e64 v6, s[14:15], s30, v6
	v_addc_co_u32_e64 v7, s[14:15], v12, v7, s[14:15]
	v_or_b32_e32 v2, 2.0, v21
	s_mov_b64 s[18:19], 0
	s_brev_b32 s24, 1
	s_mov_b32 s25, s6
	v_mov_b32_e32 v13, 0
	global_store_dword v[6:7], v2, off
                                        ; implicit-def: $sgpr14_sgpr15
	s_branch .LBB157_38
.LBB157_37:                             ;   in Loop: Header=BB157_38 Depth=1
	s_or_b64 exec, exec, s[20:21]
	v_and_b32_e32 v10, 0x3fffffff, v14
	v_add_u32_e32 v13, v10, v13
	v_cmp_eq_u32_e64 s[14:15], s24, v2
	s_and_b64 s[20:21], exec, s[14:15]
	s_or_b64 s[18:19], s[20:21], s[18:19]
	s_andn2_b64 exec, exec, s[18:19]
	s_cbranch_execz .LBB157_44
.LBB157_38:                             ; =>This Loop Header: Depth=1
                                        ;     Child Loop BB157_41 Depth 2
	s_or_b64 s[14:15], s[14:15], exec
	s_cmp_eq_u32 s25, 0
	s_cbranch_scc1 .LBB157_43
; %bb.39:                               ;   in Loop: Header=BB157_38 Depth=1
	s_add_i32 s25, s25, -1
	v_lshl_or_b32 v2, s25, 8, v8
	v_lshlrev_b64 v[10:11], 2, v[2:3]
	v_add_co_u32_e64 v10, s[14:15], s30, v10
	v_addc_co_u32_e64 v11, s[14:15], v12, v11, s[14:15]
	global_load_dword v14, v[10:11], off glc
	s_waitcnt vmcnt(0)
	v_and_b32_e32 v2, -2.0, v14
	v_cmp_eq_u32_e64 s[14:15], 0, v2
	s_and_saveexec_b64 s[20:21], s[14:15]
	s_cbranch_execz .LBB157_37
; %bb.40:                               ;   in Loop: Header=BB157_38 Depth=1
	s_mov_b64 s[22:23], 0
.LBB157_41:                             ;   Parent Loop BB157_38 Depth=1
                                        ; =>  This Inner Loop Header: Depth=2
	global_load_dword v14, v[10:11], off glc
	s_waitcnt vmcnt(0)
	v_and_b32_e32 v2, -2.0, v14
	v_cmp_ne_u32_e64 s[14:15], 0, v2
	s_or_b64 s[22:23], s[14:15], s[22:23]
	s_andn2_b64 exec, exec, s[22:23]
	s_cbranch_execnz .LBB157_41
; %bb.42:                               ;   in Loop: Header=BB157_38 Depth=1
	s_or_b64 exec, exec, s[22:23]
	s_branch .LBB157_37
.LBB157_43:                             ;   in Loop: Header=BB157_38 Depth=1
                                        ; implicit-def: $sgpr25
	s_and_b64 s[20:21], exec, s[14:15]
	s_or_b64 s[18:19], s[20:21], s[18:19]
	s_andn2_b64 exec, exec, s[18:19]
	s_cbranch_execnz .LBB157_38
.LBB157_44:
	s_or_b64 exec, exec, s[18:19]
	v_add_u32_e32 v2, v13, v21
	v_or_b32_e32 v2, 0x80000000, v2
	global_store_dword v[6:7], v2, off
	v_lshlrev_b32_e32 v6, 3, v8
	global_load_dwordx2 v[2:3], v6, s[44:45]
	v_sub_co_u32_e64 v7, s[14:15], v13, v4
	v_subb_co_u32_e64 v10, s[14:15], 0, v5, s[14:15]
	s_waitcnt vmcnt(0)
	v_add_co_u32_e64 v2, s[14:15], v7, v2
	v_addc_co_u32_e64 v3, s[14:15], v10, v3, s[14:15]
	ds_write_b64 v6, v[2:3]
.LBB157_45:
	s_or_b64 exec, exec, s[16:17]
	v_cmp_gt_u32_e64 s[14:15], s35, v8
	v_lshlrev_b32_e32 v28, 3, v8
	s_waitcnt lgkmcnt(0)
	s_barrier
	s_and_saveexec_b64 s[18:19], s[14:15]
	s_cbranch_execz .LBB157_47
; %bb.46:
	ds_read_b64 v[2:3], v28 offset:2048
	s_mov_b32 s16, -1
	s_brev_b32 s17, -2
	v_bfrev_b32_e32 v10, 1
	s_waitcnt lgkmcnt(0)
	v_cmp_ne_u64_e64 s[16:17], s[16:17], v[2:3]
	v_cndmask_b32_e64 v7, v10, v3, s[16:17]
	v_cndmask_b32_e64 v6, 0, v2, s[16:17]
	v_lshrrev_b64 v[6:7], s48, v[6:7]
	v_and_b32_e32 v6, s33, v6
	v_lshlrev_b32_e32 v6, 3, v6
	ds_read_b64 v[6:7], v6
	v_cmp_lt_i64_e64 s[16:17], -1, v[2:3]
	v_cndmask_b32_e64 v10, v10, -1, s[16:17]
	v_ashrrev_i32_e32 v11, 31, v3
	v_xor_b32_e32 v3, v10, v3
	s_waitcnt lgkmcnt(0)
	v_lshlrev_b64 v[6:7], 3, v[6:7]
	v_mov_b32_e32 v10, s39
	v_add_co_u32_e64 v6, s[16:17], s38, v6
	v_addc_co_u32_e64 v7, s[16:17], v10, v7, s[16:17]
	v_not_b32_e32 v11, v11
	v_add_co_u32_e64 v6, s[16:17], v6, v28
	v_xor_b32_e32 v2, v11, v2
	v_addc_co_u32_e64 v7, s[16:17], 0, v7, s[16:17]
	global_store_dwordx2 v[6:7], v[2:3], off
.LBB157_47:
	s_or_b64 exec, exec, s[18:19]
	v_or_b32_e32 v2, 0x400, v8
	v_cmp_gt_u32_e64 s[16:17], s35, v2
	v_lshlrev_b32_e32 v29, 3, v2
	s_and_saveexec_b64 s[20:21], s[16:17]
	s_cbranch_execz .LBB157_49
; %bb.48:
	ds_read_b64 v[2:3], v28 offset:10240
	s_mov_b32 s18, -1
	s_brev_b32 s19, -2
	v_bfrev_b32_e32 v10, 1
	s_waitcnt lgkmcnt(0)
	v_cmp_ne_u64_e64 s[18:19], s[18:19], v[2:3]
	v_cndmask_b32_e64 v7, v10, v3, s[18:19]
	v_cndmask_b32_e64 v6, 0, v2, s[18:19]
	v_lshrrev_b64 v[6:7], s48, v[6:7]
	v_and_b32_e32 v6, s33, v6
	v_lshlrev_b32_e32 v6, 3, v6
	ds_read_b64 v[6:7], v6
	v_cmp_lt_i64_e64 s[18:19], -1, v[2:3]
	v_cndmask_b32_e64 v10, v10, -1, s[18:19]
	v_ashrrev_i32_e32 v11, 31, v3
	v_xor_b32_e32 v3, v10, v3
	s_waitcnt lgkmcnt(0)
	v_lshlrev_b64 v[6:7], 3, v[6:7]
	v_mov_b32_e32 v10, s39
	v_add_co_u32_e64 v6, s[18:19], s38, v6
	v_addc_co_u32_e64 v7, s[18:19], v10, v7, s[18:19]
	v_not_b32_e32 v11, v11
	v_add_co_u32_e64 v6, s[18:19], v6, v29
	v_xor_b32_e32 v2, v11, v2
	v_addc_co_u32_e64 v7, s[18:19], 0, v7, s[18:19]
	global_store_dwordx2 v[6:7], v[2:3], off
.LBB157_49:
	s_or_b64 exec, exec, s[20:21]
	v_or_b32_e32 v2, 0x800, v8
	v_cmp_gt_u32_e64 s[18:19], s35, v2
	v_lshlrev_b32_e32 v30, 3, v2
	;; [unrolled: 34-line block ×5, first 2 shown]
	s_and_saveexec_b64 s[52:53], s[24:25]
	s_cbranch_execz .LBB157_57
; %bb.56:
	ds_read_b64 v[2:3], v28 offset:43008
	s_mov_b32 s28, -1
	s_brev_b32 s29, -2
	v_bfrev_b32_e32 v10, 1
	s_waitcnt lgkmcnt(0)
	v_cmp_ne_u64_e64 s[28:29], s[28:29], v[2:3]
	v_cndmask_b32_e64 v7, v10, v3, s[28:29]
	v_cndmask_b32_e64 v6, 0, v2, s[28:29]
	v_lshrrev_b64 v[6:7], s48, v[6:7]
	v_and_b32_e32 v6, s33, v6
	v_lshlrev_b32_e32 v6, 3, v6
	ds_read_b64 v[6:7], v6
	v_cmp_lt_i64_e64 s[28:29], -1, v[2:3]
	v_cndmask_b32_e64 v10, v10, -1, s[28:29]
	v_ashrrev_i32_e32 v11, 31, v3
	v_xor_b32_e32 v3, v10, v3
	s_waitcnt lgkmcnt(0)
	v_lshlrev_b64 v[6:7], 3, v[6:7]
	v_mov_b32_e32 v10, s39
	v_add_co_u32_e64 v6, s[28:29], s38, v6
	v_addc_co_u32_e64 v7, s[28:29], v10, v7, s[28:29]
	v_not_b32_e32 v11, v11
	v_add_co_u32_e64 v6, s[28:29], v6, v33
	v_xor_b32_e32 v2, v11, v2
	v_addc_co_u32_e64 v7, s[28:29], 0, v7, s[28:29]
	global_store_dwordx2 v[6:7], v[2:3], off
.LBB157_57:
	s_or_b64 exec, exec, s[52:53]
	s_add_u32 s28, s40, s50
	s_addc_u32 s29, s41, s51
	v_mov_b32_e32 v2, s29
	v_add_co_u32_e64 v3, s[28:29], s28, v9
	v_addc_co_u32_e64 v2, s[28:29], 0, v2, s[28:29]
	v_add_co_u32_e64 v18, s[28:29], v3, v20
	v_addc_co_u32_e64 v19, s[28:29], 0, v2, s[28:29]
                                        ; implicit-def: $vgpr2_vgpr3
	s_and_saveexec_b64 s[28:29], vcc
	s_xor_b64 s[28:29], exec, s[28:29]
	s_cbranch_execnz .LBB157_127
; %bb.58:
	s_or_b64 exec, exec, s[28:29]
                                        ; implicit-def: $vgpr6_vgpr7
	s_and_saveexec_b64 s[28:29], s[0:1]
	s_cbranch_execnz .LBB157_128
.LBB157_59:
	s_or_b64 exec, exec, s[28:29]
                                        ; implicit-def: $vgpr10_vgpr11
	s_and_saveexec_b64 s[0:1], s[2:3]
	s_cbranch_execnz .LBB157_129
.LBB157_60:
	s_or_b64 exec, exec, s[0:1]
                                        ; implicit-def: $vgpr12_vgpr13
	s_and_saveexec_b64 s[0:1], s[26:27]
	s_cbranch_execnz .LBB157_130
.LBB157_61:
	s_or_b64 exec, exec, s[0:1]
                                        ; implicit-def: $vgpr14_vgpr15
	s_and_saveexec_b64 s[0:1], s[8:9]
	s_cbranch_execnz .LBB157_131
.LBB157_62:
	s_or_b64 exec, exec, s[0:1]
                                        ; implicit-def: $vgpr16_vgpr17
	s_and_saveexec_b64 s[0:1], s[10:11]
	s_cbranch_execz .LBB157_64
.LBB157_63:
	global_load_dwordx2 v[16:17], v[18:19], off offset:2560
.LBB157_64:
	s_or_b64 exec, exec, s[0:1]
	v_mov_b32_e32 v9, 0
	v_mov_b32_e32 v20, 0
	s_and_saveexec_b64 s[0:1], s[14:15]
	s_cbranch_execz .LBB157_66
; %bb.65:
	ds_read_b64 v[18:19], v28 offset:2048
	s_mov_b32 s2, -1
	s_brev_b32 s3, -2
	v_bfrev_b32_e32 v20, 1
	s_waitcnt lgkmcnt(0)
	v_cmp_ne_u64_e32 vcc, s[2:3], v[18:19]
	v_cndmask_b32_e32 v19, v20, v19, vcc
	v_cndmask_b32_e32 v18, 0, v18, vcc
	v_lshrrev_b64 v[18:19], s48, v[18:19]
	v_and_b32_e32 v20, s33, v18
.LBB157_66:
	s_or_b64 exec, exec, s[0:1]
	s_and_saveexec_b64 s[0:1], s[16:17]
	s_cbranch_execz .LBB157_68
; %bb.67:
	ds_read_b64 v[18:19], v28 offset:10240
	s_mov_b32 s2, -1
	s_brev_b32 s3, -2
	v_bfrev_b32_e32 v9, 1
	s_waitcnt lgkmcnt(0)
	v_cmp_ne_u64_e32 vcc, s[2:3], v[18:19]
	v_cndmask_b32_e32 v19, v9, v19, vcc
	v_cndmask_b32_e32 v18, 0, v18, vcc
	v_lshrrev_b64 v[18:19], s48, v[18:19]
	v_and_b32_e32 v9, s33, v18
.LBB157_68:
	s_or_b64 exec, exec, s[0:1]
	v_mov_b32_e32 v18, 0
	v_mov_b32_e32 v34, 0
	s_and_saveexec_b64 s[0:1], s[18:19]
	s_cbranch_execz .LBB157_70
; %bb.69:
	ds_read_b64 v[34:35], v28 offset:18432
	s_mov_b32 s2, -1
	s_brev_b32 s3, -2
	v_bfrev_b32_e32 v19, 1
	s_waitcnt lgkmcnt(0)
	v_cmp_ne_u64_e32 vcc, s[2:3], v[34:35]
	v_cndmask_b32_e32 v35, v19, v35, vcc
	v_cndmask_b32_e32 v34, 0, v34, vcc
	v_lshrrev_b64 v[34:35], s48, v[34:35]
	v_and_b32_e32 v34, s33, v34
.LBB157_70:
	s_or_b64 exec, exec, s[0:1]
	s_and_saveexec_b64 s[0:1], s[20:21]
	s_cbranch_execz .LBB157_72
; %bb.71:
	ds_read_b64 v[18:19], v28 offset:26624
	s_mov_b32 s2, -1
	s_brev_b32 s3, -2
	v_bfrev_b32_e32 v35, 1
	s_waitcnt lgkmcnt(0)
	v_cmp_ne_u64_e32 vcc, s[2:3], v[18:19]
	v_cndmask_b32_e32 v19, v35, v19, vcc
	v_cndmask_b32_e32 v18, 0, v18, vcc
	v_lshrrev_b64 v[18:19], s48, v[18:19]
	v_and_b32_e32 v18, s33, v18
.LBB157_72:
	;; [unrolled: 32-line block ×3, first 2 shown]
	s_or_b64 exec, exec, s[0:1]
	s_barrier
	s_waitcnt vmcnt(0)
	ds_write_b64 v22, v[2:3] offset:2048
	ds_write_b64 v23, v[6:7] offset:2048
	;; [unrolled: 1-line block ×6, first 2 shown]
	s_waitcnt lgkmcnt(0)
	s_barrier
	s_and_saveexec_b64 s[0:1], s[14:15]
	s_cbranch_execnz .LBB157_132
; %bb.77:
	s_or_b64 exec, exec, s[0:1]
	s_and_saveexec_b64 s[0:1], s[16:17]
	s_cbranch_execnz .LBB157_133
.LBB157_78:
	s_or_b64 exec, exec, s[0:1]
	s_and_saveexec_b64 s[0:1], s[18:19]
	s_cbranch_execnz .LBB157_134
.LBB157_79:
	s_or_b64 exec, exec, s[0:1]
	s_and_saveexec_b64 s[0:1], s[20:21]
	s_cbranch_execnz .LBB157_135
.LBB157_80:
	s_or_b64 exec, exec, s[0:1]
	s_and_saveexec_b64 s[0:1], s[22:23]
	s_cbranch_execnz .LBB157_136
.LBB157_81:
	s_or_b64 exec, exec, s[0:1]
	s_and_saveexec_b64 s[0:1], s[24:25]
	s_cbranch_execz .LBB157_83
.LBB157_82:
	v_lshlrev_b32_e32 v2, 3, v19
	ds_read_b64 v[2:3], v2
	ds_read_b64 v[6:7], v28 offset:43008
	v_mov_b32_e32 v9, s43
	s_waitcnt lgkmcnt(1)
	v_lshlrev_b64 v[2:3], 3, v[2:3]
	v_add_co_u32_e32 v2, vcc, s42, v2
	v_addc_co_u32_e32 v3, vcc, v9, v3, vcc
	v_add_co_u32_e32 v2, vcc, v2, v33
	v_addc_co_u32_e32 v3, vcc, 0, v3, vcc
	s_waitcnt lgkmcnt(0)
	global_store_dwordx2 v[2:3], v[6:7], off
.LBB157_83:
	s_or_b64 exec, exec, s[0:1]
	s_add_i32 s7, s7, -1
	s_cmp_eq_u32 s6, s7
	s_cselect_b64 s[0:1], -1, 0
	s_and_b64 s[2:3], s[12:13], s[0:1]
	s_mov_b64 s[0:1], 0
	s_mov_b64 s[10:11], 0
                                        ; implicit-def: $vgpr2_vgpr3
	s_and_saveexec_b64 s[8:9], s[2:3]
	s_xor_b64 s[2:3], exec, s[8:9]
; %bb.84:
	v_add_co_u32_e32 v2, vcc, v4, v21
	s_mov_b64 s[10:11], exec
	v_mov_b32_e32 v9, 0
	v_addc_co_u32_e32 v3, vcc, 0, v5, vcc
; %bb.85:
	s_or_b64 exec, exec, s[2:3]
	s_and_b64 vcc, exec, s[0:1]
	s_cbranch_vccnz .LBB157_87
	s_branch .LBB157_124
.LBB157_86:
	s_mov_b64 s[10:11], 0
                                        ; implicit-def: $vgpr2_vgpr3
                                        ; implicit-def: $vgpr8_vgpr9
	s_cbranch_execz .LBB157_124
.LBB157_87:
	s_mov_b32 s35, 0
	s_lshl_b64 s[12:13], s[34:35], 3
	v_and_b32_e32 v8, 0x3ff, v0
	s_add_u32 s0, s36, s12
	v_mbcnt_hi_u32_b32 v9, -1, v1
	s_addc_u32 s1, s37, s13
	v_and_b32_e32 v1, 0x3c0, v8
	v_lshlrev_b32_e32 v18, 3, v9
	v_mul_u32_u24_e32 v1, 6, v1
	v_mov_b32_e32 v2, s1
	v_add_co_u32_e32 v3, vcc, s0, v18
	s_load_dword s7, s[4:5], 0x50
	s_load_dword s0, s[4:5], 0x5c
	v_addc_co_u32_e32 v2, vcc, 0, v2, vcc
	v_lshlrev_b32_e32 v19, 3, v1
	v_add_co_u32_e32 v16, vcc, v3, v19
	v_addc_co_u32_e32 v17, vcc, 0, v2, vcc
	global_load_dwordx2 v[24:25], v[16:17], off
	s_add_u32 s1, s4, 0x50
	s_addc_u32 s2, s5, 0
	s_waitcnt lgkmcnt(0)
	s_lshr_b32 s4, s0, 16
	s_cmp_lt_u32 s6, s7
	s_cselect_b32 s0, 12, 18
	s_add_u32 s0, s1, s0
	v_mov_b32_e32 v4, 0
	s_addc_u32 s1, s2, 0
	global_load_ushort v5, v4, s[0:1]
	v_mul_u32_u24_e32 v2, 5, v8
	v_lshlrev_b32_e32 v20, 2, v2
	ds_write2_b32 v20, v4, v4 offset0:16 offset1:17
	ds_write2_b32 v20, v4, v4 offset0:18 offset1:19
	ds_write_b32 v20, v4 offset:80
	global_load_dwordx2 v[2:3], v[16:17], off offset:512
	global_load_dwordx2 v[14:15], v[16:17], off offset:1024
	;; [unrolled: 1-line block ×5, first 2 shown]
	v_bfrev_b32_e32 v23, 1
	v_bfe_u32 v1, v0, 10, 10
	v_bfe_u32 v0, v0, 20, 10
	s_mov_b32 s2, -1
	v_mad_u32_u24 v21, v0, s4, v1
	s_brev_b32 s3, -2
	s_lshl_b32 s0, -1, s49
	s_not_b32 s16, s0
	s_waitcnt lgkmcnt(0)
	s_barrier
	s_waitcnt lgkmcnt(0)
	; wave barrier
	s_waitcnt vmcnt(6)
	v_cmp_lt_i64_e32 vcc, -1, v[24:25]
	v_cndmask_b32_e32 v0, -1, v23, vcc
	v_ashrrev_i32_e32 v16, 31, v25
	v_xor_b32_e32 v1, v0, v25
	v_xor_b32_e32 v0, v16, v24
	v_cmp_ne_u64_e32 vcc, s[2:3], v[0:1]
	v_cndmask_b32_e32 v17, v23, v1, vcc
	v_cndmask_b32_e32 v16, 0, v0, vcc
	v_lshrrev_b64 v[16:17], s48, v[16:17]
	s_waitcnt vmcnt(5)
	v_mad_u64_u32 v[24:25], s[0:1], v21, v5, v[8:9]
	v_and_b32_e32 v16, s16, v16
	v_lshrrev_b32_e32 v26, 6, v24
	v_lshl_add_u32 v17, v16, 4, v16
	v_and_b32_e32 v22, 1, v16
	v_add_lshl_u32 v21, v26, v17, 2
	v_add_co_u32_e32 v17, vcc, -1, v22
	v_lshlrev_b32_e32 v5, 30, v16
	v_addc_co_u32_e64 v24, s[0:1], 0, -1, vcc
	v_cmp_ne_u32_e32 vcc, 0, v22
	v_cmp_gt_i64_e64 s[0:1], 0, v[4:5]
	v_not_b32_e32 v22, v5
	v_lshlrev_b32_e32 v5, 29, v16
	v_xor_b32_e32 v24, vcc_hi, v24
	v_xor_b32_e32 v17, vcc_lo, v17
	v_ashrrev_i32_e32 v22, 31, v22
	v_cmp_gt_i64_e32 vcc, 0, v[4:5]
	v_not_b32_e32 v25, v5
	v_lshlrev_b32_e32 v5, 28, v16
	v_and_b32_e32 v24, exec_hi, v24
	v_and_b32_e32 v17, exec_lo, v17
	v_xor_b32_e32 v27, s1, v22
	v_xor_b32_e32 v22, s0, v22
	v_ashrrev_i32_e32 v25, 31, v25
	v_cmp_gt_i64_e64 s[0:1], 0, v[4:5]
	v_not_b32_e32 v5, v5
	v_and_b32_e32 v24, v24, v27
	v_and_b32_e32 v17, v17, v22
	v_xor_b32_e32 v22, vcc_hi, v25
	v_xor_b32_e32 v25, vcc_lo, v25
	v_ashrrev_i32_e32 v5, 31, v5
	v_and_b32_e32 v22, v24, v22
	v_and_b32_e32 v17, v17, v25
	v_xor_b32_e32 v24, s1, v5
	v_xor_b32_e32 v5, s0, v5
	v_and_b32_e32 v17, v17, v5
	v_lshlrev_b32_e32 v5, 27, v16
	v_cmp_gt_i64_e32 vcc, 0, v[4:5]
	v_not_b32_e32 v5, v5
	v_ashrrev_i32_e32 v5, 31, v5
	v_and_b32_e32 v22, v22, v24
	v_xor_b32_e32 v24, vcc_hi, v5
	v_xor_b32_e32 v5, vcc_lo, v5
	v_and_b32_e32 v17, v17, v5
	v_lshlrev_b32_e32 v5, 26, v16
	v_cmp_gt_i64_e32 vcc, 0, v[4:5]
	v_not_b32_e32 v5, v5
	v_ashrrev_i32_e32 v5, 31, v5
	v_and_b32_e32 v22, v22, v24
	v_xor_b32_e32 v24, vcc_hi, v5
	v_xor_b32_e32 v5, vcc_lo, v5
	v_and_b32_e32 v17, v17, v5
	v_lshlrev_b32_e32 v5, 25, v16
	v_cmp_gt_i64_e32 vcc, 0, v[4:5]
	v_not_b32_e32 v5, v5
	v_ashrrev_i32_e32 v5, 31, v5
	v_and_b32_e32 v22, v22, v24
	v_xor_b32_e32 v24, vcc_hi, v5
	v_xor_b32_e32 v5, vcc_lo, v5
	v_and_b32_e32 v22, v22, v24
	v_and_b32_e32 v24, v17, v5
	v_lshlrev_b32_e32 v5, 24, v16
	v_cmp_gt_i64_e32 vcc, 0, v[4:5]
	v_not_b32_e32 v5, v5
	v_ashrrev_i32_e32 v5, 31, v5
	v_xor_b32_e32 v16, vcc_hi, v5
	v_xor_b32_e32 v5, vcc_lo, v5
	v_and_b32_e32 v17, v22, v16
	v_and_b32_e32 v16, v24, v5
	v_mbcnt_lo_u32_b32 v5, v16, 0
	v_mbcnt_hi_u32_b32 v22, v17, v5
	v_cmp_eq_u32_e32 vcc, 0, v22
	v_cmp_ne_u64_e64 s[0:1], 0, v[16:17]
	s_and_b64 s[4:5], s[0:1], vcc
	s_and_saveexec_b64 s[0:1], s[4:5]
	s_cbranch_execz .LBB157_89
; %bb.88:
	v_bcnt_u32_b32 v5, v16, 0
	v_bcnt_u32_b32 v5, v17, v5
	ds_write_b32 v21, v5 offset:64
.LBB157_89:
	s_or_b64 exec, exec, s[0:1]
	s_waitcnt vmcnt(4)
	v_cmp_lt_i64_e32 vcc, -1, v[2:3]
	v_cndmask_b32_e32 v5, -1, v23, vcc
	v_ashrrev_i32_e32 v16, 31, v3
	v_xor_b32_e32 v3, v5, v3
	v_xor_b32_e32 v2, v16, v2
	v_cmp_ne_u64_e32 vcc, s[2:3], v[2:3]
	v_cndmask_b32_e32 v17, v23, v3, vcc
	v_cndmask_b32_e32 v16, 0, v2, vcc
	v_lshrrev_b64 v[16:17], s48, v[16:17]
	v_and_b32_e32 v16, s16, v16
	v_lshl_add_u32 v5, v16, 4, v16
	v_add_lshl_u32 v24, v26, v5, 2
	v_and_b32_e32 v5, 1, v16
	v_add_co_u32_e32 v17, vcc, -1, v5
	v_addc_co_u32_e64 v25, s[0:1], 0, -1, vcc
	v_cmp_ne_u32_e32 vcc, 0, v5
	v_xor_b32_e32 v5, vcc_hi, v25
	v_and_b32_e32 v25, exec_hi, v5
	v_lshlrev_b32_e32 v5, 30, v16
	v_xor_b32_e32 v17, vcc_lo, v17
	v_cmp_gt_i64_e32 vcc, 0, v[4:5]
	v_not_b32_e32 v5, v5
	v_ashrrev_i32_e32 v5, 31, v5
	v_and_b32_e32 v17, exec_lo, v17
	v_xor_b32_e32 v27, vcc_hi, v5
	v_xor_b32_e32 v5, vcc_lo, v5
	v_and_b32_e32 v17, v17, v5
	v_lshlrev_b32_e32 v5, 29, v16
	v_cmp_gt_i64_e32 vcc, 0, v[4:5]
	v_not_b32_e32 v5, v5
	v_ashrrev_i32_e32 v5, 31, v5
	v_and_b32_e32 v25, v25, v27
	v_xor_b32_e32 v27, vcc_hi, v5
	v_xor_b32_e32 v5, vcc_lo, v5
	v_and_b32_e32 v17, v17, v5
	v_lshlrev_b32_e32 v5, 28, v16
	v_cmp_gt_i64_e32 vcc, 0, v[4:5]
	v_not_b32_e32 v5, v5
	v_ashrrev_i32_e32 v5, 31, v5
	v_and_b32_e32 v25, v25, v27
	;; [unrolled: 8-line block ×5, first 2 shown]
	v_xor_b32_e32 v27, vcc_hi, v5
	v_xor_b32_e32 v5, vcc_lo, v5
	v_and_b32_e32 v17, v17, v5
	v_lshlrev_b32_e32 v5, 24, v16
	v_cmp_gt_i64_e32 vcc, 0, v[4:5]
	v_not_b32_e32 v4, v5
	v_ashrrev_i32_e32 v4, 31, v4
	v_xor_b32_e32 v5, vcc_hi, v4
	v_xor_b32_e32 v4, vcc_lo, v4
	; wave barrier
	ds_read_b32 v23, v24 offset:64
	v_and_b32_e32 v25, v25, v27
	v_and_b32_e32 v4, v17, v4
	;; [unrolled: 1-line block ×3, first 2 shown]
	v_mbcnt_lo_u32_b32 v16, v4, 0
	v_mbcnt_hi_u32_b32 v25, v5, v16
	v_cmp_eq_u32_e32 vcc, 0, v25
	v_cmp_ne_u64_e64 s[0:1], 0, v[4:5]
	s_and_b64 s[2:3], s[0:1], vcc
	; wave barrier
	s_and_saveexec_b64 s[0:1], s[2:3]
	s_cbranch_execz .LBB157_91
; %bb.90:
	v_bcnt_u32_b32 v4, v4, 0
	v_bcnt_u32_b32 v4, v5, v4
	s_waitcnt lgkmcnt(0)
	v_add_u32_e32 v4, v23, v4
	ds_write_b32 v24, v4 offset:64
.LBB157_91:
	s_or_b64 exec, exec, s[0:1]
	v_bfrev_b32_e32 v30, 1
	s_waitcnt vmcnt(3)
	v_cmp_lt_i64_e32 vcc, -1, v[14:15]
	s_mov_b32 s2, -1
	v_cndmask_b32_e32 v4, -1, v30, vcc
	v_ashrrev_i32_e32 v16, 31, v15
	s_brev_b32 s3, -2
	v_xor_b32_e32 v5, v4, v15
	v_xor_b32_e32 v4, v16, v14
	v_cmp_ne_u64_e32 vcc, s[2:3], v[4:5]
	v_cndmask_b32_e32 v17, v30, v5, vcc
	v_cndmask_b32_e32 v16, 0, v4, vcc
	v_lshrrev_b64 v[16:17], s48, v[16:17]
	v_and_b32_e32 v16, s16, v16
	v_lshl_add_u32 v15, v16, 4, v16
	v_add_lshl_u32 v28, v26, v15, 2
	v_and_b32_e32 v15, 1, v16
	v_add_co_u32_e32 v17, vcc, -1, v15
	v_addc_co_u32_e64 v29, s[0:1], 0, -1, vcc
	v_cmp_ne_u32_e32 vcc, 0, v15
	v_xor_b32_e32 v15, vcc_hi, v29
	v_mov_b32_e32 v14, 0
	v_and_b32_e32 v29, exec_hi, v15
	v_lshlrev_b32_e32 v15, 30, v16
	v_xor_b32_e32 v17, vcc_lo, v17
	v_cmp_gt_i64_e32 vcc, 0, v[14:15]
	v_not_b32_e32 v15, v15
	v_ashrrev_i32_e32 v15, 31, v15
	v_and_b32_e32 v17, exec_lo, v17
	v_xor_b32_e32 v31, vcc_hi, v15
	v_xor_b32_e32 v15, vcc_lo, v15
	v_and_b32_e32 v17, v17, v15
	v_lshlrev_b32_e32 v15, 29, v16
	v_cmp_gt_i64_e32 vcc, 0, v[14:15]
	v_not_b32_e32 v15, v15
	v_ashrrev_i32_e32 v15, 31, v15
	v_and_b32_e32 v29, v29, v31
	v_xor_b32_e32 v31, vcc_hi, v15
	v_xor_b32_e32 v15, vcc_lo, v15
	v_and_b32_e32 v17, v17, v15
	v_lshlrev_b32_e32 v15, 28, v16
	v_cmp_gt_i64_e32 vcc, 0, v[14:15]
	v_not_b32_e32 v15, v15
	v_ashrrev_i32_e32 v15, 31, v15
	v_and_b32_e32 v29, v29, v31
	;; [unrolled: 8-line block ×5, first 2 shown]
	v_xor_b32_e32 v31, vcc_hi, v15
	v_xor_b32_e32 v15, vcc_lo, v15
	v_and_b32_e32 v29, v29, v31
	v_and_b32_e32 v31, v17, v15
	v_lshlrev_b32_e32 v15, 24, v16
	v_cmp_gt_i64_e32 vcc, 0, v[14:15]
	v_not_b32_e32 v15, v15
	v_ashrrev_i32_e32 v15, 31, v15
	v_xor_b32_e32 v16, vcc_hi, v15
	v_xor_b32_e32 v15, vcc_lo, v15
	; wave barrier
	ds_read_b32 v27, v28 offset:64
	v_and_b32_e32 v17, v29, v16
	v_and_b32_e32 v16, v31, v15
	v_mbcnt_lo_u32_b32 v15, v16, 0
	v_mbcnt_hi_u32_b32 v29, v17, v15
	v_cmp_eq_u32_e32 vcc, 0, v29
	v_cmp_ne_u64_e64 s[0:1], 0, v[16:17]
	s_and_b64 s[4:5], s[0:1], vcc
	; wave barrier
	s_and_saveexec_b64 s[0:1], s[4:5]
	s_cbranch_execz .LBB157_93
; %bb.92:
	v_bcnt_u32_b32 v15, v16, 0
	v_bcnt_u32_b32 v15, v17, v15
	s_waitcnt lgkmcnt(0)
	v_add_u32_e32 v15, v27, v15
	ds_write_b32 v28, v15 offset:64
.LBB157_93:
	s_or_b64 exec, exec, s[0:1]
	s_waitcnt vmcnt(2)
	v_cmp_lt_i64_e32 vcc, -1, v[12:13]
	v_cndmask_b32_e32 v15, -1, v30, vcc
	v_ashrrev_i32_e32 v16, 31, v13
	v_xor_b32_e32 v13, v15, v13
	v_xor_b32_e32 v12, v16, v12
	v_cmp_ne_u64_e32 vcc, s[2:3], v[12:13]
	v_cndmask_b32_e32 v17, v30, v13, vcc
	v_cndmask_b32_e32 v16, 0, v12, vcc
	v_lshrrev_b64 v[16:17], s48, v[16:17]
	v_and_b32_e32 v16, s16, v16
	v_lshl_add_u32 v15, v16, 4, v16
	v_add_lshl_u32 v31, v26, v15, 2
	v_and_b32_e32 v15, 1, v16
	v_add_co_u32_e32 v17, vcc, -1, v15
	v_addc_co_u32_e64 v32, s[0:1], 0, -1, vcc
	v_cmp_ne_u32_e32 vcc, 0, v15
	v_xor_b32_e32 v15, vcc_hi, v32
	v_and_b32_e32 v32, exec_hi, v15
	v_lshlrev_b32_e32 v15, 30, v16
	v_xor_b32_e32 v17, vcc_lo, v17
	v_cmp_gt_i64_e32 vcc, 0, v[14:15]
	v_not_b32_e32 v15, v15
	v_ashrrev_i32_e32 v15, 31, v15
	v_and_b32_e32 v17, exec_lo, v17
	v_xor_b32_e32 v33, vcc_hi, v15
	v_xor_b32_e32 v15, vcc_lo, v15
	v_and_b32_e32 v17, v17, v15
	v_lshlrev_b32_e32 v15, 29, v16
	v_cmp_gt_i64_e32 vcc, 0, v[14:15]
	v_not_b32_e32 v15, v15
	v_ashrrev_i32_e32 v15, 31, v15
	v_and_b32_e32 v32, v32, v33
	v_xor_b32_e32 v33, vcc_hi, v15
	v_xor_b32_e32 v15, vcc_lo, v15
	v_and_b32_e32 v17, v17, v15
	v_lshlrev_b32_e32 v15, 28, v16
	v_cmp_gt_i64_e32 vcc, 0, v[14:15]
	v_not_b32_e32 v15, v15
	v_ashrrev_i32_e32 v15, 31, v15
	v_and_b32_e32 v32, v32, v33
	v_xor_b32_e32 v33, vcc_hi, v15
	v_xor_b32_e32 v15, vcc_lo, v15
	v_and_b32_e32 v17, v17, v15
	v_lshlrev_b32_e32 v15, 27, v16
	v_cmp_gt_i64_e32 vcc, 0, v[14:15]
	v_not_b32_e32 v15, v15
	v_ashrrev_i32_e32 v15, 31, v15
	v_and_b32_e32 v32, v32, v33
	v_xor_b32_e32 v33, vcc_hi, v15
	v_xor_b32_e32 v15, vcc_lo, v15
	v_and_b32_e32 v17, v17, v15
	v_lshlrev_b32_e32 v15, 26, v16
	v_cmp_gt_i64_e32 vcc, 0, v[14:15]
	v_not_b32_e32 v15, v15
	v_ashrrev_i32_e32 v15, 31, v15
	v_and_b32_e32 v32, v32, v33
	v_xor_b32_e32 v33, vcc_hi, v15
	v_xor_b32_e32 v15, vcc_lo, v15
	v_and_b32_e32 v17, v17, v15
	v_lshlrev_b32_e32 v15, 25, v16
	v_cmp_gt_i64_e32 vcc, 0, v[14:15]
	v_not_b32_e32 v15, v15
	v_ashrrev_i32_e32 v15, 31, v15
	v_and_b32_e32 v32, v32, v33
	v_xor_b32_e32 v33, vcc_hi, v15
	v_xor_b32_e32 v15, vcc_lo, v15
	v_and_b32_e32 v17, v17, v15
	v_lshlrev_b32_e32 v15, 24, v16
	v_cmp_gt_i64_e32 vcc, 0, v[14:15]
	v_not_b32_e32 v14, v15
	v_ashrrev_i32_e32 v14, 31, v14
	v_xor_b32_e32 v15, vcc_hi, v14
	v_xor_b32_e32 v14, vcc_lo, v14
	; wave barrier
	ds_read_b32 v30, v31 offset:64
	v_and_b32_e32 v32, v32, v33
	v_and_b32_e32 v14, v17, v14
	;; [unrolled: 1-line block ×3, first 2 shown]
	v_mbcnt_lo_u32_b32 v16, v14, 0
	v_mbcnt_hi_u32_b32 v32, v15, v16
	v_cmp_eq_u32_e32 vcc, 0, v32
	v_cmp_ne_u64_e64 s[0:1], 0, v[14:15]
	s_and_b64 s[2:3], s[0:1], vcc
	; wave barrier
	s_and_saveexec_b64 s[0:1], s[2:3]
	s_cbranch_execz .LBB157_95
; %bb.94:
	v_bcnt_u32_b32 v14, v14, 0
	v_bcnt_u32_b32 v14, v15, v14
	s_waitcnt lgkmcnt(0)
	v_add_u32_e32 v14, v30, v14
	ds_write_b32 v31, v14 offset:64
.LBB157_95:
	s_or_b64 exec, exec, s[0:1]
	v_bfrev_b32_e32 v37, 1
	s_waitcnt vmcnt(1)
	v_cmp_lt_i64_e32 vcc, -1, v[10:11]
	s_mov_b32 s2, -1
	v_cndmask_b32_e32 v14, -1, v37, vcc
	v_ashrrev_i32_e32 v16, 31, v11
	s_brev_b32 s3, -2
	v_xor_b32_e32 v15, v14, v11
	v_xor_b32_e32 v14, v16, v10
	v_cmp_ne_u64_e32 vcc, s[2:3], v[14:15]
	v_cndmask_b32_e32 v17, v37, v15, vcc
	v_cndmask_b32_e32 v16, 0, v14, vcc
	v_lshrrev_b64 v[16:17], s48, v[16:17]
	v_and_b32_e32 v16, s16, v16
	v_lshl_add_u32 v11, v16, 4, v16
	v_add_lshl_u32 v34, v11, v26, 2
	v_and_b32_e32 v11, 1, v16
	v_add_co_u32_e32 v17, vcc, -1, v11
	v_addc_co_u32_e64 v35, s[0:1], 0, -1, vcc
	v_cmp_ne_u32_e32 vcc, 0, v11
	v_xor_b32_e32 v11, vcc_hi, v35
	v_mov_b32_e32 v10, 0
	v_and_b32_e32 v35, exec_hi, v11
	v_lshlrev_b32_e32 v11, 30, v16
	v_xor_b32_e32 v17, vcc_lo, v17
	v_cmp_gt_i64_e32 vcc, 0, v[10:11]
	v_not_b32_e32 v11, v11
	v_ashrrev_i32_e32 v11, 31, v11
	v_and_b32_e32 v17, exec_lo, v17
	v_xor_b32_e32 v36, vcc_hi, v11
	v_xor_b32_e32 v11, vcc_lo, v11
	v_and_b32_e32 v17, v17, v11
	v_lshlrev_b32_e32 v11, 29, v16
	v_cmp_gt_i64_e32 vcc, 0, v[10:11]
	v_not_b32_e32 v11, v11
	v_ashrrev_i32_e32 v11, 31, v11
	v_and_b32_e32 v35, v35, v36
	v_xor_b32_e32 v36, vcc_hi, v11
	v_xor_b32_e32 v11, vcc_lo, v11
	v_and_b32_e32 v17, v17, v11
	v_lshlrev_b32_e32 v11, 28, v16
	v_cmp_gt_i64_e32 vcc, 0, v[10:11]
	v_not_b32_e32 v11, v11
	v_ashrrev_i32_e32 v11, 31, v11
	v_and_b32_e32 v35, v35, v36
	;; [unrolled: 8-line block ×5, first 2 shown]
	v_xor_b32_e32 v36, vcc_hi, v11
	v_xor_b32_e32 v11, vcc_lo, v11
	v_and_b32_e32 v35, v35, v36
	v_and_b32_e32 v36, v17, v11
	v_lshlrev_b32_e32 v11, 24, v16
	v_cmp_gt_i64_e32 vcc, 0, v[10:11]
	v_not_b32_e32 v11, v11
	v_ashrrev_i32_e32 v11, 31, v11
	v_xor_b32_e32 v16, vcc_hi, v11
	v_xor_b32_e32 v11, vcc_lo, v11
	; wave barrier
	ds_read_b32 v33, v34 offset:64
	v_and_b32_e32 v17, v35, v16
	v_and_b32_e32 v16, v36, v11
	v_mbcnt_lo_u32_b32 v11, v16, 0
	v_mbcnt_hi_u32_b32 v35, v17, v11
	v_cmp_eq_u32_e32 vcc, 0, v35
	v_cmp_ne_u64_e64 s[0:1], 0, v[16:17]
	s_and_b64 s[4:5], s[0:1], vcc
	; wave barrier
	s_and_saveexec_b64 s[0:1], s[4:5]
	s_cbranch_execz .LBB157_97
; %bb.96:
	v_bcnt_u32_b32 v11, v16, 0
	v_bcnt_u32_b32 v11, v17, v11
	s_waitcnt lgkmcnt(0)
	v_add_u32_e32 v11, v33, v11
	ds_write_b32 v34, v11 offset:64
.LBB157_97:
	s_or_b64 exec, exec, s[0:1]
	s_waitcnt vmcnt(0)
	v_cmp_lt_i64_e32 vcc, -1, v[6:7]
	v_cndmask_b32_e32 v11, -1, v37, vcc
	v_ashrrev_i32_e32 v16, 31, v7
	v_xor_b32_e32 v7, v11, v7
	v_xor_b32_e32 v6, v16, v6
	v_cmp_ne_u64_e32 vcc, s[2:3], v[6:7]
	v_cndmask_b32_e32 v17, v37, v7, vcc
	v_cndmask_b32_e32 v16, 0, v6, vcc
	v_lshrrev_b64 v[16:17], s48, v[16:17]
	v_and_b32_e32 v16, s16, v16
	v_lshl_add_u32 v11, v16, 4, v16
	v_add_lshl_u32 v37, v11, v26, 2
	v_and_b32_e32 v11, 1, v16
	v_add_co_u32_e32 v17, vcc, -1, v11
	v_addc_co_u32_e64 v38, s[0:1], 0, -1, vcc
	v_cmp_ne_u32_e32 vcc, 0, v11
	v_xor_b32_e32 v11, vcc_hi, v38
	v_and_b32_e32 v38, exec_hi, v11
	v_lshlrev_b32_e32 v11, 30, v16
	v_xor_b32_e32 v17, vcc_lo, v17
	v_cmp_gt_i64_e32 vcc, 0, v[10:11]
	v_not_b32_e32 v11, v11
	v_ashrrev_i32_e32 v11, 31, v11
	v_and_b32_e32 v17, exec_lo, v17
	v_xor_b32_e32 v39, vcc_hi, v11
	v_xor_b32_e32 v11, vcc_lo, v11
	v_and_b32_e32 v17, v17, v11
	v_lshlrev_b32_e32 v11, 29, v16
	v_cmp_gt_i64_e32 vcc, 0, v[10:11]
	v_not_b32_e32 v11, v11
	v_ashrrev_i32_e32 v11, 31, v11
	v_and_b32_e32 v38, v38, v39
	v_xor_b32_e32 v39, vcc_hi, v11
	v_xor_b32_e32 v11, vcc_lo, v11
	v_and_b32_e32 v17, v17, v11
	v_lshlrev_b32_e32 v11, 28, v16
	v_cmp_gt_i64_e32 vcc, 0, v[10:11]
	v_not_b32_e32 v11, v11
	v_ashrrev_i32_e32 v11, 31, v11
	v_and_b32_e32 v38, v38, v39
	;; [unrolled: 8-line block ×5, first 2 shown]
	v_xor_b32_e32 v39, vcc_hi, v11
	v_xor_b32_e32 v11, vcc_lo, v11
	v_and_b32_e32 v17, v17, v11
	v_lshlrev_b32_e32 v11, 24, v16
	v_cmp_gt_i64_e32 vcc, 0, v[10:11]
	v_not_b32_e32 v10, v11
	v_ashrrev_i32_e32 v10, 31, v10
	v_xor_b32_e32 v11, vcc_hi, v10
	v_xor_b32_e32 v10, vcc_lo, v10
	; wave barrier
	ds_read_b32 v26, v37 offset:64
	v_and_b32_e32 v38, v38, v39
	v_and_b32_e32 v10, v17, v10
	;; [unrolled: 1-line block ×3, first 2 shown]
	v_mbcnt_lo_u32_b32 v16, v10, 0
	v_mbcnt_hi_u32_b32 v38, v11, v16
	v_cmp_eq_u32_e32 vcc, 0, v38
	v_cmp_ne_u64_e64 s[0:1], 0, v[10:11]
	v_add_u32_e32 v36, 64, v20
	s_and_b64 s[2:3], s[0:1], vcc
	; wave barrier
	s_and_saveexec_b64 s[0:1], s[2:3]
	s_cbranch_execz .LBB157_99
; %bb.98:
	v_bcnt_u32_b32 v10, v10, 0
	v_bcnt_u32_b32 v10, v11, v10
	s_waitcnt lgkmcnt(0)
	v_add_u32_e32 v10, v26, v10
	ds_write_b32 v37, v10 offset:64
.LBB157_99:
	s_or_b64 exec, exec, s[0:1]
	; wave barrier
	s_waitcnt lgkmcnt(0)
	s_barrier
	ds_read2_b32 v[16:17], v20 offset0:16 offset1:17
	ds_read2_b32 v[10:11], v36 offset0:2 offset1:3
	ds_read_b32 v39, v36 offset:16
	v_cmp_lt_u32_e64 s[8:9], 31, v9
	s_waitcnt lgkmcnt(1)
	v_add3_u32 v40, v17, v16, v10
	s_waitcnt lgkmcnt(0)
	v_add3_u32 v39, v40, v11, v39
	v_and_b32_e32 v40, 15, v9
	v_cmp_eq_u32_e32 vcc, 0, v40
	v_mov_b32_dpp v41, v39 row_shr:1 row_mask:0xf bank_mask:0xf
	v_cndmask_b32_e64 v41, v41, 0, vcc
	v_add_u32_e32 v39, v41, v39
	v_cmp_lt_u32_e64 s[0:1], 1, v40
	v_cmp_lt_u32_e64 s[2:3], 3, v40
	v_mov_b32_dpp v41, v39 row_shr:2 row_mask:0xf bank_mask:0xf
	v_cndmask_b32_e64 v41, 0, v41, s[0:1]
	v_add_u32_e32 v39, v39, v41
	v_cmp_lt_u32_e64 s[4:5], 7, v40
	s_nop 0
	v_mov_b32_dpp v41, v39 row_shr:4 row_mask:0xf bank_mask:0xf
	v_cndmask_b32_e64 v41, 0, v41, s[2:3]
	v_add_u32_e32 v39, v39, v41
	s_nop 1
	v_mov_b32_dpp v41, v39 row_shr:8 row_mask:0xf bank_mask:0xf
	v_cndmask_b32_e64 v40, 0, v41, s[4:5]
	v_add_u32_e32 v39, v39, v40
	v_bfe_i32 v41, v9, 4, 1
	s_nop 0
	v_mov_b32_dpp v40, v39 row_bcast:15 row_mask:0xf bank_mask:0xf
	v_and_b32_e32 v40, v41, v40
	v_add_u32_e32 v39, v39, v40
	v_and_b32_e32 v41, 63, v8
	s_nop 0
	v_mov_b32_dpp v40, v39 row_bcast:31 row_mask:0xf bank_mask:0xf
	v_cndmask_b32_e64 v40, 0, v40, s[8:9]
	v_add_u32_e32 v39, v39, v40
	v_lshrrev_b32_e32 v40, 6, v8
	v_cmp_eq_u32_e64 s[8:9], 63, v41
	s_and_saveexec_b64 s[14:15], s[8:9]
	s_cbranch_execz .LBB157_101
; %bb.100:
	v_lshlrev_b32_e32 v41, 2, v40
	ds_write_b32 v41, v39
.LBB157_101:
	s_or_b64 exec, exec, s[14:15]
	v_cmp_gt_u32_e64 s[8:9], 16, v8
	s_waitcnt lgkmcnt(0)
	s_barrier
	s_and_saveexec_b64 s[14:15], s[8:9]
	s_cbranch_execz .LBB157_103
; %bb.102:
	v_lshlrev_b32_e32 v41, 2, v8
	ds_read_b32 v42, v41
	s_waitcnt lgkmcnt(0)
	s_nop 0
	v_mov_b32_dpp v43, v42 row_shr:1 row_mask:0xf bank_mask:0xf
	v_cndmask_b32_e64 v43, v43, 0, vcc
	v_add_u32_e32 v42, v43, v42
	s_nop 1
	v_mov_b32_dpp v43, v42 row_shr:2 row_mask:0xf bank_mask:0xf
	v_cndmask_b32_e64 v43, 0, v43, s[0:1]
	v_add_u32_e32 v42, v42, v43
	s_nop 1
	v_mov_b32_dpp v43, v42 row_shr:4 row_mask:0xf bank_mask:0xf
	v_cndmask_b32_e64 v43, 0, v43, s[2:3]
	;; [unrolled: 4-line block ×3, first 2 shown]
	v_add_u32_e32 v42, v42, v43
	ds_write_b32 v41, v42
.LBB157_103:
	s_or_b64 exec, exec, s[14:15]
	v_cmp_lt_u32_e32 vcc, 63, v8
	v_mov_b32_e32 v41, 0
	s_waitcnt lgkmcnt(0)
	s_barrier
	s_and_saveexec_b64 s[0:1], vcc
	s_cbranch_execz .LBB157_105
; %bb.104:
	v_lshl_add_u32 v40, v40, 2, -4
	ds_read_b32 v41, v40
.LBB157_105:
	s_or_b64 exec, exec, s[0:1]
	v_add_u32_e32 v40, -1, v9
	v_and_b32_e32 v42, 64, v9
	v_cmp_lt_i32_e32 vcc, v40, v42
	v_cndmask_b32_e32 v40, v40, v9, vcc
	s_waitcnt lgkmcnt(0)
	v_add_u32_e32 v39, v41, v39
	v_lshlrev_b32_e32 v40, 2, v40
	ds_bpermute_b32 v39, v40, v39
	v_cmp_eq_u32_e32 vcc, 0, v9
	s_movk_i32 s2, 0xff
	s_movk_i32 s3, 0x100
	v_cmp_lt_u32_e64 s[0:1], s2, v8
	s_waitcnt lgkmcnt(0)
	v_cndmask_b32_e32 v9, v39, v41, vcc
	v_cmp_ne_u32_e32 vcc, 0, v8
	v_cndmask_b32_e32 v9, 0, v9, vcc
	v_add_u32_e32 v16, v9, v16
	v_add_u32_e32 v17, v16, v17
	;; [unrolled: 1-line block ×4, first 2 shown]
	ds_write2_b32 v20, v9, v16 offset0:16 offset1:17
	ds_write2_b32 v36, v17, v10 offset0:2 offset1:3
	ds_write_b32 v36, v11 offset:16
	s_waitcnt lgkmcnt(0)
	s_barrier
	ds_read_b32 v21, v21 offset:64
	ds_read_b32 v36, v24 offset:64
	;; [unrolled: 1-line block ×6, first 2 shown]
	v_cmp_gt_u32_e32 vcc, s3, v8
	v_pk_mov_b32 v[10:11], 0, 0
                                        ; implicit-def: $vgpr20
	s_and_saveexec_b64 s[4:5], vcc
	s_cbranch_execz .LBB157_109
; %bb.106:
	v_mul_u32_u24_e32 v10, 17, v8
	v_lshlrev_b32_e32 v20, 2, v10
	ds_read_b32 v10, v20 offset:64
	v_cmp_ne_u32_e64 s[2:3], s2, v8
	v_mov_b32_e32 v11, 0x1800
	s_and_saveexec_b64 s[8:9], s[2:3]
	s_cbranch_execz .LBB157_108
; %bb.107:
	ds_read_b32 v11, v20 offset:132
.LBB157_108:
	s_or_b64 exec, exec, s[8:9]
	s_waitcnt lgkmcnt(0)
	v_sub_u32_e32 v20, v11, v10
	v_mov_b32_e32 v11, 0
.LBB157_109:
	s_or_b64 exec, exec, s[4:5]
	v_add_u32_e32 v26, v38, v26
	v_add_u32_e32 v28, v35, v33
	v_add_u32_e32 v30, v32, v30
	v_add_u32_e32 v27, v29, v27
	v_add_u32_e32 v23, v25, v23
	s_waitcnt lgkmcnt(5)
	v_add_lshl_u32 v21, v21, v22, 3
	s_waitcnt lgkmcnt(4)
	v_add_lshl_u32 v22, v23, v36, 3
	;; [unrolled: 2-line block ×6, first 2 shown]
	s_barrier
	ds_write_b64 v21, v[0:1] offset:2048
	ds_write_b64 v22, v[2:3] offset:2048
	;; [unrolled: 1-line block ×6, first 2 shown]
	s_waitcnt lgkmcnt(0)
	s_barrier
	s_and_saveexec_b64 s[2:3], s[0:1]
	s_xor_b64 s[0:1], exec, s[2:3]
; %bb.110:
	v_mov_b32_e32 v9, 0
; %bb.111:
	s_andn2_saveexec_b64 s[2:3], s[0:1]
	s_cbranch_execz .LBB157_121
; %bb.112:
	v_lshl_or_b32 v0, s6, 8, v8
	v_mov_b32_e32 v1, 0
	v_lshlrev_b64 v[2:3], 2, v[0:1]
	v_mov_b32_e32 v7, s31
	v_add_co_u32_e64 v2, s[0:1], s30, v2
	v_addc_co_u32_e64 v3, s[0:1], v7, v3, s[0:1]
	v_or_b32_e32 v0, 2.0, v20
	s_mov_b64 s[4:5], 0
	s_brev_b32 s17, 1
	s_mov_b32 s18, s6
	v_mov_b32_e32 v6, 0
	global_store_dword v[2:3], v0, off
                                        ; implicit-def: $sgpr0_sgpr1
	s_branch .LBB157_115
.LBB157_113:                            ;   in Loop: Header=BB157_115 Depth=1
	s_or_b64 exec, exec, s[14:15]
.LBB157_114:                            ;   in Loop: Header=BB157_115 Depth=1
	s_or_b64 exec, exec, s[8:9]
	v_and_b32_e32 v4, 0x3fffffff, v9
	v_add_u32_e32 v6, v4, v6
	v_cmp_eq_u32_e64 s[0:1], s17, v0
	s_and_b64 s[8:9], exec, s[0:1]
	s_or_b64 s[4:5], s[8:9], s[4:5]
	s_andn2_b64 exec, exec, s[4:5]
	s_cbranch_execz .LBB157_120
.LBB157_115:                            ; =>This Loop Header: Depth=1
                                        ;     Child Loop BB157_118 Depth 2
	s_or_b64 s[0:1], s[0:1], exec
	s_cmp_eq_u32 s18, 0
	s_cbranch_scc1 .LBB157_119
; %bb.116:                              ;   in Loop: Header=BB157_115 Depth=1
	s_add_i32 s18, s18, -1
	v_lshl_or_b32 v0, s18, 8, v8
	v_lshlrev_b64 v[4:5], 2, v[0:1]
	v_add_co_u32_e64 v4, s[0:1], s30, v4
	v_addc_co_u32_e64 v5, s[0:1], v7, v5, s[0:1]
	global_load_dword v9, v[4:5], off glc
	s_waitcnt vmcnt(0)
	v_and_b32_e32 v0, -2.0, v9
	v_cmp_eq_u32_e64 s[0:1], 0, v0
	s_and_saveexec_b64 s[8:9], s[0:1]
	s_cbranch_execz .LBB157_114
; %bb.117:                              ;   in Loop: Header=BB157_115 Depth=1
	s_mov_b64 s[14:15], 0
.LBB157_118:                            ;   Parent Loop BB157_115 Depth=1
                                        ; =>  This Inner Loop Header: Depth=2
	global_load_dword v9, v[4:5], off glc
	s_waitcnt vmcnt(0)
	v_and_b32_e32 v0, -2.0, v9
	v_cmp_ne_u32_e64 s[0:1], 0, v0
	s_or_b64 s[14:15], s[0:1], s[14:15]
	s_andn2_b64 exec, exec, s[14:15]
	s_cbranch_execnz .LBB157_118
	s_branch .LBB157_113
.LBB157_119:                            ;   in Loop: Header=BB157_115 Depth=1
                                        ; implicit-def: $sgpr18
	s_and_b64 s[8:9], exec, s[0:1]
	s_or_b64 s[4:5], s[8:9], s[4:5]
	s_andn2_b64 exec, exec, s[4:5]
	s_cbranch_execnz .LBB157_115
.LBB157_120:
	s_or_b64 exec, exec, s[4:5]
	v_add_u32_e32 v0, v6, v20
	v_or_b32_e32 v0, 0x80000000, v0
	global_store_dword v[2:3], v0, off
	v_lshlrev_b32_e32 v2, 3, v8
	global_load_dwordx2 v[0:1], v2, s[44:45]
	v_sub_co_u32_e64 v3, s[0:1], v6, v10
	v_subb_co_u32_e64 v4, s[0:1], 0, v11, s[0:1]
	v_mov_b32_e32 v9, 0
	s_waitcnt vmcnt(0)
	v_add_co_u32_e64 v0, s[0:1], v3, v0
	v_addc_co_u32_e64 v1, s[0:1], v4, v1, s[0:1]
	ds_write_b64 v2, v[0:1]
.LBB157_121:
	s_or_b64 exec, exec, s[2:3]
	v_lshlrev_b32_e32 v27, 3, v8
	s_waitcnt lgkmcnt(0)
	s_barrier
	v_lshlrev_b32_e32 v28, 3, v8
	ds_read2st64_b64 v[0:3], v27 offset0:20 offset1:36
	ds_read_b64 v[12:13], v28 offset:2048
	s_mov_b32 s2, -1
	ds_read2st64_b64 v[4:7], v27 offset0:52 offset1:68
	s_brev_b32 s3, -2
	v_bfrev_b32_e32 v46, 1
	s_waitcnt lgkmcnt(2)
	v_cmp_ne_u64_e64 s[0:1], s[2:3], v[2:3]
	v_cndmask_b32_e64 v15, v46, v3, s[0:1]
	v_cndmask_b32_e64 v14, 0, v2, s[0:1]
	v_lshrrev_b64 v[14:15], s48, v[14:15]
	v_and_b32_e32 v14, s16, v14
	s_waitcnt lgkmcnt(0)
	v_cmp_ne_u64_e64 s[0:1], s[2:3], v[6:7]
	v_lshlrev_b32_e32 v29, 3, v14
	v_cndmask_b32_e64 v15, v46, v7, s[0:1]
	v_cndmask_b32_e64 v14, 0, v6, s[0:1]
	v_cmp_ne_u64_e64 s[0:1], s[2:3], v[12:13]
	v_cndmask_b32_e64 v33, v46, v13, s[0:1]
	v_cndmask_b32_e64 v32, 0, v12, s[0:1]
	v_lshrrev_b64 v[14:15], s48, v[14:15]
	v_lshrrev_b64 v[32:33], s48, v[32:33]
	v_and_b32_e32 v14, s16, v14
	v_cmp_lt_i64_e64 s[0:1], -1, v[12:13]
	v_ashrrev_i32_e32 v33, 31, v13
	v_lshlrev_b32_e32 v47, 3, v14
	v_and_b32_e32 v34, s16, v32
	v_cndmask_b32_e64 v32, v46, -1, s[0:1]
	v_not_b32_e32 v35, v33
	v_cmp_ne_u64_e64 s[0:1], s[2:3], v[0:1]
	ds_read_b64 v[16:17], v47
	ds_read_b64 v[30:31], v29
	ds_read_b64 v[14:15], v27 offset:43008
	v_xor_b32_e32 v33, v32, v13
	v_xor_b32_e32 v32, v35, v12
	v_cndmask_b32_e64 v13, v46, v1, s[0:1]
	v_cndmask_b32_e64 v12, 0, v0, s[0:1]
	v_lshrrev_b64 v[12:13], s48, v[12:13]
	v_and_b32_e32 v12, s16, v12
	v_cmp_ne_u64_e64 s[0:1], s[2:3], v[4:5]
	v_lshlrev_b32_e32 v49, 3, v12
	v_cndmask_b32_e64 v13, v46, v5, s[0:1]
	v_cndmask_b32_e64 v12, 0, v4, s[0:1]
	v_lshrrev_b64 v[12:13], s48, v[12:13]
	v_and_b32_e32 v12, s16, v12
	s_waitcnt lgkmcnt(0)
	v_cmp_ne_u64_e64 s[0:1], s[2:3], v[14:15]
	v_lshlrev_b32_e32 v50, 3, v12
	v_cndmask_b32_e64 v13, v46, v15, s[0:1]
	v_cndmask_b32_e64 v12, 0, v14, s[0:1]
	v_lshlrev_b32_e32 v48, 3, v34
	v_lshrrev_b64 v[12:13], s48, v[12:13]
	v_and_b32_e32 v34, s16, v12
	ds_read_b64 v[12:13], v48
	v_mov_b32_e32 v40, s39
	v_lshlrev_b32_e32 v51, 3, v34
	ds_read_b64 v[34:35], v49
	ds_read_b64 v[36:37], v50
	;; [unrolled: 1-line block ×3, first 2 shown]
	v_or_b32_e32 v52, 0x2000, v27
	s_waitcnt lgkmcnt(3)
	v_lshlrev_b64 v[12:13], 3, v[12:13]
	v_add_co_u32_e64 v41, s[0:1], s38, v12
	v_addc_co_u32_e64 v42, s[0:1], v40, v13, s[0:1]
	v_lshlrev_b64 v[12:13], 3, v[8:9]
	v_add_co_u32_e64 v40, s[0:1], v41, v12
	v_addc_co_u32_e64 v41, s[0:1], v42, v13, s[0:1]
	global_store_dwordx2 v[40:41], v[32:33], off
	v_cmp_lt_i64_e64 s[0:1], -1, v[0:1]
	v_ashrrev_i32_e32 v33, 31, v1
	v_cndmask_b32_e64 v32, v46, -1, s[0:1]
	v_not_b32_e32 v33, v33
	v_xor_b32_e32 v1, v32, v1
	v_xor_b32_e32 v0, v33, v0
	s_waitcnt lgkmcnt(2)
	v_lshlrev_b64 v[32:33], 3, v[34:35]
	v_mov_b32_e32 v34, s39
	v_add_co_u32_e64 v32, s[0:1], s38, v32
	v_addc_co_u32_e64 v33, s[0:1], v34, v33, s[0:1]
	v_add_co_u32_e64 v32, s[0:1], v32, v52
	v_addc_co_u32_e64 v33, s[0:1], 0, v33, s[0:1]
	s_add_u32 s0, s40, s12
	s_addc_u32 s1, s41, s13
	global_store_dwordx2 v[32:33], v[0:1], off
	v_mov_b32_e32 v0, s1
	v_add_co_u32_e64 v1, s[0:1], s0, v18
	v_addc_co_u32_e64 v18, s[0:1], 0, v0, s[0:1]
	v_add_co_u32_e64 v0, s[0:1], v1, v19
	v_addc_co_u32_e64 v1, s[0:1], 0, v18, s[0:1]
	global_load_dwordx2 v[18:19], v[0:1], off
	global_load_dwordx2 v[32:33], v[0:1], off offset:512
	global_load_dwordx2 v[34:35], v[0:1], off offset:1024
	;; [unrolled: 1-line block ×5, first 2 shown]
	v_cmp_lt_i64_e64 s[0:1], -1, v[2:3]
	v_ashrrev_i32_e32 v1, 31, v3
	v_cndmask_b32_e64 v0, v46, -1, s[0:1]
	v_not_b32_e32 v53, v1
	v_xor_b32_e32 v1, v0, v3
	v_xor_b32_e32 v0, v53, v2
	v_lshlrev_b64 v[2:3], 3, v[30:31]
	v_mov_b32_e32 v30, s39
	v_add_co_u32_e64 v2, s[0:1], s38, v2
	v_addc_co_u32_e64 v3, s[0:1], v30, v3, s[0:1]
	v_or_b32_e32 v30, 0x4000, v27
	v_add_co_u32_e64 v2, s[0:1], v2, v30
	v_addc_co_u32_e64 v3, s[0:1], 0, v3, s[0:1]
	global_store_dwordx2 v[2:3], v[0:1], off
	v_cmp_lt_i64_e64 s[0:1], -1, v[4:5]
	v_ashrrev_i32_e32 v1, 31, v5
	v_cndmask_b32_e64 v0, v46, -1, s[0:1]
	v_not_b32_e32 v2, v1
	v_xor_b32_e32 v1, v0, v5
	v_xor_b32_e32 v0, v2, v4
	s_waitcnt lgkmcnt(1)
	v_lshlrev_b64 v[2:3], 3, v[36:37]
	v_mov_b32_e32 v4, s39
	v_add_co_u32_e64 v2, s[0:1], s38, v2
	v_addc_co_u32_e64 v3, s[0:1], v4, v3, s[0:1]
	v_or_b32_e32 v31, 0x6000, v27
	v_add_co_u32_e64 v2, s[0:1], v2, v31
	v_addc_co_u32_e64 v3, s[0:1], 0, v3, s[0:1]
	global_store_dwordx2 v[2:3], v[0:1], off
	v_cmp_lt_i64_e64 s[0:1], -1, v[6:7]
	v_ashrrev_i32_e32 v1, 31, v7
	v_cndmask_b32_e64 v0, v46, -1, s[0:1]
	v_not_b32_e32 v2, v1
	v_xor_b32_e32 v1, v0, v7
	v_xor_b32_e32 v0, v2, v6
	v_lshlrev_b64 v[2:3], 3, v[16:17]
	v_add_co_u32_e64 v2, s[0:1], s38, v2
	v_addc_co_u32_e64 v3, s[0:1], v4, v3, s[0:1]
	v_or_b32_e32 v36, 0x8000, v27
	v_add_co_u32_e64 v2, s[0:1], v2, v36
	v_addc_co_u32_e64 v3, s[0:1], 0, v3, s[0:1]
	global_store_dwordx2 v[2:3], v[0:1], off
	v_cmp_lt_i64_e64 s[0:1], -1, v[14:15]
	v_ashrrev_i32_e32 v1, 31, v15
	v_cndmask_b32_e64 v0, v46, -1, s[0:1]
	v_not_b32_e32 v2, v1
	v_xor_b32_e32 v1, v0, v15
	v_xor_b32_e32 v0, v2, v14
	s_waitcnt lgkmcnt(0)
	v_lshlrev_b64 v[2:3], 3, v[38:39]
	v_add_co_u32_e64 v2, s[0:1], s38, v2
	v_addc_co_u32_e64 v3, s[0:1], v4, v3, s[0:1]
	v_or_b32_e32 v37, 0xa000, v27
	v_add_co_u32_e64 v2, s[0:1], v2, v37
	v_addc_co_u32_e64 v3, s[0:1], 0, v3, s[0:1]
	global_store_dwordx2 v[2:3], v[0:1], off
	s_barrier
	s_waitcnt vmcnt(9)
	ds_write_b64 v21, v[18:19] offset:2048
	s_waitcnt vmcnt(8)
	ds_write_b64 v22, v[32:33] offset:2048
	;; [unrolled: 2-line block ×6, first 2 shown]
	s_waitcnt lgkmcnt(0)
	s_barrier
	ds_read_b64 v[0:1], v48
	ds_read_b64 v[2:3], v28 offset:2048
	ds_read_b64 v[4:5], v49
	ds_read_b64 v[6:7], v27 offset:43008
	v_mov_b32_e32 v14, s43
	s_waitcnt lgkmcnt(3)
	v_lshlrev_b64 v[0:1], 3, v[0:1]
	v_add_co_u32_e64 v0, s[0:1], s42, v0
	v_addc_co_u32_e64 v1, s[0:1], v14, v1, s[0:1]
	v_add_co_u32_e64 v0, s[0:1], v0, v12
	v_addc_co_u32_e64 v1, s[0:1], v1, v13, s[0:1]
	s_waitcnt lgkmcnt(1)
	v_lshlrev_b64 v[4:5], 3, v[4:5]
	v_mov_b32_e32 v12, s43
	v_add_co_u32_e64 v4, s[0:1], s42, v4
	global_store_dwordx2 v[0:1], v[2:3], off
	ds_read2st64_b64 v[0:3], v27 offset0:20 offset1:36
	v_addc_co_u32_e64 v5, s[0:1], v12, v5, s[0:1]
	ds_read_b64 v[12:13], v29
	v_add_co_u32_e64 v4, s[0:1], v4, v52
	v_addc_co_u32_e64 v5, s[0:1], 0, v5, s[0:1]
	s_waitcnt lgkmcnt(1)
	global_store_dwordx2 v[4:5], v[0:1], off
	s_waitcnt lgkmcnt(0)
	v_lshlrev_b64 v[0:1], 3, v[12:13]
	v_mov_b32_e32 v12, s43
	v_add_co_u32_e64 v0, s[0:1], s42, v0
	ds_read_b64 v[4:5], v50
	ds_read_b64 v[14:15], v47
	;; [unrolled: 1-line block ×3, first 2 shown]
	v_addc_co_u32_e64 v1, s[0:1], v12, v1, s[0:1]
	v_add_co_u32_e64 v0, s[0:1], v0, v30
	v_addc_co_u32_e64 v1, s[0:1], 0, v1, s[0:1]
	global_store_dwordx2 v[0:1], v[2:3], off
	ds_read2st64_b64 v[0:3], v27 offset0:52 offset1:68
	s_waitcnt lgkmcnt(3)
	v_lshlrev_b64 v[4:5], 3, v[4:5]
	v_add_co_u32_e64 v4, s[0:1], s42, v4
	v_addc_co_u32_e64 v5, s[0:1], v12, v5, s[0:1]
	v_add_co_u32_e64 v4, s[0:1], v4, v31
	v_addc_co_u32_e64 v5, s[0:1], 0, v5, s[0:1]
	s_waitcnt lgkmcnt(0)
	global_store_dwordx2 v[4:5], v[0:1], off
	v_lshlrev_b64 v[0:1], 3, v[14:15]
	v_mov_b32_e32 v4, s43
	v_add_co_u32_e64 v0, s[0:1], s42, v0
	v_addc_co_u32_e64 v1, s[0:1], v4, v1, s[0:1]
	v_add_co_u32_e64 v0, s[0:1], v0, v36
	v_addc_co_u32_e64 v1, s[0:1], 0, v1, s[0:1]
	global_store_dwordx2 v[0:1], v[2:3], off
	v_lshlrev_b64 v[0:1], 3, v[16:17]
	v_mov_b32_e32 v2, s43
	v_add_co_u32_e64 v0, s[0:1], s42, v0
	v_addc_co_u32_e64 v1, s[0:1], v2, v1, s[0:1]
	v_add_co_u32_e64 v0, s[0:1], v0, v37
	s_add_i32 s7, s7, -1
	v_addc_co_u32_e64 v1, s[0:1], 0, v1, s[0:1]
	s_cmp_eq_u32 s6, s7
	s_cselect_b64 s[0:1], -1, 0
	s_and_b64 s[2:3], vcc, s[0:1]
	global_store_dwordx2 v[0:1], v[6:7], off
                                        ; implicit-def: $vgpr2_vgpr3
	s_and_saveexec_b64 s[0:1], s[2:3]
; %bb.122:
	v_add_co_u32_e32 v2, vcc, v10, v20
	v_addc_co_u32_e32 v3, vcc, 0, v11, vcc
	s_or_b64 s[10:11], s[10:11], exec
; %bb.123:
	s_or_b64 exec, exec, s[0:1]
.LBB157_124:
	s_and_saveexec_b64 s[0:1], s[10:11]
	s_cbranch_execnz .LBB157_126
; %bb.125:
	s_endpgm
.LBB157_126:
	v_lshlrev_b32_e32 v4, 3, v8
	ds_read_b64 v[4:5], v4
	v_lshlrev_b64 v[0:1], 3, v[8:9]
	v_mov_b32_e32 v6, s47
	v_add_co_u32_e32 v0, vcc, s46, v0
	v_addc_co_u32_e32 v1, vcc, v6, v1, vcc
	s_waitcnt lgkmcnt(0)
	v_add_co_u32_e32 v2, vcc, v4, v2
	v_addc_co_u32_e32 v3, vcc, v5, v3, vcc
	global_store_dwordx2 v[0:1], v[2:3], off
	s_endpgm
.LBB157_127:
	global_load_dwordx2 v[2:3], v[18:19], off
	s_or_b64 exec, exec, s[28:29]
                                        ; implicit-def: $vgpr6_vgpr7
	s_and_saveexec_b64 s[28:29], s[0:1]
	s_cbranch_execz .LBB157_59
.LBB157_128:
	global_load_dwordx2 v[6:7], v[18:19], off offset:512
	s_or_b64 exec, exec, s[28:29]
                                        ; implicit-def: $vgpr10_vgpr11
	s_and_saveexec_b64 s[0:1], s[2:3]
	s_cbranch_execz .LBB157_60
.LBB157_129:
	global_load_dwordx2 v[10:11], v[18:19], off offset:1024
	s_or_b64 exec, exec, s[0:1]
                                        ; implicit-def: $vgpr12_vgpr13
	s_and_saveexec_b64 s[0:1], s[26:27]
	s_cbranch_execz .LBB157_61
.LBB157_130:
	global_load_dwordx2 v[12:13], v[18:19], off offset:1536
	s_or_b64 exec, exec, s[0:1]
                                        ; implicit-def: $vgpr14_vgpr15
	s_and_saveexec_b64 s[0:1], s[8:9]
	s_cbranch_execz .LBB157_62
.LBB157_131:
	global_load_dwordx2 v[14:15], v[18:19], off offset:2048
	s_or_b64 exec, exec, s[0:1]
                                        ; implicit-def: $vgpr16_vgpr17
	s_and_saveexec_b64 s[0:1], s[10:11]
	s_cbranch_execnz .LBB157_63
	s_branch .LBB157_64
.LBB157_132:
	v_lshlrev_b32_e32 v2, 3, v20
	ds_read_b64 v[2:3], v2
	ds_read_b64 v[6:7], v28 offset:2048
	v_mov_b32_e32 v10, s43
	s_waitcnt lgkmcnt(1)
	v_lshlrev_b64 v[2:3], 3, v[2:3]
	v_add_co_u32_e32 v2, vcc, s42, v2
	v_addc_co_u32_e32 v3, vcc, v10, v3, vcc
	v_add_co_u32_e32 v2, vcc, v2, v28
	v_addc_co_u32_e32 v3, vcc, 0, v3, vcc
	s_waitcnt lgkmcnt(0)
	global_store_dwordx2 v[2:3], v[6:7], off
	s_or_b64 exec, exec, s[0:1]
	s_and_saveexec_b64 s[0:1], s[16:17]
	s_cbranch_execz .LBB157_78
.LBB157_133:
	v_lshlrev_b32_e32 v2, 3, v9
	ds_read_b64 v[2:3], v2
	ds_read_b64 v[6:7], v28 offset:10240
	v_mov_b32_e32 v9, s43
	s_waitcnt lgkmcnt(1)
	v_lshlrev_b64 v[2:3], 3, v[2:3]
	v_add_co_u32_e32 v2, vcc, s42, v2
	v_addc_co_u32_e32 v3, vcc, v9, v3, vcc
	v_add_co_u32_e32 v2, vcc, v2, v29
	v_addc_co_u32_e32 v3, vcc, 0, v3, vcc
	s_waitcnt lgkmcnt(0)
	global_store_dwordx2 v[2:3], v[6:7], off
	s_or_b64 exec, exec, s[0:1]
	s_and_saveexec_b64 s[0:1], s[18:19]
	s_cbranch_execz .LBB157_79
.LBB157_134:
	v_lshlrev_b32_e32 v2, 3, v34
	ds_read_b64 v[2:3], v2
	ds_read_b64 v[6:7], v28 offset:18432
	v_mov_b32_e32 v9, s43
	s_waitcnt lgkmcnt(1)
	v_lshlrev_b64 v[2:3], 3, v[2:3]
	v_add_co_u32_e32 v2, vcc, s42, v2
	v_addc_co_u32_e32 v3, vcc, v9, v3, vcc
	v_add_co_u32_e32 v2, vcc, v2, v30
	v_addc_co_u32_e32 v3, vcc, 0, v3, vcc
	s_waitcnt lgkmcnt(0)
	global_store_dwordx2 v[2:3], v[6:7], off
	s_or_b64 exec, exec, s[0:1]
	s_and_saveexec_b64 s[0:1], s[20:21]
	s_cbranch_execz .LBB157_80
.LBB157_135:
	v_lshlrev_b32_e32 v2, 3, v18
	ds_read_b64 v[2:3], v2
	ds_read_b64 v[6:7], v28 offset:26624
	v_mov_b32_e32 v9, s43
	s_waitcnt lgkmcnt(1)
	v_lshlrev_b64 v[2:3], 3, v[2:3]
	v_add_co_u32_e32 v2, vcc, s42, v2
	v_addc_co_u32_e32 v3, vcc, v9, v3, vcc
	v_add_co_u32_e32 v2, vcc, v2, v31
	v_addc_co_u32_e32 v3, vcc, 0, v3, vcc
	s_waitcnt lgkmcnt(0)
	global_store_dwordx2 v[2:3], v[6:7], off
	s_or_b64 exec, exec, s[0:1]
	s_and_saveexec_b64 s[0:1], s[22:23]
	s_cbranch_execz .LBB157_81
.LBB157_136:
	v_lshlrev_b32_e32 v2, 3, v35
	ds_read_b64 v[2:3], v2
	ds_read_b64 v[6:7], v28 offset:34816
	v_mov_b32_e32 v9, s43
	s_waitcnt lgkmcnt(1)
	v_lshlrev_b64 v[2:3], 3, v[2:3]
	v_add_co_u32_e32 v2, vcc, s42, v2
	v_addc_co_u32_e32 v3, vcc, v9, v3, vcc
	v_add_co_u32_e32 v2, vcc, v2, v32
	v_addc_co_u32_e32 v3, vcc, 0, v3, vcc
	s_waitcnt lgkmcnt(0)
	global_store_dwordx2 v[2:3], v[6:7], off
	s_or_b64 exec, exec, s[0:1]
	s_and_saveexec_b64 s[0:1], s[24:25]
	s_cbranch_execnz .LBB157_82
	s_branch .LBB157_83
	.section	.rodata,"a",@progbits
	.p2align	6, 0x0
	.amdhsa_kernel _ZN7rocprim17ROCPRIM_304000_NS6detail25onesweep_iteration_kernelINS1_34wrapped_radix_sort_onesweep_configINS0_14default_configEdN2at4cuda3cub6detail10OpaqueTypeILi8EEEEELb0EPdSC_PSA_SD_mNS0_19identity_decomposerEEEvT1_T2_T3_T4_jPT5_SK_PNS1_23onesweep_lookback_stateET6_jjj
		.amdhsa_group_segment_fixed_size 51200
		.amdhsa_private_segment_fixed_size 0
		.amdhsa_kernarg_size 336
		.amdhsa_user_sgpr_count 6
		.amdhsa_user_sgpr_private_segment_buffer 1
		.amdhsa_user_sgpr_dispatch_ptr 0
		.amdhsa_user_sgpr_queue_ptr 0
		.amdhsa_user_sgpr_kernarg_segment_ptr 1
		.amdhsa_user_sgpr_dispatch_id 0
		.amdhsa_user_sgpr_flat_scratch_init 0
		.amdhsa_user_sgpr_kernarg_preload_length 0
		.amdhsa_user_sgpr_kernarg_preload_offset 0
		.amdhsa_user_sgpr_private_segment_size 0
		.amdhsa_uses_dynamic_stack 0
		.amdhsa_system_sgpr_private_segment_wavefront_offset 0
		.amdhsa_system_sgpr_workgroup_id_x 1
		.amdhsa_system_sgpr_workgroup_id_y 0
		.amdhsa_system_sgpr_workgroup_id_z 0
		.amdhsa_system_sgpr_workgroup_info 0
		.amdhsa_system_vgpr_workitem_id 2
		.amdhsa_next_free_vgpr 54
		.amdhsa_next_free_sgpr 54
		.amdhsa_accum_offset 56
		.amdhsa_reserve_vcc 1
		.amdhsa_reserve_flat_scratch 0
		.amdhsa_float_round_mode_32 0
		.amdhsa_float_round_mode_16_64 0
		.amdhsa_float_denorm_mode_32 3
		.amdhsa_float_denorm_mode_16_64 3
		.amdhsa_dx10_clamp 1
		.amdhsa_ieee_mode 1
		.amdhsa_fp16_overflow 0
		.amdhsa_tg_split 0
		.amdhsa_exception_fp_ieee_invalid_op 0
		.amdhsa_exception_fp_denorm_src 0
		.amdhsa_exception_fp_ieee_div_zero 0
		.amdhsa_exception_fp_ieee_overflow 0
		.amdhsa_exception_fp_ieee_underflow 0
		.amdhsa_exception_fp_ieee_inexact 0
		.amdhsa_exception_int_div_zero 0
	.end_amdhsa_kernel
	.section	.text._ZN7rocprim17ROCPRIM_304000_NS6detail25onesweep_iteration_kernelINS1_34wrapped_radix_sort_onesweep_configINS0_14default_configEdN2at4cuda3cub6detail10OpaqueTypeILi8EEEEELb0EPdSC_PSA_SD_mNS0_19identity_decomposerEEEvT1_T2_T3_T4_jPT5_SK_PNS1_23onesweep_lookback_stateET6_jjj,"axG",@progbits,_ZN7rocprim17ROCPRIM_304000_NS6detail25onesweep_iteration_kernelINS1_34wrapped_radix_sort_onesweep_configINS0_14default_configEdN2at4cuda3cub6detail10OpaqueTypeILi8EEEEELb0EPdSC_PSA_SD_mNS0_19identity_decomposerEEEvT1_T2_T3_T4_jPT5_SK_PNS1_23onesweep_lookback_stateET6_jjj,comdat
.Lfunc_end157:
	.size	_ZN7rocprim17ROCPRIM_304000_NS6detail25onesweep_iteration_kernelINS1_34wrapped_radix_sort_onesweep_configINS0_14default_configEdN2at4cuda3cub6detail10OpaqueTypeILi8EEEEELb0EPdSC_PSA_SD_mNS0_19identity_decomposerEEEvT1_T2_T3_T4_jPT5_SK_PNS1_23onesweep_lookback_stateET6_jjj, .Lfunc_end157-_ZN7rocprim17ROCPRIM_304000_NS6detail25onesweep_iteration_kernelINS1_34wrapped_radix_sort_onesweep_configINS0_14default_configEdN2at4cuda3cub6detail10OpaqueTypeILi8EEEEELb0EPdSC_PSA_SD_mNS0_19identity_decomposerEEEvT1_T2_T3_T4_jPT5_SK_PNS1_23onesweep_lookback_stateET6_jjj
                                        ; -- End function
	.section	.AMDGPU.csdata,"",@progbits
; Kernel info:
; codeLenInByte = 12684
; NumSgprs: 58
; NumVgprs: 54
; NumAgprs: 0
; TotalNumVgprs: 54
; ScratchSize: 0
; MemoryBound: 0
; FloatMode: 240
; IeeeMode: 1
; LDSByteSize: 51200 bytes/workgroup (compile time only)
; SGPRBlocks: 7
; VGPRBlocks: 6
; NumSGPRsForWavesPerEU: 58
; NumVGPRsForWavesPerEU: 54
; AccumOffset: 56
; Occupancy: 4
; WaveLimiterHint : 1
; COMPUTE_PGM_RSRC2:SCRATCH_EN: 0
; COMPUTE_PGM_RSRC2:USER_SGPR: 6
; COMPUTE_PGM_RSRC2:TRAP_HANDLER: 0
; COMPUTE_PGM_RSRC2:TGID_X_EN: 1
; COMPUTE_PGM_RSRC2:TGID_Y_EN: 0
; COMPUTE_PGM_RSRC2:TGID_Z_EN: 0
; COMPUTE_PGM_RSRC2:TIDIG_COMP_CNT: 2
; COMPUTE_PGM_RSRC3_GFX90A:ACCUM_OFFSET: 13
; COMPUTE_PGM_RSRC3_GFX90A:TG_SPLIT: 0
	.section	.text._ZN7rocprim17ROCPRIM_304000_NS6detail28radix_sort_block_sort_kernelINS1_36wrapped_radix_sort_block_sort_configINS0_13kernel_configILj256ELj4ELj4294967295EEEbN2at4cuda3cub6detail10OpaqueTypeILi8EEEEELb1EPKbPbPKSB_PSB_NS0_19identity_decomposerEEEvT1_T2_T3_T4_jT5_jj,"axG",@progbits,_ZN7rocprim17ROCPRIM_304000_NS6detail28radix_sort_block_sort_kernelINS1_36wrapped_radix_sort_block_sort_configINS0_13kernel_configILj256ELj4ELj4294967295EEEbN2at4cuda3cub6detail10OpaqueTypeILi8EEEEELb1EPKbPbPKSB_PSB_NS0_19identity_decomposerEEEvT1_T2_T3_T4_jT5_jj,comdat
	.protected	_ZN7rocprim17ROCPRIM_304000_NS6detail28radix_sort_block_sort_kernelINS1_36wrapped_radix_sort_block_sort_configINS0_13kernel_configILj256ELj4ELj4294967295EEEbN2at4cuda3cub6detail10OpaqueTypeILi8EEEEELb1EPKbPbPKSB_PSB_NS0_19identity_decomposerEEEvT1_T2_T3_T4_jT5_jj ; -- Begin function _ZN7rocprim17ROCPRIM_304000_NS6detail28radix_sort_block_sort_kernelINS1_36wrapped_radix_sort_block_sort_configINS0_13kernel_configILj256ELj4ELj4294967295EEEbN2at4cuda3cub6detail10OpaqueTypeILi8EEEEELb1EPKbPbPKSB_PSB_NS0_19identity_decomposerEEEvT1_T2_T3_T4_jT5_jj
	.globl	_ZN7rocprim17ROCPRIM_304000_NS6detail28radix_sort_block_sort_kernelINS1_36wrapped_radix_sort_block_sort_configINS0_13kernel_configILj256ELj4ELj4294967295EEEbN2at4cuda3cub6detail10OpaqueTypeILi8EEEEELb1EPKbPbPKSB_PSB_NS0_19identity_decomposerEEEvT1_T2_T3_T4_jT5_jj
	.p2align	8
	.type	_ZN7rocprim17ROCPRIM_304000_NS6detail28radix_sort_block_sort_kernelINS1_36wrapped_radix_sort_block_sort_configINS0_13kernel_configILj256ELj4ELj4294967295EEEbN2at4cuda3cub6detail10OpaqueTypeILi8EEEEELb1EPKbPbPKSB_PSB_NS0_19identity_decomposerEEEvT1_T2_T3_T4_jT5_jj,@function
_ZN7rocprim17ROCPRIM_304000_NS6detail28radix_sort_block_sort_kernelINS1_36wrapped_radix_sort_block_sort_configINS0_13kernel_configILj256ELj4ELj4294967295EEEbN2at4cuda3cub6detail10OpaqueTypeILi8EEEEELb1EPKbPbPKSB_PSB_NS0_19identity_decomposerEEEvT1_T2_T3_T4_jT5_jj: ; @_ZN7rocprim17ROCPRIM_304000_NS6detail28radix_sort_block_sort_kernelINS1_36wrapped_radix_sort_block_sort_configINS0_13kernel_configILj256ELj4ELj4294967295EEEbN2at4cuda3cub6detail10OpaqueTypeILi8EEEEELb1EPKbPbPKSB_PSB_NS0_19identity_decomposerEEEvT1_T2_T3_T4_jT5_jj
; %bb.0:
	s_load_dword s2, s[4:5], 0x20
	s_load_dwordx8 s[36:43], s[4:5], 0x0
	s_lshl_b32 s28, s6, 10
	v_mbcnt_lo_u32_b32 v1, -1, 0
	v_and_b32_e32 v8, 0x3ff, v0
	s_waitcnt lgkmcnt(0)
	s_lshr_b32 s0, s2, 10
	s_cmp_lg_u32 s6, s0
	s_cselect_b64 s[30:31], -1, 0
	s_add_u32 s1, s36, s28
	s_addc_u32 s3, s37, 0
	v_mbcnt_hi_u32_b32 v2, -1, v1
	v_lshlrev_b32_e32 v1, 2, v8
	v_mov_b32_e32 v3, s3
	v_add_co_u32_e32 v4, vcc, s1, v2
	v_and_b32_e32 v6, 0x300, v1
	v_addc_co_u32_e32 v3, vcc, 0, v3, vcc
	v_add_co_u32_e32 v4, vcc, v4, v6
	s_mov_b32 s29, 0
	s_cmp_eq_u32 s6, s0
	v_addc_co_u32_e32 v5, vcc, 0, v3, vcc
	v_lshlrev_b32_e32 v10, 3, v2
	v_lshlrev_b32_e32 v7, 3, v6
	v_add_u32_e32 v3, v2, v6
	s_cbranch_scc1 .LBB158_2
; %bb.1:
	s_lshl_b64 s[0:1], s[28:29], 3
	s_add_u32 s0, s40, s0
	s_addc_u32 s1, s41, s1
	v_mov_b32_e32 v12, s1
	v_add_co_u32_e32 v13, vcc, s0, v10
	v_addc_co_u32_e32 v16, vcc, 0, v12, vcc
	v_add_co_u32_e32 v12, vcc, v13, v7
	global_load_ubyte v9, v[4:5], off
	global_load_ubyte v11, v[4:5], off offset:64
	global_load_ubyte v14, v[4:5], off offset:128
	global_load_ubyte v15, v[4:5], off offset:192
	v_addc_co_u32_e32 v13, vcc, 0, v16, vcc
	global_load_dwordx2 v[18:19], v[12:13], off
	global_load_dwordx2 v[20:21], v[12:13], off offset:512
	global_load_dwordx2 v[22:23], v[12:13], off offset:1024
	;; [unrolled: 1-line block ×3, first 2 shown]
	v_add_u32_e32 v30, v2, v6
	v_add_u32_e32 v27, 0x80, v30
	;; [unrolled: 1-line block ×3, first 2 shown]
	s_waitcnt vmcnt(6)
	v_lshlrev_b16_e32 v6, 8, v11
	v_or_b32_e32 v6, v9, v6
	s_waitcnt vmcnt(4)
	v_lshlrev_b16_e32 v11, 8, v15
	v_or_b32_sdwa v9, v14, v11 dst_sel:WORD_1 dst_unused:UNUSED_PAD src0_sel:DWORD src1_sel:DWORD
	v_or_b32_sdwa v6, v6, v9 dst_sel:DWORD dst_unused:UNUSED_PAD src0_sel:WORD_0 src1_sel:DWORD
	v_add_u32_e32 v9, 64, v30
	s_sub_i32 s33, s2, s28
	s_cbranch_execz .LBB158_3
	s_branch .LBB158_17
.LBB158_2:
                                        ; implicit-def: $vgpr6
                                        ; implicit-def: $vgpr18_vgpr19
                                        ; implicit-def: $vgpr20_vgpr21
                                        ; implicit-def: $vgpr22_vgpr23
                                        ; implicit-def: $vgpr24_vgpr25
                                        ; implicit-def: $vgpr30
                                        ; implicit-def: $vgpr9
                                        ; implicit-def: $vgpr27
                                        ; implicit-def: $vgpr29
	s_sub_i32 s33, s2, s28
.LBB158_3:
	v_cmp_gt_u32_e32 vcc, s33, v3
	v_mov_b32_e32 v6, 0
	s_and_saveexec_b64 s[0:1], vcc
	s_cbranch_execz .LBB158_5
; %bb.4:
	global_load_ubyte v6, v[4:5], off
.LBB158_5:
	s_or_b64 exec, exec, s[0:1]
	v_add_u32_e32 v9, 64, v3
	v_cmp_gt_u32_e64 s[0:1], s33, v9
	s_and_saveexec_b64 s[2:3], s[0:1]
	s_cbranch_execz .LBB158_7
; %bb.6:
	global_load_ubyte v11, v[4:5], off offset:64
	s_waitcnt vmcnt(0)
	v_lshlrev_b16_e32 v11, 8, v11
	v_or_b32_e32 v6, v6, v11
	v_and_b32_e32 v6, 0xffff, v6
.LBB158_7:
	s_or_b64 exec, exec, s[2:3]
	v_add_u32_e32 v27, 0x80, v3
	v_cmp_gt_u32_e64 s[2:3], s33, v27
	s_and_saveexec_b64 s[6:7], s[2:3]
	s_cbranch_execz .LBB158_9
; %bb.8:
	global_load_ubyte v11, v[4:5], off offset:128
	s_waitcnt vmcnt(0)
	v_lshl_or_b32 v6, v11, 16, v6
.LBB158_9:
	s_or_b64 exec, exec, s[6:7]
	v_add_u32_e32 v29, 0xc0, v3
	v_cmp_gt_u32_e64 s[6:7], s33, v29
	s_and_saveexec_b64 s[8:9], s[6:7]
	s_cbranch_execz .LBB158_11
; %bb.10:
	global_load_ubyte v4, v[4:5], off offset:192
	s_mov_b32 s10, 0xffff
	s_waitcnt vmcnt(0)
	v_lshlrev_b16_e32 v4, 8, v4
	v_or_b32_sdwa v4, v6, v4 dst_sel:WORD_1 dst_unused:UNUSED_PAD src0_sel:WORD_1 src1_sel:DWORD
	v_and_or_b32 v6, v6, s10, v4
.LBB158_11:
	s_or_b64 exec, exec, s[8:9]
	s_lshl_b64 s[8:9], s[28:29], 3
	s_add_u32 s8, s40, s8
	s_addc_u32 s9, s41, s9
	v_mov_b32_e32 v4, s9
	v_add_co_u32_e64 v5, s[8:9], s8, v10
	v_addc_co_u32_e64 v10, s[8:9], 0, v4, s[8:9]
	v_add_co_u32_e64 v4, s[8:9], v5, v7
	v_addc_co_u32_e64 v5, s[8:9], 0, v10, s[8:9]
                                        ; implicit-def: $vgpr18_vgpr19
	s_and_saveexec_b64 s[8:9], vcc
	s_cbranch_execnz .LBB158_54
; %bb.12:
	s_or_b64 exec, exec, s[8:9]
                                        ; implicit-def: $vgpr20_vgpr21
	s_and_saveexec_b64 s[8:9], s[0:1]
	s_cbranch_execnz .LBB158_55
.LBB158_13:
	s_or_b64 exec, exec, s[8:9]
                                        ; implicit-def: $vgpr22_vgpr23
	s_and_saveexec_b64 s[0:1], s[2:3]
	s_cbranch_execnz .LBB158_56
.LBB158_14:
	s_or_b64 exec, exec, s[0:1]
                                        ; implicit-def: $vgpr24_vgpr25
	s_and_saveexec_b64 s[0:1], s[6:7]
	s_cbranch_execz .LBB158_16
.LBB158_15:
	global_load_dwordx2 v[24:25], v[4:5], off offset:1536
.LBB158_16:
	s_or_b64 exec, exec, s[0:1]
	v_mov_b32_e32 v30, v3
.LBB158_17:
	v_mov_b32_e32 v3, 1
	s_waitcnt vmcnt(0)
	v_and_b32_sdwa v3, v3, v6 dst_sel:DWORD dst_unused:UNUSED_PAD src0_sel:DWORD src1_sel:BYTE_1
	v_cmp_eq_u32_e32 vcc, 1, v3
	v_and_b32_e32 v3, 0x1000000, v6
	v_cmp_ne_u32_e64 s[0:1], 0, v3
	v_and_b32_e32 v3, 0x10000, v6
	v_cmp_ne_u32_e64 s[2:3], 0, v3
	v_and_b32_e32 v3, 1, v6
	v_cmp_eq_u32_e64 s[6:7], 1, v3
	s_load_dwordx2 s[34:35], s[4:5], 0x28
	s_load_dword s8, s[4:5], 0x3c
	s_xor_b64 s[4:5], s[6:7], -1
	v_cndmask_b32_e64 v3, 0, 1, s[4:5]
	s_xor_b64 s[4:5], vcc, -1
	v_cndmask_b32_e64 v4, 0, 1, s[4:5]
	s_xor_b64 s[0:1], s[0:1], -1
	s_xor_b64 s[2:3], s[2:3], -1
	v_cndmask_b32_e64 v6, 0, 1, s[0:1]
	v_lshlrev_b16_e32 v4, 8, v4
	v_cndmask_b32_e64 v5, 0, 1, s[2:3]
	v_or_b32_e32 v3, v3, v4
	v_lshlrev_b16_e32 v4, 8, v6
	v_or_b32_sdwa v4, v5, v4 dst_sel:WORD_1 dst_unused:UNUSED_PAD src0_sel:DWORD src1_sel:DWORD
	v_or_b32_sdwa v33, v3, v4 dst_sel:DWORD dst_unused:UNUSED_PAD src0_sel:WORD_0 src1_sel:DWORD
	s_waitcnt lgkmcnt(0)
	s_lshr_b32 s0, s8, 16
	v_bfe_u32 v3, v0, 10, 10
	v_bfe_u32 v0, v0, 20, 10
	s_and_b32 s1, s8, 0xffff
	v_mad_u32_u24 v0, v0, s0, v3
	v_mad_u64_u32 v[4:5], s[0:1], v0, s1, v[8:9]
	v_and_b32_e32 v0, 15, v2
	v_cmp_eq_u32_e64 s[0:1], 0, v0
	v_cmp_lt_u32_e64 s[2:3], 1, v0
	v_cmp_lt_u32_e64 s[4:5], 3, v0
	;; [unrolled: 1-line block ×3, first 2 shown]
	v_and_b32_e32 v0, 16, v2
	v_cmp_eq_u32_e64 s[8:9], 0, v0
	v_and_b32_e32 v0, 0x3c0, v8
	v_min_u32_e32 v0, 0xc0, v0
	v_or_b32_e32 v0, 63, v0
	v_lshlrev_b32_e32 v31, 2, v1
	v_cmp_eq_u32_e64 s[12:13], v0, v8
	v_add_u32_e32 v0, -1, v2
	v_and_b32_e32 v1, 64, v2
	v_cmp_lt_i32_e32 vcc, v0, v1
	v_cndmask_b32_e32 v0, v0, v2, vcc
	s_mov_b32 s26, 0
	v_lshlrev_b32_e32 v34, 2, v0
	v_lshrrev_b32_e32 v0, 4, v8
	v_and_b32_e32 v1, 3, v2
	v_lshrrev_b32_e32 v32, 6, v4
	v_cmp_lt_u32_e64 s[10:11], 31, v2
	v_cmp_eq_u32_e64 s[18:19], 0, v2
	v_and_b32_e32 v35, 60, v0
	v_mul_i32_i24_e32 v0, -12, v8
	v_cmp_eq_u32_e64 s[22:23], 0, v1
	v_cmp_lt_u32_e64 s[24:25], 1, v1
	v_mul_lo_u32 v1, v30, 7
	v_mul_lo_u32 v2, v9, 7
	;; [unrolled: 1-line block ×4, first 2 shown]
	s_mov_b32 s27, s26
	s_mov_b32 s40, s26
	;; [unrolled: 1-line block ×3, first 2 shown]
	s_add_i32 s36, s35, s34
	v_cmp_gt_u32_e64 s[14:15], 4, v8
	v_cmp_lt_u32_e64 s[16:17], 63, v8
	v_cmp_eq_u32_e64 s[20:21], 0, v8
	v_add_u32_e32 v36, -4, v35
	v_pk_mov_b32 v[14:15], s[26:27], s[26:27] op_sel:[0,1]
	v_pk_mov_b32 v[16:17], s[40:41], s[40:41] op_sel:[0,1]
	v_add_u32_e32 v37, v31, v0
	v_add_u32_e32 v38, v30, v1
	;; [unrolled: 1-line block ×5, first 2 shown]
	s_branch .LBB158_19
.LBB158_18:                             ;   in Loop: Header=BB158_19 Depth=1
	s_barrier
	ds_write_b8 v28, v33
	ds_write_b8 v26, v44
	;; [unrolled: 1-line block ×4, first 2 shown]
	s_waitcnt lgkmcnt(0)
	s_barrier
	ds_read_u8 v18, v9
	ds_read_u8 v19, v30
	;; [unrolled: 1-line block ×4, first 2 shown]
	s_waitcnt lgkmcnt(0)
	v_lshlrev_b16_e32 v18, 8, v18
	v_or_b32_e32 v18, v19, v18
	v_lshlrev_b16_e32 v19, 8, v20
	v_or_b32_sdwa v19, v21, v19 dst_sel:WORD_1 dst_unused:UNUSED_PAD src0_sel:DWORD src1_sel:DWORD
	v_or_b32_sdwa v33, v18, v19 dst_sel:DWORD dst_unused:UNUSED_PAD src0_sel:WORD_0 src1_sel:DWORD
	v_mad_u64_u32 v[18:19], s[26:27], v28, 7, v[28:29]
	s_barrier
	ds_write_b64 v18, v[12:13]
	v_mad_u64_u32 v[18:19], s[26:27], v26, 7, v[26:27]
	ds_write_b64 v18, v[10:11]
	v_mad_u64_u32 v[18:19], s[26:27], v2, 7, v[2:3]
	;; [unrolled: 2-line block ×3, first 2 shown]
	ds_write_b64 v18, v[4:5]
	s_waitcnt lgkmcnt(0)
	s_barrier
	ds_read_b64 v[18:19], v38
	ds_read_b64 v[20:21], v39
	;; [unrolled: 1-line block ×4, first 2 shown]
	s_add_i32 s35, s35, -8
	s_waitcnt lgkmcnt(0)
	s_barrier
	s_cbranch_execz .LBB158_35
.LBB158_19:                             ; =>This Inner Loop Header: Depth=1
	s_min_u32 s26, s35, 8
	s_lshl_b32 s26, -1, s26
	s_not_b32 s37, s26
	v_lshrrev_b32_sdwa v0, s34, v33 dst_sel:DWORD dst_unused:UNUSED_PAD src0_sel:DWORD src1_sel:BYTE_0
	v_and_b32_e32 v0, s37, v0
	v_lshl_add_u32 v1, v0, 2, v32
	v_cmp_ne_u32_e32 vcc, 0, v0
	v_add_co_u32_e64 v0, s[26:27], -1, v0
	v_pk_mov_b32 v[12:13], v[18:19], v[18:19] op_sel:[0,1]
	v_lshl_add_u32 v18, v1, 2, 16
	v_addc_co_u32_e64 v1, s[26:27], 0, -1, s[26:27]
	v_xor_b32_e32 v0, vcc_lo, v0
	v_xor_b32_e32 v1, vcc_hi, v1
	v_and_b32_e32 v0, exec_lo, v0
	v_and_b32_e32 v1, exec_hi, v1
	v_mbcnt_lo_u32_b32 v2, v0, 0
	v_mbcnt_hi_u32_b32 v19, v1, v2
	v_cmp_eq_u32_e32 vcc, 0, v19
	v_cmp_ne_u64_e64 s[26:27], 0, v[0:1]
	v_pk_mov_b32 v[10:11], v[20:21], v[20:21] op_sel:[0,1]
	v_pk_mov_b32 v[6:7], v[22:23], v[22:23] op_sel:[0,1]
	;; [unrolled: 1-line block ×3, first 2 shown]
	s_and_b64 s[40:41], s[26:27], vcc
	ds_write2_b64 v31, v[14:15], v[16:17] offset0:2 offset1:3
	s_waitcnt lgkmcnt(0)
	s_barrier
	s_waitcnt lgkmcnt(0)
	; wave barrier
	s_and_saveexec_b64 s[26:27], s[40:41]
	s_cbranch_execz .LBB158_21
; %bb.20:                               ;   in Loop: Header=BB158_19 Depth=1
	v_bcnt_u32_b32 v0, v0, 0
	v_bcnt_u32_b32 v0, v1, v0
	ds_write_b32 v18, v0
.LBB158_21:                             ;   in Loop: Header=BB158_19 Depth=1
	s_or_b64 exec, exec, s[26:27]
	v_lshrrev_b32_sdwa v0, s34, v33 dst_sel:DWORD dst_unused:UNUSED_PAD src0_sel:DWORD src1_sel:BYTE_1
	v_and_b32_e32 v0, s37, v0
	v_lshlrev_b32_e32 v1, 2, v0
	v_add_lshl_u32 v1, v1, v32, 2
	v_cmp_ne_u32_e32 vcc, 0, v0
	v_add_co_u32_e64 v0, s[26:27], -1, v0
	; wave barrier
	v_add_u32_e32 v21, 16, v1
	ds_read_b32 v20, v1 offset:16
	v_addc_co_u32_e64 v1, s[26:27], 0, -1, s[26:27]
	v_xor_b32_e32 v0, vcc_lo, v0
	v_xor_b32_e32 v1, vcc_hi, v1
	v_and_b32_e32 v0, exec_lo, v0
	v_and_b32_e32 v1, exec_hi, v1
	v_mbcnt_lo_u32_b32 v2, v0, 0
	v_mbcnt_hi_u32_b32 v22, v1, v2
	v_cmp_eq_u32_e32 vcc, 0, v22
	v_cmp_ne_u64_e64 s[26:27], 0, v[0:1]
	s_and_b64 s[40:41], s[26:27], vcc
	; wave barrier
	s_and_saveexec_b64 s[26:27], s[40:41]
	s_cbranch_execz .LBB158_23
; %bb.22:                               ;   in Loop: Header=BB158_19 Depth=1
	v_bcnt_u32_b32 v0, v0, 0
	v_bcnt_u32_b32 v0, v1, v0
	s_waitcnt lgkmcnt(0)
	v_add_u32_e32 v0, v20, v0
	ds_write_b32 v21, v0
.LBB158_23:                             ;   in Loop: Header=BB158_19 Depth=1
	s_or_b64 exec, exec, s[26:27]
	v_lshrrev_b32_sdwa v0, s34, v33 dst_sel:DWORD dst_unused:UNUSED_PAD src0_sel:DWORD src1_sel:BYTE_2
	v_and_b32_e32 v0, s37, v0
	v_lshlrev_b32_e32 v1, 2, v0
	v_add_lshl_u32 v1, v1, v32, 2
	v_cmp_ne_u32_e32 vcc, 0, v0
	v_add_co_u32_e64 v0, s[26:27], -1, v0
	; wave barrier
	v_add_u32_e32 v24, 16, v1
	ds_read_b32 v23, v1 offset:16
	v_addc_co_u32_e64 v1, s[26:27], 0, -1, s[26:27]
	v_xor_b32_e32 v0, vcc_lo, v0
	v_xor_b32_e32 v1, vcc_hi, v1
	v_and_b32_e32 v0, exec_lo, v0
	v_and_b32_e32 v1, exec_hi, v1
	v_mbcnt_lo_u32_b32 v2, v0, 0
	v_mbcnt_hi_u32_b32 v25, v1, v2
	v_cmp_eq_u32_e32 vcc, 0, v25
	v_cmp_ne_u64_e64 s[26:27], 0, v[0:1]
	s_and_b64 s[40:41], s[26:27], vcc
	; wave barrier
	s_and_saveexec_b64 s[26:27], s[40:41]
	s_cbranch_execz .LBB158_25
; %bb.24:                               ;   in Loop: Header=BB158_19 Depth=1
	v_bcnt_u32_b32 v0, v0, 0
	v_bcnt_u32_b32 v0, v1, v0
	s_waitcnt lgkmcnt(0)
	v_add_u32_e32 v0, v23, v0
	ds_write_b32 v24, v0
.LBB158_25:                             ;   in Loop: Header=BB158_19 Depth=1
	s_or_b64 exec, exec, s[26:27]
	v_lshrrev_b32_e32 v42, 24, v33
	v_lshrrev_b32_e32 v0, s34, v42
	v_and_b32_e32 v0, s37, v0
	v_lshlrev_b32_e32 v1, 2, v0
	v_add_lshl_u32 v1, v1, v32, 2
	v_cmp_ne_u32_e32 vcc, 0, v0
	v_add_co_u32_e64 v0, s[26:27], -1, v0
	; wave barrier
	v_add_u32_e32 v26, 16, v1
	ds_read_b32 v43, v1 offset:16
	v_addc_co_u32_e64 v1, s[26:27], 0, -1, s[26:27]
	v_xor_b32_e32 v0, vcc_lo, v0
	v_xor_b32_e32 v1, vcc_hi, v1
	v_and_b32_e32 v0, exec_lo, v0
	v_and_b32_e32 v1, exec_hi, v1
	v_mbcnt_lo_u32_b32 v2, v0, 0
	v_mbcnt_hi_u32_b32 v45, v1, v2
	v_cmp_eq_u32_e32 vcc, 0, v45
	v_cmp_ne_u64_e64 s[26:27], 0, v[0:1]
	s_and_b64 s[40:41], s[26:27], vcc
	; wave barrier
	s_and_saveexec_b64 s[26:27], s[40:41]
	s_cbranch_execz .LBB158_27
; %bb.26:                               ;   in Loop: Header=BB158_19 Depth=1
	v_bcnt_u32_b32 v0, v0, 0
	v_bcnt_u32_b32 v0, v1, v0
	s_waitcnt lgkmcnt(0)
	v_add_u32_e32 v0, v43, v0
	ds_write_b32 v26, v0
.LBB158_27:                             ;   in Loop: Header=BB158_19 Depth=1
	s_or_b64 exec, exec, s[26:27]
	; wave barrier
	s_waitcnt lgkmcnt(0)
	s_barrier
	ds_read2_b64 v[0:3], v31 offset0:2 offset1:3
	s_waitcnt lgkmcnt(0)
	v_add_u32_e32 v28, v1, v0
	v_add3_u32 v3, v28, v2, v3
	s_nop 1
	v_mov_b32_dpp v28, v3 row_shr:1 row_mask:0xf bank_mask:0xf
	v_cndmask_b32_e64 v28, v28, 0, s[0:1]
	v_add_u32_e32 v3, v28, v3
	s_nop 1
	v_mov_b32_dpp v28, v3 row_shr:2 row_mask:0xf bank_mask:0xf
	v_cndmask_b32_e64 v28, 0, v28, s[2:3]
	v_add_u32_e32 v3, v3, v28
	;; [unrolled: 4-line block ×4, first 2 shown]
	s_nop 1
	v_mov_b32_dpp v28, v3 row_bcast:15 row_mask:0xf bank_mask:0xf
	v_cndmask_b32_e64 v28, v28, 0, s[8:9]
	v_add_u32_e32 v3, v3, v28
	s_nop 1
	v_mov_b32_dpp v28, v3 row_bcast:31 row_mask:0xf bank_mask:0xf
	v_cndmask_b32_e64 v28, 0, v28, s[10:11]
	v_add_u32_e32 v3, v3, v28
	s_and_saveexec_b64 s[26:27], s[12:13]
	s_cbranch_execz .LBB158_29
; %bb.28:                               ;   in Loop: Header=BB158_19 Depth=1
	ds_write_b32 v35, v3
.LBB158_29:                             ;   in Loop: Header=BB158_19 Depth=1
	s_or_b64 exec, exec, s[26:27]
	s_waitcnt lgkmcnt(0)
	s_barrier
	s_and_saveexec_b64 s[26:27], s[14:15]
	s_cbranch_execz .LBB158_31
; %bb.30:                               ;   in Loop: Header=BB158_19 Depth=1
	ds_read_b32 v28, v37
	s_waitcnt lgkmcnt(0)
	s_nop 0
	v_mov_b32_dpp v44, v28 row_shr:1 row_mask:0xf bank_mask:0xf
	v_cndmask_b32_e64 v44, v44, 0, s[22:23]
	v_add_u32_e32 v28, v44, v28
	s_nop 1
	v_mov_b32_dpp v44, v28 row_shr:2 row_mask:0xf bank_mask:0xf
	v_cndmask_b32_e64 v44, 0, v44, s[24:25]
	v_add_u32_e32 v28, v28, v44
	ds_write_b32 v37, v28
.LBB158_31:                             ;   in Loop: Header=BB158_19 Depth=1
	s_or_b64 exec, exec, s[26:27]
	v_mov_b32_e32 v28, 0
	s_waitcnt lgkmcnt(0)
	s_barrier
	s_and_saveexec_b64 s[26:27], s[16:17]
	s_cbranch_execz .LBB158_33
; %bb.32:                               ;   in Loop: Header=BB158_19 Depth=1
	ds_read_b32 v28, v36
.LBB158_33:                             ;   in Loop: Header=BB158_19 Depth=1
	s_or_b64 exec, exec, s[26:27]
	s_waitcnt lgkmcnt(0)
	v_add_u32_e32 v3, v28, v3
	ds_bpermute_b32 v46, v34, v3
	s_add_i32 s34, s34, 8
	v_mov_b32_e32 v3, v33
	v_lshrrev_b32_e32 v44, 8, v33
	s_cmp_ge_u32 s34, s36
	s_waitcnt lgkmcnt(0)
	v_cndmask_b32_e64 v28, v46, v28, s[18:19]
	v_cndmask_b32_e64 v46, v28, 0, s[20:21]
	v_add_u32_e32 v47, v46, v0
	v_add_u32_e32 v0, v47, v1
	;; [unrolled: 1-line block ×3, first 2 shown]
	ds_write2_b64 v31, v[46:47], v[0:1] offset0:2 offset1:3
	s_waitcnt lgkmcnt(0)
	s_barrier
	ds_read_b32 v0, v18
	ds_read_b32 v2, v21
	;; [unrolled: 1-line block ×4, first 2 shown]
	v_lshrrev_b32_e32 v1, 16, v33
	s_waitcnt lgkmcnt(3)
	v_add_u32_e32 v28, v0, v19
	s_waitcnt lgkmcnt(2)
	v_add3_u32 v26, v22, v20, v2
	s_waitcnt lgkmcnt(1)
	v_add3_u32 v2, v25, v23, v18
	;; [unrolled: 2-line block ×3, first 2 shown]
	s_cbranch_scc0 .LBB158_18
; %bb.34:
                                        ; implicit-def: $sgpr34
                                        ; implicit-def: $vgpr33
                                        ; implicit-def: $vgpr18_vgpr19
                                        ; implicit-def: $vgpr20_vgpr21
                                        ; implicit-def: $vgpr22_vgpr23
                                        ; implicit-def: $vgpr24_vgpr25
.LBB158_35:
	v_mad_u64_u32 v[14:15], s[0:1], v28, 7, v[28:29]
	s_barrier
	ds_write_b8 v28, v3
	ds_write_b8 v26, v44
	;; [unrolled: 1-line block ×4, first 2 shown]
	s_waitcnt lgkmcnt(0)
	s_barrier
	ds_read_u8 v9, v8
	ds_read_u8 v16, v8 offset:256
	ds_read_u8 v17, v8 offset:512
	;; [unrolled: 1-line block ×3, first 2 shown]
	s_waitcnt lgkmcnt(0)
	s_barrier
	ds_write_b64 v14, v[12:13]
	v_mad_u64_u32 v[12:13], s[0:1], v26, 7, v[26:27]
	v_mad_u64_u32 v[2:3], s[0:1], v2, 7, v[2:3]
	;; [unrolled: 1-line block ×3, first 2 shown]
	ds_write_b64 v12, v[10:11]
	ds_write_b64 v2, v[6:7]
	;; [unrolled: 1-line block ×3, first 2 shown]
	v_mad_u32_u24 v0, v8, 7, v8
	s_waitcnt lgkmcnt(0)
	s_barrier
	ds_read2st64_b64 v[4:7], v0 offset1:4
	ds_read2st64_b64 v[0:3], v0 offset0:8 offset1:12
	s_add_u32 s0, s38, s28
	s_addc_u32 s1, s39, 0
	v_mov_b32_e32 v11, s1
	v_add_co_u32_e32 v10, vcc, s0, v8
	v_addc_co_u32_e32 v11, vcc, 0, v11, vcc
	v_xor_b32_e32 v15, 1, v9
	v_xor_b32_e32 v14, 1, v16
	;; [unrolled: 1-line block ×4, first 2 shown]
	s_andn2_b64 vcc, exec, s[30:31]
	v_lshlrev_b32_e32 v12, 3, v8
	s_cbranch_vccnz .LBB158_37
; %bb.36:
	s_lshl_b64 s[0:1], s[28:29], 3
	s_add_u32 s0, s42, s0
	s_addc_u32 s1, s43, s1
	v_mov_b32_e32 v16, s1
	v_add_co_u32_e32 v17, vcc, s0, v12
	v_addc_co_u32_e32 v18, vcc, 0, v16, vcc
	v_add_co_u32_e32 v16, vcc, 0x1000, v17
	global_store_byte v[10:11], v15, off
	global_store_byte v[10:11], v14, off offset:256
	global_store_byte v[10:11], v13, off offset:512
	;; [unrolled: 1-line block ×3, first 2 shown]
	s_waitcnt lgkmcnt(1)
	global_store_dwordx2 v12, v[4:5], s[0:1]
	global_store_dwordx2 v12, v[6:7], s[0:1] offset:2048
	v_addc_co_u32_e32 v17, vcc, 0, v18, vcc
	s_mov_b64 s[6:7], -1
	s_waitcnt lgkmcnt(0)
	global_store_dwordx2 v[16:17], v[0:1], off
	s_cbranch_execz .LBB158_38
	s_branch .LBB158_51
.LBB158_37:
	s_mov_b64 s[6:7], 0
.LBB158_38:
	v_cmp_gt_u32_e32 vcc, s33, v8
	s_and_saveexec_b64 s[0:1], vcc
	s_cbranch_execz .LBB158_40
; %bb.39:
	global_store_byte v[10:11], v15, off
.LBB158_40:
	s_or_b64 exec, exec, s[0:1]
	v_add_u32_e32 v15, 0x100, v8
	v_cmp_gt_u32_e64 s[0:1], s33, v15
	s_and_saveexec_b64 s[2:3], s[0:1]
	s_cbranch_execz .LBB158_42
; %bb.41:
	global_store_byte v[10:11], v14, off offset:256
.LBB158_42:
	s_or_b64 exec, exec, s[2:3]
	v_add_u32_e32 v14, 0x200, v8
	v_cmp_gt_u32_e64 s[2:3], s33, v14
	s_and_saveexec_b64 s[4:5], s[2:3]
	s_cbranch_execz .LBB158_44
; %bb.43:
	global_store_byte v[10:11], v13, off offset:512
.LBB158_44:
	;; [unrolled: 8-line block ×3, first 2 shown]
	s_or_b64 exec, exec, s[4:5]
	s_lshl_b64 s[4:5], s[28:29], 3
	s_add_u32 s4, s42, s4
	s_addc_u32 s5, s43, s5
	v_mov_b32_e32 v9, s5
	v_add_co_u32_e64 v8, s[4:5], s4, v12
	v_addc_co_u32_e64 v9, s[4:5], 0, v9, s[4:5]
	s_and_saveexec_b64 s[4:5], vcc
	s_cbranch_execnz .LBB158_57
; %bb.47:
	s_or_b64 exec, exec, s[4:5]
	s_and_saveexec_b64 s[4:5], s[0:1]
	s_cbranch_execnz .LBB158_58
.LBB158_48:
	s_or_b64 exec, exec, s[4:5]
	s_and_saveexec_b64 s[0:1], s[2:3]
	s_cbranch_execz .LBB158_50
.LBB158_49:
	s_waitcnt lgkmcnt(1)
	v_add_co_u32_e32 v4, vcc, 0x1000, v8
	v_addc_co_u32_e32 v5, vcc, 0, v9, vcc
	s_waitcnt lgkmcnt(0)
	global_store_dwordx2 v[4:5], v[0:1], off
.LBB158_50:
	s_or_b64 exec, exec, s[0:1]
.LBB158_51:
	s_and_saveexec_b64 s[0:1], s[6:7]
	s_cbranch_execnz .LBB158_53
; %bb.52:
	s_endpgm
.LBB158_53:
	s_lshl_b64 s[0:1], s[28:29], 3
	s_add_u32 s0, s42, s0
	s_addc_u32 s1, s43, s1
	s_waitcnt lgkmcnt(0)
	v_mov_b32_e32 v0, s1
	v_add_co_u32_e32 v1, vcc, s0, v12
	v_addc_co_u32_e32 v4, vcc, 0, v0, vcc
	v_add_co_u32_e32 v0, vcc, 0x1000, v1
	v_addc_co_u32_e32 v1, vcc, 0, v4, vcc
	global_store_dwordx2 v[0:1], v[2:3], off offset:2048
	s_endpgm
.LBB158_54:
	global_load_dwordx2 v[18:19], v[4:5], off
	s_or_b64 exec, exec, s[8:9]
                                        ; implicit-def: $vgpr20_vgpr21
	s_and_saveexec_b64 s[8:9], s[0:1]
	s_cbranch_execz .LBB158_13
.LBB158_55:
	global_load_dwordx2 v[20:21], v[4:5], off offset:512
	s_or_b64 exec, exec, s[8:9]
                                        ; implicit-def: $vgpr22_vgpr23
	s_and_saveexec_b64 s[0:1], s[2:3]
	s_cbranch_execz .LBB158_14
.LBB158_56:
	global_load_dwordx2 v[22:23], v[4:5], off offset:1024
	s_or_b64 exec, exec, s[0:1]
                                        ; implicit-def: $vgpr24_vgpr25
	s_and_saveexec_b64 s[0:1], s[6:7]
	s_cbranch_execnz .LBB158_15
	s_branch .LBB158_16
.LBB158_57:
	s_waitcnt lgkmcnt(1)
	global_store_dwordx2 v[8:9], v[4:5], off
	s_or_b64 exec, exec, s[4:5]
	s_and_saveexec_b64 s[4:5], s[0:1]
	s_cbranch_execz .LBB158_48
.LBB158_58:
	s_waitcnt lgkmcnt(1)
	global_store_dwordx2 v[8:9], v[6:7], off offset:2048
	s_or_b64 exec, exec, s[4:5]
	s_and_saveexec_b64 s[0:1], s[2:3]
	s_cbranch_execnz .LBB158_49
	s_branch .LBB158_50
	.section	.rodata,"a",@progbits
	.p2align	6, 0x0
	.amdhsa_kernel _ZN7rocprim17ROCPRIM_304000_NS6detail28radix_sort_block_sort_kernelINS1_36wrapped_radix_sort_block_sort_configINS0_13kernel_configILj256ELj4ELj4294967295EEEbN2at4cuda3cub6detail10OpaqueTypeILi8EEEEELb1EPKbPbPKSB_PSB_NS0_19identity_decomposerEEEvT1_T2_T3_T4_jT5_jj
		.amdhsa_group_segment_fixed_size 8192
		.amdhsa_private_segment_fixed_size 0
		.amdhsa_kernarg_size 304
		.amdhsa_user_sgpr_count 6
		.amdhsa_user_sgpr_private_segment_buffer 1
		.amdhsa_user_sgpr_dispatch_ptr 0
		.amdhsa_user_sgpr_queue_ptr 0
		.amdhsa_user_sgpr_kernarg_segment_ptr 1
		.amdhsa_user_sgpr_dispatch_id 0
		.amdhsa_user_sgpr_flat_scratch_init 0
		.amdhsa_user_sgpr_kernarg_preload_length 0
		.amdhsa_user_sgpr_kernarg_preload_offset 0
		.amdhsa_user_sgpr_private_segment_size 0
		.amdhsa_uses_dynamic_stack 0
		.amdhsa_system_sgpr_private_segment_wavefront_offset 0
		.amdhsa_system_sgpr_workgroup_id_x 1
		.amdhsa_system_sgpr_workgroup_id_y 0
		.amdhsa_system_sgpr_workgroup_id_z 0
		.amdhsa_system_sgpr_workgroup_info 0
		.amdhsa_system_vgpr_workitem_id 2
		.amdhsa_next_free_vgpr 48
		.amdhsa_next_free_sgpr 44
		.amdhsa_accum_offset 48
		.amdhsa_reserve_vcc 1
		.amdhsa_reserve_flat_scratch 0
		.amdhsa_float_round_mode_32 0
		.amdhsa_float_round_mode_16_64 0
		.amdhsa_float_denorm_mode_32 3
		.amdhsa_float_denorm_mode_16_64 3
		.amdhsa_dx10_clamp 1
		.amdhsa_ieee_mode 1
		.amdhsa_fp16_overflow 0
		.amdhsa_tg_split 0
		.amdhsa_exception_fp_ieee_invalid_op 0
		.amdhsa_exception_fp_denorm_src 0
		.amdhsa_exception_fp_ieee_div_zero 0
		.amdhsa_exception_fp_ieee_overflow 0
		.amdhsa_exception_fp_ieee_underflow 0
		.amdhsa_exception_fp_ieee_inexact 0
		.amdhsa_exception_int_div_zero 0
	.end_amdhsa_kernel
	.section	.text._ZN7rocprim17ROCPRIM_304000_NS6detail28radix_sort_block_sort_kernelINS1_36wrapped_radix_sort_block_sort_configINS0_13kernel_configILj256ELj4ELj4294967295EEEbN2at4cuda3cub6detail10OpaqueTypeILi8EEEEELb1EPKbPbPKSB_PSB_NS0_19identity_decomposerEEEvT1_T2_T3_T4_jT5_jj,"axG",@progbits,_ZN7rocprim17ROCPRIM_304000_NS6detail28radix_sort_block_sort_kernelINS1_36wrapped_radix_sort_block_sort_configINS0_13kernel_configILj256ELj4ELj4294967295EEEbN2at4cuda3cub6detail10OpaqueTypeILi8EEEEELb1EPKbPbPKSB_PSB_NS0_19identity_decomposerEEEvT1_T2_T3_T4_jT5_jj,comdat
.Lfunc_end158:
	.size	_ZN7rocprim17ROCPRIM_304000_NS6detail28radix_sort_block_sort_kernelINS1_36wrapped_radix_sort_block_sort_configINS0_13kernel_configILj256ELj4ELj4294967295EEEbN2at4cuda3cub6detail10OpaqueTypeILi8EEEEELb1EPKbPbPKSB_PSB_NS0_19identity_decomposerEEEvT1_T2_T3_T4_jT5_jj, .Lfunc_end158-_ZN7rocprim17ROCPRIM_304000_NS6detail28radix_sort_block_sort_kernelINS1_36wrapped_radix_sort_block_sort_configINS0_13kernel_configILj256ELj4ELj4294967295EEEbN2at4cuda3cub6detail10OpaqueTypeILi8EEEEELb1EPKbPbPKSB_PSB_NS0_19identity_decomposerEEEvT1_T2_T3_T4_jT5_jj
                                        ; -- End function
	.section	.AMDGPU.csdata,"",@progbits
; Kernel info:
; codeLenInByte = 3180
; NumSgprs: 48
; NumVgprs: 48
; NumAgprs: 0
; TotalNumVgprs: 48
; ScratchSize: 0
; MemoryBound: 0
; FloatMode: 240
; IeeeMode: 1
; LDSByteSize: 8192 bytes/workgroup (compile time only)
; SGPRBlocks: 5
; VGPRBlocks: 5
; NumSGPRsForWavesPerEU: 48
; NumVGPRsForWavesPerEU: 48
; AccumOffset: 48
; Occupancy: 8
; WaveLimiterHint : 1
; COMPUTE_PGM_RSRC2:SCRATCH_EN: 0
; COMPUTE_PGM_RSRC2:USER_SGPR: 6
; COMPUTE_PGM_RSRC2:TRAP_HANDLER: 0
; COMPUTE_PGM_RSRC2:TGID_X_EN: 1
; COMPUTE_PGM_RSRC2:TGID_Y_EN: 0
; COMPUTE_PGM_RSRC2:TGID_Z_EN: 0
; COMPUTE_PGM_RSRC2:TIDIG_COMP_CNT: 2
; COMPUTE_PGM_RSRC3_GFX90A:ACCUM_OFFSET: 11
; COMPUTE_PGM_RSRC3_GFX90A:TG_SPLIT: 0
	.section	.text._ZN7rocprim17ROCPRIM_304000_NS6detail39device_merge_sort_compile_time_verifierINS1_36wrapped_merge_sort_block_sort_configINS1_28merge_sort_block_sort_configILj256ELj4ELNS0_20block_sort_algorithmE0EEEbN2at4cuda3cub6detail10OpaqueTypeILi8EEEEENS1_37wrapped_merge_sort_block_merge_configINS0_14default_configEbSC_EEEEvv,"axG",@progbits,_ZN7rocprim17ROCPRIM_304000_NS6detail39device_merge_sort_compile_time_verifierINS1_36wrapped_merge_sort_block_sort_configINS1_28merge_sort_block_sort_configILj256ELj4ELNS0_20block_sort_algorithmE0EEEbN2at4cuda3cub6detail10OpaqueTypeILi8EEEEENS1_37wrapped_merge_sort_block_merge_configINS0_14default_configEbSC_EEEEvv,comdat
	.protected	_ZN7rocprim17ROCPRIM_304000_NS6detail39device_merge_sort_compile_time_verifierINS1_36wrapped_merge_sort_block_sort_configINS1_28merge_sort_block_sort_configILj256ELj4ELNS0_20block_sort_algorithmE0EEEbN2at4cuda3cub6detail10OpaqueTypeILi8EEEEENS1_37wrapped_merge_sort_block_merge_configINS0_14default_configEbSC_EEEEvv ; -- Begin function _ZN7rocprim17ROCPRIM_304000_NS6detail39device_merge_sort_compile_time_verifierINS1_36wrapped_merge_sort_block_sort_configINS1_28merge_sort_block_sort_configILj256ELj4ELNS0_20block_sort_algorithmE0EEEbN2at4cuda3cub6detail10OpaqueTypeILi8EEEEENS1_37wrapped_merge_sort_block_merge_configINS0_14default_configEbSC_EEEEvv
	.globl	_ZN7rocprim17ROCPRIM_304000_NS6detail39device_merge_sort_compile_time_verifierINS1_36wrapped_merge_sort_block_sort_configINS1_28merge_sort_block_sort_configILj256ELj4ELNS0_20block_sort_algorithmE0EEEbN2at4cuda3cub6detail10OpaqueTypeILi8EEEEENS1_37wrapped_merge_sort_block_merge_configINS0_14default_configEbSC_EEEEvv
	.p2align	8
	.type	_ZN7rocprim17ROCPRIM_304000_NS6detail39device_merge_sort_compile_time_verifierINS1_36wrapped_merge_sort_block_sort_configINS1_28merge_sort_block_sort_configILj256ELj4ELNS0_20block_sort_algorithmE0EEEbN2at4cuda3cub6detail10OpaqueTypeILi8EEEEENS1_37wrapped_merge_sort_block_merge_configINS0_14default_configEbSC_EEEEvv,@function
_ZN7rocprim17ROCPRIM_304000_NS6detail39device_merge_sort_compile_time_verifierINS1_36wrapped_merge_sort_block_sort_configINS1_28merge_sort_block_sort_configILj256ELj4ELNS0_20block_sort_algorithmE0EEEbN2at4cuda3cub6detail10OpaqueTypeILi8EEEEENS1_37wrapped_merge_sort_block_merge_configINS0_14default_configEbSC_EEEEvv: ; @_ZN7rocprim17ROCPRIM_304000_NS6detail39device_merge_sort_compile_time_verifierINS1_36wrapped_merge_sort_block_sort_configINS1_28merge_sort_block_sort_configILj256ELj4ELNS0_20block_sort_algorithmE0EEEbN2at4cuda3cub6detail10OpaqueTypeILi8EEEEENS1_37wrapped_merge_sort_block_merge_configINS0_14default_configEbSC_EEEEvv
; %bb.0:
	s_endpgm
	.section	.rodata,"a",@progbits
	.p2align	6, 0x0
	.amdhsa_kernel _ZN7rocprim17ROCPRIM_304000_NS6detail39device_merge_sort_compile_time_verifierINS1_36wrapped_merge_sort_block_sort_configINS1_28merge_sort_block_sort_configILj256ELj4ELNS0_20block_sort_algorithmE0EEEbN2at4cuda3cub6detail10OpaqueTypeILi8EEEEENS1_37wrapped_merge_sort_block_merge_configINS0_14default_configEbSC_EEEEvv
		.amdhsa_group_segment_fixed_size 0
		.amdhsa_private_segment_fixed_size 0
		.amdhsa_kernarg_size 0
		.amdhsa_user_sgpr_count 4
		.amdhsa_user_sgpr_private_segment_buffer 1
		.amdhsa_user_sgpr_dispatch_ptr 0
		.amdhsa_user_sgpr_queue_ptr 0
		.amdhsa_user_sgpr_kernarg_segment_ptr 0
		.amdhsa_user_sgpr_dispatch_id 0
		.amdhsa_user_sgpr_flat_scratch_init 0
		.amdhsa_user_sgpr_kernarg_preload_length 0
		.amdhsa_user_sgpr_kernarg_preload_offset 0
		.amdhsa_user_sgpr_private_segment_size 0
		.amdhsa_uses_dynamic_stack 0
		.amdhsa_system_sgpr_private_segment_wavefront_offset 0
		.amdhsa_system_sgpr_workgroup_id_x 1
		.amdhsa_system_sgpr_workgroup_id_y 0
		.amdhsa_system_sgpr_workgroup_id_z 0
		.amdhsa_system_sgpr_workgroup_info 0
		.amdhsa_system_vgpr_workitem_id 0
		.amdhsa_next_free_vgpr 1
		.amdhsa_next_free_sgpr 0
		.amdhsa_accum_offset 4
		.amdhsa_reserve_vcc 0
		.amdhsa_reserve_flat_scratch 0
		.amdhsa_float_round_mode_32 0
		.amdhsa_float_round_mode_16_64 0
		.amdhsa_float_denorm_mode_32 3
		.amdhsa_float_denorm_mode_16_64 3
		.amdhsa_dx10_clamp 1
		.amdhsa_ieee_mode 1
		.amdhsa_fp16_overflow 0
		.amdhsa_tg_split 0
		.amdhsa_exception_fp_ieee_invalid_op 0
		.amdhsa_exception_fp_denorm_src 0
		.amdhsa_exception_fp_ieee_div_zero 0
		.amdhsa_exception_fp_ieee_overflow 0
		.amdhsa_exception_fp_ieee_underflow 0
		.amdhsa_exception_fp_ieee_inexact 0
		.amdhsa_exception_int_div_zero 0
	.end_amdhsa_kernel
	.section	.text._ZN7rocprim17ROCPRIM_304000_NS6detail39device_merge_sort_compile_time_verifierINS1_36wrapped_merge_sort_block_sort_configINS1_28merge_sort_block_sort_configILj256ELj4ELNS0_20block_sort_algorithmE0EEEbN2at4cuda3cub6detail10OpaqueTypeILi8EEEEENS1_37wrapped_merge_sort_block_merge_configINS0_14default_configEbSC_EEEEvv,"axG",@progbits,_ZN7rocprim17ROCPRIM_304000_NS6detail39device_merge_sort_compile_time_verifierINS1_36wrapped_merge_sort_block_sort_configINS1_28merge_sort_block_sort_configILj256ELj4ELNS0_20block_sort_algorithmE0EEEbN2at4cuda3cub6detail10OpaqueTypeILi8EEEEENS1_37wrapped_merge_sort_block_merge_configINS0_14default_configEbSC_EEEEvv,comdat
.Lfunc_end159:
	.size	_ZN7rocprim17ROCPRIM_304000_NS6detail39device_merge_sort_compile_time_verifierINS1_36wrapped_merge_sort_block_sort_configINS1_28merge_sort_block_sort_configILj256ELj4ELNS0_20block_sort_algorithmE0EEEbN2at4cuda3cub6detail10OpaqueTypeILi8EEEEENS1_37wrapped_merge_sort_block_merge_configINS0_14default_configEbSC_EEEEvv, .Lfunc_end159-_ZN7rocprim17ROCPRIM_304000_NS6detail39device_merge_sort_compile_time_verifierINS1_36wrapped_merge_sort_block_sort_configINS1_28merge_sort_block_sort_configILj256ELj4ELNS0_20block_sort_algorithmE0EEEbN2at4cuda3cub6detail10OpaqueTypeILi8EEEEENS1_37wrapped_merge_sort_block_merge_configINS0_14default_configEbSC_EEEEvv
                                        ; -- End function
	.section	.AMDGPU.csdata,"",@progbits
; Kernel info:
; codeLenInByte = 4
; NumSgprs: 4
; NumVgprs: 0
; NumAgprs: 0
; TotalNumVgprs: 0
; ScratchSize: 0
; MemoryBound: 0
; FloatMode: 240
; IeeeMode: 1
; LDSByteSize: 0 bytes/workgroup (compile time only)
; SGPRBlocks: 0
; VGPRBlocks: 0
; NumSGPRsForWavesPerEU: 4
; NumVGPRsForWavesPerEU: 1
; AccumOffset: 4
; Occupancy: 8
; WaveLimiterHint : 0
; COMPUTE_PGM_RSRC2:SCRATCH_EN: 0
; COMPUTE_PGM_RSRC2:USER_SGPR: 4
; COMPUTE_PGM_RSRC2:TRAP_HANDLER: 0
; COMPUTE_PGM_RSRC2:TGID_X_EN: 1
; COMPUTE_PGM_RSRC2:TGID_Y_EN: 0
; COMPUTE_PGM_RSRC2:TGID_Z_EN: 0
; COMPUTE_PGM_RSRC2:TIDIG_COMP_CNT: 0
; COMPUTE_PGM_RSRC3_GFX90A:ACCUM_OFFSET: 0
; COMPUTE_PGM_RSRC3_GFX90A:TG_SPLIT: 0
	.section	.text._ZN7rocprim17ROCPRIM_304000_NS6detail45device_block_merge_mergepath_partition_kernelINS1_37wrapped_merge_sort_block_merge_configINS0_14default_configEbN2at4cuda3cub6detail10OpaqueTypeILi8EEEEEPbjNS1_19radix_merge_compareILb1ELb0EbNS0_19identity_decomposerEEEEEvT0_T1_jPSH_T2_SH_,"axG",@progbits,_ZN7rocprim17ROCPRIM_304000_NS6detail45device_block_merge_mergepath_partition_kernelINS1_37wrapped_merge_sort_block_merge_configINS0_14default_configEbN2at4cuda3cub6detail10OpaqueTypeILi8EEEEEPbjNS1_19radix_merge_compareILb1ELb0EbNS0_19identity_decomposerEEEEEvT0_T1_jPSH_T2_SH_,comdat
	.protected	_ZN7rocprim17ROCPRIM_304000_NS6detail45device_block_merge_mergepath_partition_kernelINS1_37wrapped_merge_sort_block_merge_configINS0_14default_configEbN2at4cuda3cub6detail10OpaqueTypeILi8EEEEEPbjNS1_19radix_merge_compareILb1ELb0EbNS0_19identity_decomposerEEEEEvT0_T1_jPSH_T2_SH_ ; -- Begin function _ZN7rocprim17ROCPRIM_304000_NS6detail45device_block_merge_mergepath_partition_kernelINS1_37wrapped_merge_sort_block_merge_configINS0_14default_configEbN2at4cuda3cub6detail10OpaqueTypeILi8EEEEEPbjNS1_19radix_merge_compareILb1ELb0EbNS0_19identity_decomposerEEEEEvT0_T1_jPSH_T2_SH_
	.globl	_ZN7rocprim17ROCPRIM_304000_NS6detail45device_block_merge_mergepath_partition_kernelINS1_37wrapped_merge_sort_block_merge_configINS0_14default_configEbN2at4cuda3cub6detail10OpaqueTypeILi8EEEEEPbjNS1_19radix_merge_compareILb1ELb0EbNS0_19identity_decomposerEEEEEvT0_T1_jPSH_T2_SH_
	.p2align	8
	.type	_ZN7rocprim17ROCPRIM_304000_NS6detail45device_block_merge_mergepath_partition_kernelINS1_37wrapped_merge_sort_block_merge_configINS0_14default_configEbN2at4cuda3cub6detail10OpaqueTypeILi8EEEEEPbjNS1_19radix_merge_compareILb1ELb0EbNS0_19identity_decomposerEEEEEvT0_T1_jPSH_T2_SH_,@function
_ZN7rocprim17ROCPRIM_304000_NS6detail45device_block_merge_mergepath_partition_kernelINS1_37wrapped_merge_sort_block_merge_configINS0_14default_configEbN2at4cuda3cub6detail10OpaqueTypeILi8EEEEEPbjNS1_19radix_merge_compareILb1ELb0EbNS0_19identity_decomposerEEEEEvT0_T1_jPSH_T2_SH_: ; @_ZN7rocprim17ROCPRIM_304000_NS6detail45device_block_merge_mergepath_partition_kernelINS1_37wrapped_merge_sort_block_merge_configINS0_14default_configEbN2at4cuda3cub6detail10OpaqueTypeILi8EEEEEPbjNS1_19radix_merge_compareILb1ELb0EbNS0_19identity_decomposerEEEEEvT0_T1_jPSH_T2_SH_
; %bb.0:
	s_load_dwordx2 s[0:1], s[4:5], 0x8
	v_lshl_or_b32 v0, s6, 7, v0
	s_waitcnt lgkmcnt(0)
	v_cmp_gt_u32_e32 vcc, s1, v0
	s_and_saveexec_b64 s[2:3], vcc
	s_cbranch_execz .LBB160_6
; %bb.1:
	s_load_dword s1, s[4:5], 0x1c
	s_waitcnt lgkmcnt(0)
	s_lshr_b32 s2, s1, 9
	s_and_b32 s2, s2, 0x7ffffe
	s_add_i32 s3, s2, -1
	s_sub_i32 s2, 0, s2
	v_and_b32_e32 v1, s2, v0
	v_lshlrev_b32_e32 v3, 10, v1
	v_min_u32_e32 v1, s0, v3
	v_add_u32_e32 v3, s1, v3
	v_min_u32_e32 v7, s0, v3
	v_add_u32_e32 v3, s1, v7
	v_and_b32_e32 v2, s3, v0
	v_min_u32_e32 v4, s0, v3
	v_lshlrev_b32_e32 v2, 10, v2
	v_sub_u32_e32 v3, v4, v1
	v_min_u32_e32 v3, v3, v2
	v_sub_u32_e32 v5, v7, v1
	v_sub_u32_e32 v2, v4, v7
	v_sub_u32_e64 v2, v3, v2 clamp
	v_min_u32_e32 v4, v3, v5
	v_cmp_lt_u32_e32 vcc, v2, v4
	s_and_saveexec_b64 s[0:1], vcc
	s_cbranch_execz .LBB160_5
; %bb.2:
	s_load_dwordx2 s[2:3], s[4:5], 0x0
	s_waitcnt lgkmcnt(0)
	v_mov_b32_e32 v8, s3
	v_add_co_u32_e32 v5, vcc, s2, v1
	v_addc_co_u32_e32 v6, vcc, 0, v8, vcc
	v_add_co_u32_e32 v7, vcc, s2, v7
	v_addc_co_u32_e32 v8, vcc, 0, v8, vcc
	s_mov_b64 s[2:3], 0
.LBB160_3:                              ; =>This Inner Loop Header: Depth=1
	v_add_u32_e32 v9, v4, v2
	v_lshrrev_b32_e32 v9, 1, v9
	v_add_co_u32_e32 v10, vcc, v5, v9
	v_xad_u32 v12, v9, -1, v3
	v_addc_co_u32_e32 v11, vcc, 0, v6, vcc
	v_add_co_u32_e32 v12, vcc, v7, v12
	v_addc_co_u32_e32 v13, vcc, 0, v8, vcc
	global_load_ubyte v14, v[10:11], off
	global_load_ubyte v15, v[12:13], off
	v_add_u32_e32 v10, 1, v9
	s_waitcnt vmcnt(0)
	v_cmp_gt_u16_e32 vcc, v15, v14
	v_cndmask_b32_e32 v4, v4, v9, vcc
	v_cndmask_b32_e32 v2, v10, v2, vcc
	v_cmp_ge_u32_e32 vcc, v2, v4
	s_or_b64 s[2:3], vcc, s[2:3]
	s_andn2_b64 exec, exec, s[2:3]
	s_cbranch_execnz .LBB160_3
; %bb.4:
	s_or_b64 exec, exec, s[2:3]
.LBB160_5:
	s_or_b64 exec, exec, s[0:1]
	s_load_dwordx2 s[0:1], s[4:5], 0x10
	v_add_u32_e32 v2, v2, v1
	v_mov_b32_e32 v1, 0
	v_lshlrev_b64 v[0:1], 2, v[0:1]
	s_waitcnt lgkmcnt(0)
	v_mov_b32_e32 v3, s1
	v_add_co_u32_e32 v0, vcc, s0, v0
	v_addc_co_u32_e32 v1, vcc, v3, v1, vcc
	global_store_dword v[0:1], v2, off
.LBB160_6:
	s_endpgm
	.section	.rodata,"a",@progbits
	.p2align	6, 0x0
	.amdhsa_kernel _ZN7rocprim17ROCPRIM_304000_NS6detail45device_block_merge_mergepath_partition_kernelINS1_37wrapped_merge_sort_block_merge_configINS0_14default_configEbN2at4cuda3cub6detail10OpaqueTypeILi8EEEEEPbjNS1_19radix_merge_compareILb1ELb0EbNS0_19identity_decomposerEEEEEvT0_T1_jPSH_T2_SH_
		.amdhsa_group_segment_fixed_size 0
		.amdhsa_private_segment_fixed_size 0
		.amdhsa_kernarg_size 32
		.amdhsa_user_sgpr_count 6
		.amdhsa_user_sgpr_private_segment_buffer 1
		.amdhsa_user_sgpr_dispatch_ptr 0
		.amdhsa_user_sgpr_queue_ptr 0
		.amdhsa_user_sgpr_kernarg_segment_ptr 1
		.amdhsa_user_sgpr_dispatch_id 0
		.amdhsa_user_sgpr_flat_scratch_init 0
		.amdhsa_user_sgpr_kernarg_preload_length 0
		.amdhsa_user_sgpr_kernarg_preload_offset 0
		.amdhsa_user_sgpr_private_segment_size 0
		.amdhsa_uses_dynamic_stack 0
		.amdhsa_system_sgpr_private_segment_wavefront_offset 0
		.amdhsa_system_sgpr_workgroup_id_x 1
		.amdhsa_system_sgpr_workgroup_id_y 0
		.amdhsa_system_sgpr_workgroup_id_z 0
		.amdhsa_system_sgpr_workgroup_info 0
		.amdhsa_system_vgpr_workitem_id 0
		.amdhsa_next_free_vgpr 16
		.amdhsa_next_free_sgpr 7
		.amdhsa_accum_offset 16
		.amdhsa_reserve_vcc 1
		.amdhsa_reserve_flat_scratch 0
		.amdhsa_float_round_mode_32 0
		.amdhsa_float_round_mode_16_64 0
		.amdhsa_float_denorm_mode_32 3
		.amdhsa_float_denorm_mode_16_64 3
		.amdhsa_dx10_clamp 1
		.amdhsa_ieee_mode 1
		.amdhsa_fp16_overflow 0
		.amdhsa_tg_split 0
		.amdhsa_exception_fp_ieee_invalid_op 0
		.amdhsa_exception_fp_denorm_src 0
		.amdhsa_exception_fp_ieee_div_zero 0
		.amdhsa_exception_fp_ieee_overflow 0
		.amdhsa_exception_fp_ieee_underflow 0
		.amdhsa_exception_fp_ieee_inexact 0
		.amdhsa_exception_int_div_zero 0
	.end_amdhsa_kernel
	.section	.text._ZN7rocprim17ROCPRIM_304000_NS6detail45device_block_merge_mergepath_partition_kernelINS1_37wrapped_merge_sort_block_merge_configINS0_14default_configEbN2at4cuda3cub6detail10OpaqueTypeILi8EEEEEPbjNS1_19radix_merge_compareILb1ELb0EbNS0_19identity_decomposerEEEEEvT0_T1_jPSH_T2_SH_,"axG",@progbits,_ZN7rocprim17ROCPRIM_304000_NS6detail45device_block_merge_mergepath_partition_kernelINS1_37wrapped_merge_sort_block_merge_configINS0_14default_configEbN2at4cuda3cub6detail10OpaqueTypeILi8EEEEEPbjNS1_19radix_merge_compareILb1ELb0EbNS0_19identity_decomposerEEEEEvT0_T1_jPSH_T2_SH_,comdat
.Lfunc_end160:
	.size	_ZN7rocprim17ROCPRIM_304000_NS6detail45device_block_merge_mergepath_partition_kernelINS1_37wrapped_merge_sort_block_merge_configINS0_14default_configEbN2at4cuda3cub6detail10OpaqueTypeILi8EEEEEPbjNS1_19radix_merge_compareILb1ELb0EbNS0_19identity_decomposerEEEEEvT0_T1_jPSH_T2_SH_, .Lfunc_end160-_ZN7rocprim17ROCPRIM_304000_NS6detail45device_block_merge_mergepath_partition_kernelINS1_37wrapped_merge_sort_block_merge_configINS0_14default_configEbN2at4cuda3cub6detail10OpaqueTypeILi8EEEEEPbjNS1_19radix_merge_compareILb1ELb0EbNS0_19identity_decomposerEEEEEvT0_T1_jPSH_T2_SH_
                                        ; -- End function
	.section	.AMDGPU.csdata,"",@progbits
; Kernel info:
; codeLenInByte = 320
; NumSgprs: 11
; NumVgprs: 16
; NumAgprs: 0
; TotalNumVgprs: 16
; ScratchSize: 0
; MemoryBound: 0
; FloatMode: 240
; IeeeMode: 1
; LDSByteSize: 0 bytes/workgroup (compile time only)
; SGPRBlocks: 1
; VGPRBlocks: 1
; NumSGPRsForWavesPerEU: 11
; NumVGPRsForWavesPerEU: 16
; AccumOffset: 16
; Occupancy: 8
; WaveLimiterHint : 0
; COMPUTE_PGM_RSRC2:SCRATCH_EN: 0
; COMPUTE_PGM_RSRC2:USER_SGPR: 6
; COMPUTE_PGM_RSRC2:TRAP_HANDLER: 0
; COMPUTE_PGM_RSRC2:TGID_X_EN: 1
; COMPUTE_PGM_RSRC2:TGID_Y_EN: 0
; COMPUTE_PGM_RSRC2:TGID_Z_EN: 0
; COMPUTE_PGM_RSRC2:TIDIG_COMP_CNT: 0
; COMPUTE_PGM_RSRC3_GFX90A:ACCUM_OFFSET: 3
; COMPUTE_PGM_RSRC3_GFX90A:TG_SPLIT: 0
	.section	.text._ZN7rocprim17ROCPRIM_304000_NS6detail35device_block_merge_mergepath_kernelINS1_37wrapped_merge_sort_block_merge_configINS0_14default_configEbN2at4cuda3cub6detail10OpaqueTypeILi8EEEEEPbSC_PSA_SD_jNS1_19radix_merge_compareILb1ELb0EbNS0_19identity_decomposerEEEEEvT0_T1_T2_T3_T4_SL_jT5_PKSL_NS1_7vsmem_tE,"axG",@progbits,_ZN7rocprim17ROCPRIM_304000_NS6detail35device_block_merge_mergepath_kernelINS1_37wrapped_merge_sort_block_merge_configINS0_14default_configEbN2at4cuda3cub6detail10OpaqueTypeILi8EEEEEPbSC_PSA_SD_jNS1_19radix_merge_compareILb1ELb0EbNS0_19identity_decomposerEEEEEvT0_T1_T2_T3_T4_SL_jT5_PKSL_NS1_7vsmem_tE,comdat
	.protected	_ZN7rocprim17ROCPRIM_304000_NS6detail35device_block_merge_mergepath_kernelINS1_37wrapped_merge_sort_block_merge_configINS0_14default_configEbN2at4cuda3cub6detail10OpaqueTypeILi8EEEEEPbSC_PSA_SD_jNS1_19radix_merge_compareILb1ELb0EbNS0_19identity_decomposerEEEEEvT0_T1_T2_T3_T4_SL_jT5_PKSL_NS1_7vsmem_tE ; -- Begin function _ZN7rocprim17ROCPRIM_304000_NS6detail35device_block_merge_mergepath_kernelINS1_37wrapped_merge_sort_block_merge_configINS0_14default_configEbN2at4cuda3cub6detail10OpaqueTypeILi8EEEEEPbSC_PSA_SD_jNS1_19radix_merge_compareILb1ELb0EbNS0_19identity_decomposerEEEEEvT0_T1_T2_T3_T4_SL_jT5_PKSL_NS1_7vsmem_tE
	.globl	_ZN7rocprim17ROCPRIM_304000_NS6detail35device_block_merge_mergepath_kernelINS1_37wrapped_merge_sort_block_merge_configINS0_14default_configEbN2at4cuda3cub6detail10OpaqueTypeILi8EEEEEPbSC_PSA_SD_jNS1_19radix_merge_compareILb1ELb0EbNS0_19identity_decomposerEEEEEvT0_T1_T2_T3_T4_SL_jT5_PKSL_NS1_7vsmem_tE
	.p2align	8
	.type	_ZN7rocprim17ROCPRIM_304000_NS6detail35device_block_merge_mergepath_kernelINS1_37wrapped_merge_sort_block_merge_configINS0_14default_configEbN2at4cuda3cub6detail10OpaqueTypeILi8EEEEEPbSC_PSA_SD_jNS1_19radix_merge_compareILb1ELb0EbNS0_19identity_decomposerEEEEEvT0_T1_T2_T3_T4_SL_jT5_PKSL_NS1_7vsmem_tE,@function
_ZN7rocprim17ROCPRIM_304000_NS6detail35device_block_merge_mergepath_kernelINS1_37wrapped_merge_sort_block_merge_configINS0_14default_configEbN2at4cuda3cub6detail10OpaqueTypeILi8EEEEEPbSC_PSA_SD_jNS1_19radix_merge_compareILb1ELb0EbNS0_19identity_decomposerEEEEEvT0_T1_T2_T3_T4_SL_jT5_PKSL_NS1_7vsmem_tE: ; @_ZN7rocprim17ROCPRIM_304000_NS6detail35device_block_merge_mergepath_kernelINS1_37wrapped_merge_sort_block_merge_configINS0_14default_configEbN2at4cuda3cub6detail10OpaqueTypeILi8EEEEEPbSC_PSA_SD_jNS1_19radix_merge_compareILb1ELb0EbNS0_19identity_decomposerEEEEEvT0_T1_T2_T3_T4_SL_jT5_PKSL_NS1_7vsmem_tE
; %bb.0:
	s_load_dwordx2 s[24:25], s[4:5], 0x40
	s_load_dwordx4 s[16:19], s[4:5], 0x20
	s_add_u32 s2, s4, 64
	s_addc_u32 s3, s5, 0
	s_waitcnt lgkmcnt(0)
	s_mul_i32 s0, s25, s8
	s_add_i32 s0, s0, s7
	s_mul_i32 s0, s0, s24
	s_add_i32 s0, s0, s6
	s_cmp_ge_u32 s0, s18
	s_cbranch_scc1 .LBB161_75
; %bb.1:
	s_load_dwordx8 s[8:15], s[4:5], 0x0
	s_load_dwordx2 s[20:21], s[4:5], 0x30
	s_lshr_b32 s27, s16, 10
	s_cmp_lg_u32 s0, s27
	s_mov_b32 s1, 0
	s_cselect_b64 s[18:19], -1, 0
	s_lshl_b64 s[4:5], s[0:1], 2
	s_waitcnt lgkmcnt(0)
	s_add_u32 s4, s20, s4
	s_addc_u32 s5, s21, s5
	s_load_dwordx2 s[20:21], s[4:5], 0x0
	s_lshr_b32 s4, s17, 9
	s_and_b32 s4, s4, 0x7ffffe
	s_sub_i32 s4, 0, s4
	s_and_b32 s5, s0, s4
	s_lshl_b32 s7, s5, 10
	s_lshl_b32 s25, s0, 10
	;; [unrolled: 1-line block ×3, first 2 shown]
	s_sub_i32 s22, s25, s7
	s_add_i32 s5, s5, s17
	s_add_i32 s23, s5, s22
	s_waitcnt lgkmcnt(0)
	s_sub_i32 s22, s23, s20
	s_sub_i32 s23, s23, s21
	;; [unrolled: 1-line block ×3, first 2 shown]
	s_min_u32 s22, s16, s22
	s_addk_i32 s23, 0x400
	s_or_b32 s4, s0, s4
	s_min_u32 s7, s16, s5
	s_add_i32 s5, s5, s17
	s_cmp_eq_u32 s4, -1
	s_cselect_b32 s4, s5, s23
	s_cselect_b32 s5, s7, s21
	s_min_u32 s4, s4, s16
	s_sub_i32 s17, s5, s20
	s_sub_i32 s26, s4, s22
	s_add_u32 s4, s8, s20
	s_addc_u32 s5, s9, 0
	s_add_u32 s7, s8, s22
	s_addc_u32 s8, s9, 0
	s_cmp_lt_u32 s6, s24
	v_mov_b32_e32 v1, 0
	s_cselect_b32 s6, 12, 18
	global_load_dword v2, v1, s[2:3] offset:14
	s_add_u32 s2, s2, s6
	s_addc_u32 s3, s3, 0
	global_load_ushort v1, v1, s[2:3]
	s_mov_b32 s23, s1
	s_mov_b32 s21, s1
	s_cmp_eq_u32 s0, s27
	v_cmp_gt_u32_e32 vcc, s17, v0
	s_waitcnt vmcnt(1)
	v_lshrrev_b32_e32 v3, 16, v2
	v_and_b32_e32 v2, 0xffff, v2
	v_mul_lo_u32 v2, v2, v3
	s_waitcnt vmcnt(0)
	v_mul_lo_u32 v2, v2, v1
	v_add_u32_e32 v4, v2, v0
	v_add_u32_e32 v3, v4, v2
	s_cbranch_scc1 .LBB161_3
; %bb.2:
	v_mov_b32_e32 v1, s17
	v_cndmask_b32_e64 v5, v1, 0, vcc
	v_mov_b32_e32 v12, s7
	v_mov_b32_e32 v13, s4
	v_sub_u32_e32 v5, v0, v5
	v_mov_b32_e32 v6, s8
	v_mov_b32_e32 v7, s5
	v_cndmask_b32_e32 v8, v12, v13, vcc
	v_cndmask_b32_e32 v9, v6, v7, vcc
	v_add_co_u32_e32 v8, vcc, v8, v5
	v_addc_co_u32_e32 v9, vcc, 0, v9, vcc
	v_cmp_gt_u32_e32 vcc, s17, v4
	v_cndmask_b32_e64 v5, v1, 0, vcc
	v_sub_u32_e32 v5, v4, v5
	v_cndmask_b32_e32 v10, v12, v13, vcc
	v_cndmask_b32_e32 v11, v6, v7, vcc
	v_add_co_u32_e32 v10, vcc, v10, v5
	v_addc_co_u32_e32 v11, vcc, 0, v11, vcc
	v_cmp_gt_u32_e32 vcc, s17, v3
	v_cndmask_b32_e64 v1, v1, 0, vcc
	v_sub_u32_e32 v1, v3, v1
	v_cndmask_b32_e32 v5, v6, v7, vcc
	v_cndmask_b32_e32 v6, v12, v13, vcc
	v_add_co_u32_e32 v12, vcc, v6, v1
	v_addc_co_u32_e32 v13, vcc, 0, v5, vcc
	global_load_ubyte v6, v[10:11], off
	global_load_ubyte v7, v[12:13], off
	;; [unrolled: 1-line block ×3, first 2 shown]
	v_add_u32_e32 v5, v3, v2
	s_add_i32 s6, s26, s17
	s_mov_b64 s[0:1], -1
	s_cbranch_execz .LBB161_4
	s_branch .LBB161_11
.LBB161_3:
	s_mov_b64 s[0:1], 0
                                        ; implicit-def: $vgpr5
                                        ; implicit-def: $vgpr1
                                        ; implicit-def: $vgpr6
                                        ; implicit-def: $vgpr7
                                        ; implicit-def: $sgpr6
.LBB161_4:
	s_add_i32 s6, s26, s17
	v_cmp_gt_u32_e32 vcc, s6, v0
                                        ; implicit-def: $vgpr1
	s_and_saveexec_b64 s[0:1], vcc
	s_cbranch_execz .LBB161_6
; %bb.5:
	s_waitcnt vmcnt(0)
	v_mov_b32_e32 v1, s8
	v_mov_b32_e32 v5, s5
	v_cmp_gt_u32_e32 vcc, s17, v0
	v_cndmask_b32_e32 v1, v1, v5, vcc
	v_mov_b32_e32 v5, s7
	v_mov_b32_e32 v6, s4
	v_cndmask_b32_e32 v5, v5, v6, vcc
	v_mov_b32_e32 v6, s17
	v_cndmask_b32_e64 v6, v6, 0, vcc
	v_sub_u32_e32 v6, v0, v6
	v_add_co_u32_e32 v6, vcc, v5, v6
	v_addc_co_u32_e32 v7, vcc, 0, v1, vcc
	global_load_ubyte v1, v[6:7], off
.LBB161_6:
	s_or_b64 exec, exec, s[0:1]
	v_cmp_gt_u32_e32 vcc, s6, v4
                                        ; implicit-def: $vgpr6
	s_and_saveexec_b64 s[0:1], vcc
	s_cbranch_execz .LBB161_8
; %bb.7:
	v_mov_b32_e32 v5, s8
	s_waitcnt vmcnt(2)
	v_mov_b32_e32 v6, s5
	v_cmp_gt_u32_e32 vcc, s17, v4
	v_cndmask_b32_e32 v5, v5, v6, vcc
	v_mov_b32_e32 v6, s7
	s_waitcnt vmcnt(1)
	v_mov_b32_e32 v7, s4
	v_cndmask_b32_e32 v6, v6, v7, vcc
	v_mov_b32_e32 v7, s17
	v_cndmask_b32_e64 v7, v7, 0, vcc
	v_sub_u32_e32 v4, v4, v7
	v_add_co_u32_e32 v4, vcc, v6, v4
	v_addc_co_u32_e32 v5, vcc, 0, v5, vcc
	global_load_ubyte v6, v[4:5], off
.LBB161_8:
	s_or_b64 exec, exec, s[0:1]
	v_cmp_gt_u32_e32 vcc, s6, v3
                                        ; implicit-def: $vgpr7
	s_and_saveexec_b64 s[0:1], vcc
	s_cbranch_execz .LBB161_10
; %bb.9:
	v_mov_b32_e32 v4, s8
	v_mov_b32_e32 v5, s5
	v_cmp_gt_u32_e32 vcc, s17, v3
	v_cndmask_b32_e32 v5, v4, v5, vcc
	v_mov_b32_e32 v4, s7
	s_waitcnt vmcnt(1)
	v_mov_b32_e32 v7, s4
	v_cndmask_b32_e32 v4, v4, v7, vcc
	v_mov_b32_e32 v7, s17
	v_cndmask_b32_e64 v7, v7, 0, vcc
	v_sub_u32_e32 v7, v3, v7
	v_add_co_u32_e32 v4, vcc, v4, v7
	v_addc_co_u32_e32 v5, vcc, 0, v5, vcc
	global_load_ubyte v7, v[4:5], off
.LBB161_10:
	s_or_b64 exec, exec, s[0:1]
	v_add_u32_e32 v5, v3, v2
	v_cmp_gt_u32_e64 s[0:1], s6, v5
.LBB161_11:
	v_mov_b32_e32 v9, s6
                                        ; implicit-def: $vgpr10
	s_and_saveexec_b64 s[2:3], s[0:1]
	s_cbranch_execz .LBB161_13
; %bb.12:
	v_mov_b32_e32 v2, s17
	v_cmp_gt_u32_e32 vcc, s17, v5
	v_cndmask_b32_e64 v2, v2, 0, vcc
	v_mov_b32_e32 v3, s8
	v_mov_b32_e32 v4, s5
	v_sub_u32_e32 v2, v5, v2
	v_cndmask_b32_e32 v3, v3, v4, vcc
	v_mov_b32_e32 v4, s7
	v_mov_b32_e32 v5, s4
	v_cndmask_b32_e32 v4, v4, v5, vcc
	v_add_co_u32_e32 v2, vcc, v4, v2
	v_addc_co_u32_e32 v3, vcc, 0, v3, vcc
	global_load_ubyte v10, v[2:3], off
	v_mov_b32_e32 v9, s6
.LBB161_13:
	s_or_b64 exec, exec, s[2:3]
	v_lshlrev_b32_e32 v8, 2, v0
	v_min_u32_e32 v3, v9, v8
	v_sub_u32_e64 v2, v3, s26 clamp
	v_min_u32_e32 v4, s17, v3
	v_cmp_lt_u32_e32 vcc, v2, v4
	s_waitcnt vmcnt(0)
	ds_write_b8 v0, v1
	ds_write_b8 v0, v6 offset:256
	ds_write_b8 v0, v7 offset:512
	;; [unrolled: 1-line block ×3, first 2 shown]
	s_waitcnt lgkmcnt(0)
	s_barrier
	s_and_saveexec_b64 s[0:1], vcc
	s_cbranch_execz .LBB161_17
; %bb.14:
	v_add_u32_e32 v5, s17, v3
	s_mov_b64 s[2:3], 0
.LBB161_15:                             ; =>This Inner Loop Header: Depth=1
	v_add_u32_e32 v11, v4, v2
	v_lshrrev_b32_e32 v11, 1, v11
	v_xad_u32 v12, v11, -1, v5
	ds_read_u8 v13, v11
	ds_read_u8 v12, v12
	v_add_u32_e32 v14, 1, v11
	s_waitcnt lgkmcnt(0)
	v_cmp_gt_u16_e32 vcc, v12, v13
	v_cndmask_b32_e32 v4, v4, v11, vcc
	v_cndmask_b32_e32 v2, v14, v2, vcc
	v_cmp_ge_u32_e32 vcc, v2, v4
	s_or_b64 s[2:3], vcc, s[2:3]
	s_andn2_b64 exec, exec, s[2:3]
	s_cbranch_execnz .LBB161_15
; %bb.16:
	s_or_b64 exec, exec, s[2:3]
.LBB161_17:
	s_or_b64 exec, exec, s[0:1]
	v_sub_u32_e32 v3, v3, v2
	v_add_u32_e32 v3, s17, v3
	v_cmp_ge_u32_e32 vcc, s17, v2
	v_cmp_le_u32_e64 s[0:1], v3, v9
	s_or_b64 s[0:1], vcc, s[0:1]
                                        ; implicit-def: $vgpr11
                                        ; implicit-def: $vgpr12
                                        ; implicit-def: $vgpr13
                                        ; implicit-def: $vgpr14
	s_and_saveexec_b64 s[6:7], s[0:1]
	s_cbranch_execz .LBB161_23
; %bb.18:
	v_cmp_gt_u32_e32 vcc, s17, v2
                                        ; implicit-def: $vgpr1
	s_and_saveexec_b64 s[0:1], vcc
	s_cbranch_execz .LBB161_20
; %bb.19:
	ds_read_u8 v1, v2
.LBB161_20:
	s_or_b64 exec, exec, s[0:1]
	v_cmp_ge_u32_e64 s[0:1], v3, v9
	v_cmp_lt_u32_e64 s[2:3], v3, v9
                                        ; implicit-def: $vgpr4
	s_and_saveexec_b64 s[4:5], s[2:3]
	s_cbranch_execz .LBB161_22
; %bb.21:
	ds_read_u8 v4, v3
.LBB161_22:
	s_or_b64 exec, exec, s[4:5]
	s_waitcnt lgkmcnt(0)
	v_cmp_le_u16_sdwa s[2:3], v4, v1 src0_sel:BYTE_0 src1_sel:BYTE_0
	s_and_b64 s[2:3], vcc, s[2:3]
	s_or_b64 vcc, s[0:1], s[2:3]
	v_mov_b32_e32 v5, s17
	v_cndmask_b32_e32 v14, v3, v2, vcc
	v_cndmask_b32_e32 v6, v9, v5, vcc
	v_add_u32_e32 v7, 1, v14
	v_add_u32_e32 v6, -1, v6
	v_min_u32_e32 v6, v7, v6
	ds_read_u8 v6, v6
	v_cndmask_b32_e32 v2, v2, v7, vcc
	v_cndmask_b32_e32 v3, v7, v3, vcc
	v_cmp_gt_u32_e64 s[2:3], s17, v2
	v_cmp_ge_u32_e64 s[0:1], v3, v9
	s_waitcnt lgkmcnt(0)
	v_cndmask_b32_e32 v10, v6, v4, vcc
	v_cndmask_b32_e32 v6, v1, v6, vcc
	v_cmp_le_u16_sdwa s[4:5], v10, v6 src0_sel:BYTE_0 src1_sel:BYTE_0
	s_and_b64 s[2:3], s[4:5], s[2:3]
	s_or_b64 s[0:1], s[0:1], s[2:3]
	v_cndmask_b32_e64 v13, v3, v2, s[0:1]
	v_cndmask_b32_e64 v7, v9, v5, s[0:1]
	v_add_u32_e32 v11, 1, v13
	v_add_u32_e32 v7, -1, v7
	v_min_u32_e32 v7, v11, v7
	ds_read_u8 v7, v7
	v_cndmask_b32_e64 v2, v2, v11, s[0:1]
	v_cndmask_b32_e64 v3, v11, v3, s[0:1]
	v_cmp_gt_u32_e64 s[4:5], s17, v2
	v_cmp_ge_u32_e64 s[2:3], v3, v9
	s_waitcnt lgkmcnt(0)
	v_cndmask_b32_e64 v15, v7, v10, s[0:1]
	v_cndmask_b32_e64 v16, v6, v7, s[0:1]
	v_cmp_le_u16_sdwa s[8:9], v15, v16 src0_sel:BYTE_0 src1_sel:BYTE_0
	s_and_b64 s[4:5], s[8:9], s[4:5]
	s_or_b64 s[2:3], s[2:3], s[4:5]
	v_cndmask_b32_e64 v12, v3, v2, s[2:3]
	v_cndmask_b32_e64 v5, v9, v5, s[2:3]
	v_add_u32_e32 v11, 1, v12
	v_add_u32_e32 v5, -1, v5
	v_min_u32_e32 v5, v11, v5
	ds_read_u8 v5, v5
	v_cndmask_b32_e32 v1, v4, v1, vcc
	v_cndmask_b32_e64 v2, v2, v11, s[2:3]
	v_cndmask_b32_e64 v6, v10, v6, s[0:1]
	;; [unrolled: 1-line block ×3, first 2 shown]
	s_waitcnt lgkmcnt(0)
	v_cndmask_b32_e64 v4, v5, v15, s[2:3]
	v_cndmask_b32_e64 v5, v16, v5, s[2:3]
	;; [unrolled: 1-line block ×3, first 2 shown]
	v_cmp_gt_u32_e64 s[0:1], s17, v2
	v_cmp_le_u16_sdwa s[2:3], v4, v5 src0_sel:BYTE_0 src1_sel:BYTE_0
	v_cmp_ge_u32_e32 vcc, v3, v9
	s_and_b64 s[0:1], s[2:3], s[0:1]
	s_or_b64 vcc, vcc, s[0:1]
	v_cndmask_b32_e32 v11, v3, v2, vcc
	v_cndmask_b32_e32 v10, v4, v5, vcc
.LBB161_23:
	s_or_b64 exec, exec, s[6:7]
	s_lshl_b64 s[0:1], s[20:21], 3
	s_add_u32 s24, s12, s0
	s_addc_u32 s27, s13, s1
	s_lshl_b64 s[0:1], s[22:23], 3
	s_add_u32 s28, s12, s0
	v_cndmask_b32_e64 v2, 0, 1, s[18:19]
	s_addc_u32 s29, s13, s1
	v_cmp_gt_u32_e64 s[4:5], s17, v0
	v_cmp_ne_u32_e64 s[0:1], 1, v2
	s_andn2_b64 vcc, exec, s[18:19]
	v_cmp_le_u32_e64 s[2:3], s17, v0
	s_barrier
	s_cbranch_vccnz .LBB161_25
; %bb.24:
	v_subrev_u32_e32 v2, s17, v0
	v_mov_b32_e32 v3, 0
	v_lshlrev_b64 v[4:5], 3, v[2:3]
	v_mov_b32_e32 v2, s29
	v_add_co_u32_e32 v4, vcc, s28, v4
	v_addc_co_u32_e32 v2, vcc, v2, v5, vcc
	v_lshlrev_b32_e32 v20, 3, v0
	v_mov_b32_e32 v5, s27
	v_add_co_u32_e32 v21, vcc, s24, v20
	v_addc_co_u32_e32 v22, vcc, 0, v5, vcc
	v_cndmask_b32_e64 v5, v2, v22, s[4:5]
	v_cndmask_b32_e64 v4, v4, v21, s[4:5]
	v_or_b32_e32 v15, 0x100, v0
	s_movk_i32 s4, 0x800
	v_add_co_u32_e32 v18, vcc, s4, v21
	v_subrev_u32_e32 v2, s17, v15
	v_addc_co_u32_e32 v19, vcc, 0, v22, vcc
	v_lshlrev_b64 v[16:17], 3, v[2:3]
	v_mov_b32_e32 v2, s29
	v_add_co_u32_e32 v16, vcc, s28, v16
	v_addc_co_u32_e32 v2, vcc, v2, v17, vcc
	v_cmp_gt_u32_e32 vcc, s17, v15
	v_or_b32_e32 v15, 0x200, v0
	s_movk_i32 s4, 0x1000
	v_cndmask_b32_e32 v17, v2, v19, vcc
	v_cndmask_b32_e32 v16, v16, v18, vcc
	v_add_co_u32_e32 v23, vcc, s4, v21
	v_subrev_u32_e32 v2, s17, v15
	v_addc_co_u32_e32 v24, vcc, 0, v22, vcc
	v_lshlrev_b64 v[18:19], 3, v[2:3]
	v_mov_b32_e32 v2, s29
	v_add_co_u32_e32 v18, vcc, s28, v18
	v_addc_co_u32_e32 v2, vcc, v2, v19, vcc
	v_cmp_gt_u32_e32 vcc, s17, v15
	global_load_dwordx2 v[4:5], v[4:5], off
	v_cndmask_b32_e32 v19, v2, v24, vcc
	global_load_dwordx2 v[16:17], v[16:17], off
	v_cndmask_b32_e32 v18, v18, v23, vcc
	global_load_dwordx2 v[18:19], v[18:19], off
	v_or_b32_e32 v23, 0x300, v0
	s_movk_i32 s4, 0x1800
	v_add_co_u32_e32 v21, vcc, s4, v21
	v_subrev_u32_e32 v2, s17, v23
	v_addc_co_u32_e32 v22, vcc, 0, v22, vcc
	v_lshlrev_b64 v[2:3], 3, v[2:3]
	v_mov_b32_e32 v24, s29
	v_add_co_u32_e32 v2, vcc, s28, v2
	v_addc_co_u32_e32 v3, vcc, v24, v3, vcc
	v_cmp_gt_u32_e32 vcc, s17, v23
	v_or_b32_e32 v15, 0x1800, v20
	v_cndmask_b32_e32 v3, v3, v22, vcc
	v_cndmask_b32_e32 v2, v2, v21, vcc
	s_mov_b64 s[4:5], -1
	s_waitcnt vmcnt(1)
	ds_write2st64_b64 v20, v[4:5], v[16:17] offset1:4
	s_waitcnt vmcnt(0)
	ds_write_b64 v20, v[18:19] offset:4096
	s_cbranch_execz .LBB161_26
	s_branch .LBB161_47
.LBB161_25:
	s_mov_b64 s[4:5], 0
                                        ; implicit-def: $vgpr15
                                        ; implicit-def: $vgpr2_vgpr3
.LBB161_26:
	s_mov_b64 s[6:7], 0
                                        ; implicit-def: $vgpr2_vgpr3
	s_and_saveexec_b64 s[8:9], s[2:3]
	s_xor_b64 s[2:3], exec, s[8:9]
	s_cbranch_execz .LBB161_51
; %bb.27:
	v_subrev_u32_e32 v4, s17, v0
	v_cmp_gt_u32_e32 vcc, s26, v4
                                        ; implicit-def: $vgpr2_vgpr3
	s_and_saveexec_b64 s[8:9], vcc
	s_xor_b64 s[8:9], exec, s[8:9]
; %bb.28:
	v_mov_b32_e32 v5, 0
	v_lshlrev_b64 v[2:3], 3, v[4:5]
	v_mov_b32_e32 v4, s29
	v_add_co_u32_e32 v2, vcc, s28, v2
	s_mov_b64 s[6:7], exec
	v_addc_co_u32_e32 v3, vcc, v4, v3, vcc
; %bb.29:
	s_or_b64 exec, exec, s[8:9]
	s_and_b64 s[6:7], s[6:7], exec
	s_andn2_saveexec_b64 s[2:3], s[2:3]
	s_cbranch_execnz .LBB161_52
.LBB161_30:
	s_or_b64 exec, exec, s[2:3]
	v_mad_u32_u24 v15, v0, 7, v0
	s_and_saveexec_b64 s[2:3], s[6:7]
	s_cbranch_execz .LBB161_32
.LBB161_31:
	global_load_dwordx2 v[2:3], v[2:3], off
	s_waitcnt vmcnt(0)
	ds_write_b64 v15, v[2:3]
.LBB161_32:
	s_or_b64 exec, exec, s[2:3]
	v_or_b32_e32 v2, 0x100, v0
	v_cmp_le_u32_e32 vcc, s17, v2
	s_mov_b64 s[6:7], -1
	v_pk_mov_b32 v[4:5], s[20:21], s[20:21] op_sel:[0,1]
	s_and_saveexec_b64 s[2:3], vcc
; %bb.33:
	v_subrev_u32_e32 v2, s17, v2
	v_cmp_gt_u32_e32 vcc, s26, v2
	v_pk_mov_b32 v[4:5], s[22:23], s[22:23] op_sel:[0,1]
	s_orn2_b64 s[6:7], vcc, exec
; %bb.34:
	s_or_b64 exec, exec, s[2:3]
	s_and_saveexec_b64 s[2:3], s[6:7]
	s_cbranch_execz .LBB161_36
; %bb.35:
	v_lshlrev_b64 v[4:5], 3, v[4:5]
	v_mov_b32_e32 v3, s13
	v_add_co_u32_e32 v4, vcc, s12, v4
	v_addc_co_u32_e32 v5, vcc, v3, v5, vcc
	v_mov_b32_e32 v3, 0
	v_lshlrev_b64 v[2:3], 3, v[2:3]
	v_add_co_u32_e32 v2, vcc, v4, v2
	v_addc_co_u32_e32 v3, vcc, v5, v3, vcc
	global_load_dwordx2 v[2:3], v[2:3], off
	s_waitcnt vmcnt(0)
	ds_write_b64 v15, v[2:3] offset:2048
.LBB161_36:
	s_or_b64 exec, exec, s[2:3]
	v_or_b32_e32 v2, 0x200, v0
	v_cmp_le_u32_e32 vcc, s17, v2
	s_mov_b64 s[6:7], -1
	v_pk_mov_b32 v[4:5], s[20:21], s[20:21] op_sel:[0,1]
	s_and_saveexec_b64 s[2:3], vcc
; %bb.37:
	v_subrev_u32_e32 v2, s17, v2
	v_cmp_gt_u32_e32 vcc, s26, v2
	v_pk_mov_b32 v[4:5], s[22:23], s[22:23] op_sel:[0,1]
	s_orn2_b64 s[6:7], vcc, exec
; %bb.38:
	s_or_b64 exec, exec, s[2:3]
	s_and_saveexec_b64 s[2:3], s[6:7]
	s_cbranch_execz .LBB161_40
; %bb.39:
	v_lshlrev_b64 v[4:5], 3, v[4:5]
	v_mov_b32_e32 v3, s13
	v_add_co_u32_e32 v4, vcc, s12, v4
	v_addc_co_u32_e32 v5, vcc, v3, v5, vcc
	v_mov_b32_e32 v3, 0
	v_lshlrev_b64 v[2:3], 3, v[2:3]
	v_add_co_u32_e32 v2, vcc, v4, v2
	v_addc_co_u32_e32 v3, vcc, v5, v3, vcc
	global_load_dwordx2 v[2:3], v[2:3], off
	s_waitcnt vmcnt(0)
	ds_write_b64 v15, v[2:3] offset:4096
.LBB161_40:
	s_or_b64 exec, exec, s[2:3]
	v_or_b32_e32 v4, 0x300, v0
	v_cmp_le_u32_e32 vcc, s17, v4
                                        ; implicit-def: $vgpr15
                                        ; implicit-def: $vgpr2_vgpr3
	s_and_saveexec_b64 s[2:3], vcc
	s_xor_b64 s[2:3], exec, s[2:3]
	s_cbranch_execz .LBB161_44
; %bb.41:
	v_subrev_u32_e32 v4, s17, v4
	v_cmp_gt_u32_e32 vcc, s26, v4
	s_mov_b64 s[8:9], s[4:5]
                                        ; implicit-def: $vgpr15
                                        ; implicit-def: $vgpr2_vgpr3
	s_and_saveexec_b64 s[6:7], vcc
; %bb.42:
	v_mul_u32_u24_e32 v2, 7, v0
	s_movk_i32 s8, 0x1800
	v_mov_b32_e32 v5, 0
	v_add3_u32 v15, v0, v2, s8
	v_lshlrev_b64 v[2:3], 3, v[4:5]
	v_mov_b32_e32 v4, s29
	v_add_co_u32_e32 v2, vcc, s28, v2
	v_addc_co_u32_e32 v3, vcc, v4, v3, vcc
	s_or_b64 s[8:9], s[4:5], exec
; %bb.43:
	s_or_b64 exec, exec, s[6:7]
	s_andn2_b64 s[4:5], s[4:5], exec
	s_and_b64 s[6:7], s[8:9], exec
	s_or_b64 s[4:5], s[4:5], s[6:7]
                                        ; implicit-def: $vgpr4
.LBB161_44:
	s_andn2_saveexec_b64 s[2:3], s[2:3]
; %bb.45:
	v_lshlrev_b32_e32 v2, 3, v4
	v_mov_b32_e32 v3, s27
	v_add_co_u32_e32 v2, vcc, s24, v2
	v_mul_u32_u24_e32 v4, 7, v0
	s_movk_i32 s6, 0x1800
	v_addc_co_u32_e32 v3, vcc, 0, v3, vcc
	v_add3_u32 v15, v0, v4, s6
	s_or_b64 s[4:5], s[4:5], exec
; %bb.46:
	s_or_b64 exec, exec, s[2:3]
.LBB161_47:
	s_and_saveexec_b64 s[2:3], s[4:5]
	s_cbranch_execz .LBB161_49
; %bb.48:
	global_load_dwordx2 v[2:3], v[2:3], off
	s_waitcnt vmcnt(0)
	ds_write_b64 v15, v[2:3]
.LBB161_49:
	s_or_b64 exec, exec, s[2:3]
	s_and_b64 vcc, exec, s[0:1]
	v_add_u32_e32 v2, s25, v8
	s_waitcnt lgkmcnt(0)
	s_barrier
	s_cbranch_vccnz .LBB161_53
; %bb.50:
	v_lshlrev_b32_e32 v15, 3, v14
	v_lshlrev_b32_e32 v18, 3, v13
	;; [unrolled: 1-line block ×3, first 2 shown]
	ds_read_b64 v[16:17], v15
	ds_read_b64 v[18:19], v18
	ds_read_b64 v[20:21], v20
	v_mov_b32_e32 v3, 0
	v_lshlrev_b64 v[4:5], 3, v[2:3]
	v_mov_b32_e32 v22, s15
	v_add_co_u32_e32 v4, vcc, s14, v4
	v_addc_co_u32_e32 v5, vcc, v22, v5, vcc
	s_mov_b64 s[0:1], -1
	s_waitcnt lgkmcnt(1)
	global_store_dwordx4 v[4:5], v[16:19], off
	s_waitcnt lgkmcnt(0)
	global_store_dwordx2 v[4:5], v[20:21], off offset:16
	s_cbranch_execz .LBB161_54
	s_branch .LBB161_63
.LBB161_51:
	s_andn2_saveexec_b64 s[2:3], s[2:3]
	s_cbranch_execz .LBB161_30
.LBB161_52:
	v_lshlrev_b32_e32 v2, 3, v0
	v_mov_b32_e32 v3, s27
	v_add_co_u32_e32 v2, vcc, s24, v2
	v_addc_co_u32_e32 v3, vcc, 0, v3, vcc
	s_or_b64 s[6:7], s[6:7], exec
	s_or_b64 exec, exec, s[2:3]
	v_mad_u32_u24 v15, v0, 7, v0
	s_and_saveexec_b64 s[2:3], s[6:7]
	s_cbranch_execnz .LBB161_31
	s_branch .LBB161_32
.LBB161_53:
	s_mov_b64 s[0:1], 0
.LBB161_54:
	v_cmp_lt_u32_e32 vcc, v8, v9
	s_and_saveexec_b64 s[2:3], vcc
	s_cbranch_execz .LBB161_56
; %bb.55:
	v_lshlrev_b32_e32 v14, 3, v14
	ds_read_b64 v[14:15], v14
	v_mov_b32_e32 v3, 0
	v_lshlrev_b64 v[4:5], 3, v[2:3]
	v_mov_b32_e32 v3, s15
	v_add_co_u32_e32 v4, vcc, s14, v4
	v_addc_co_u32_e32 v5, vcc, v3, v5, vcc
	s_waitcnt lgkmcnt(0)
	global_store_dwordx2 v[4:5], v[14:15], off
.LBB161_56:
	s_or_b64 exec, exec, s[2:3]
	v_or_b32_e32 v3, 1, v8
	v_cmp_lt_u32_e32 vcc, v3, v9
	s_and_saveexec_b64 s[2:3], vcc
	s_cbranch_execz .LBB161_58
; %bb.57:
	v_lshlrev_b32_e32 v13, 3, v13
	ds_read_b64 v[14:15], v13
	v_mov_b32_e32 v3, 0
	v_lshlrev_b64 v[4:5], 3, v[2:3]
	v_mov_b32_e32 v3, s15
	v_add_co_u32_e32 v4, vcc, s14, v4
	v_addc_co_u32_e32 v5, vcc, v3, v5, vcc
	s_waitcnt lgkmcnt(0)
	global_store_dwordx2 v[4:5], v[14:15], off offset:8
.LBB161_58:
	s_or_b64 exec, exec, s[2:3]
	v_or_b32_e32 v3, 2, v8
	v_cmp_lt_u32_e32 vcc, v3, v9
	s_and_saveexec_b64 s[2:3], vcc
	s_cbranch_execz .LBB161_60
; %bb.59:
	v_lshlrev_b32_e32 v12, 3, v12
	ds_read_b64 v[12:13], v12
	v_mov_b32_e32 v3, 0
	v_lshlrev_b64 v[4:5], 3, v[2:3]
	v_mov_b32_e32 v3, s15
	v_add_co_u32_e32 v4, vcc, s14, v4
	v_addc_co_u32_e32 v5, vcc, v3, v5, vcc
	s_waitcnt lgkmcnt(0)
	global_store_dwordx2 v[4:5], v[12:13], off offset:16
.LBB161_60:
	s_or_b64 exec, exec, s[2:3]
	v_or_b32_e32 v3, 3, v8
	v_cmp_lt_u32_e32 vcc, v3, v9
	s_and_saveexec_b64 s[2:3], vcc
; %bb.61:
	v_mov_b32_e32 v3, 0
	s_or_b64 s[0:1], s[0:1], exec
; %bb.62:
	s_or_b64 exec, exec, s[2:3]
.LBB161_63:
	s_and_saveexec_b64 s[2:3], s[0:1]
	s_cbranch_execz .LBB161_65
; %bb.64:
	v_lshlrev_b32_e32 v4, 3, v11
	ds_read_b64 v[4:5], v4
	v_lshlrev_b64 v[2:3], 3, v[2:3]
	v_mov_b32_e32 v9, s15
	v_add_co_u32_e32 v2, vcc, s14, v2
	v_addc_co_u32_e32 v3, vcc, v9, v3, vcc
	s_waitcnt lgkmcnt(0)
	global_store_dwordx2 v[2:3], v[4:5], off offset:24
.LBB161_65:
	s_or_b64 exec, exec, s[2:3]
	v_lshlrev_b16_e32 v3, 8, v6
	v_lshrrev_b32_e32 v2, 3, v0
	v_or_b32_sdwa v1, v1, v3 dst_sel:DWORD dst_unused:UNUSED_PAD src0_sel:BYTE_0 src1_sel:DWORD
	v_lshlrev_b16_e32 v3, 8, v10
	v_and_b32_e32 v2, 28, v2
	v_or_b32_sdwa v3, v7, v3 dst_sel:WORD_1 dst_unused:UNUSED_PAD src0_sel:BYTE_0 src1_sel:DWORD
	v_add_u32_e32 v2, v2, v8
	v_or_b32_sdwa v1, v1, v3 dst_sel:DWORD dst_unused:UNUSED_PAD src0_sel:WORD_0 src1_sel:DWORD
	s_barrier
	s_barrier
	ds_write_b32 v2, v1
	v_lshrrev_b32_e32 v1, 5, v0
	v_or_b32_e32 v5, 0x100, v0
	v_and_b32_e32 v6, 4, v1
	v_lshrrev_b32_e32 v1, 5, v5
	v_or_b32_e32 v4, 0x200, v0
	v_and_b32_e32 v7, 12, v1
	v_lshrrev_b32_e32 v1, 5, v4
	s_add_u32 s0, s10, s25
	v_and_b32_e32 v9, 20, v1
	v_or_b32_e32 v1, 0x300, v0
	s_addc_u32 s1, s11, 0
	v_lshrrev_b32_e32 v2, 5, v1
	v_and_b32_e32 v10, 28, v2
	v_mov_b32_e32 v3, s1
	v_add_co_u32_e32 v2, vcc, s0, v0
	v_addc_co_u32_e32 v3, vcc, 0, v3, vcc
	s_and_b64 vcc, exec, s[18:19]
	v_add_u32_e32 v8, v0, v7
	v_add_u32_e32 v9, v0, v9
	;; [unrolled: 1-line block ×3, first 2 shown]
	s_waitcnt lgkmcnt(0)
	s_cbranch_vccz .LBB161_67
; %bb.66:
	v_add_u32_e32 v7, v0, v6
	s_barrier
	ds_read_u8 v11, v7
	ds_read_u8 v12, v8 offset:256
	ds_read_u8 v13, v9 offset:512
	;; [unrolled: 1-line block ×3, first 2 shown]
	s_waitcnt lgkmcnt(3)
	global_store_byte v[2:3], v11, off
	s_waitcnt lgkmcnt(2)
	global_store_byte v[2:3], v12, off offset:256
	s_waitcnt lgkmcnt(1)
	global_store_byte v[2:3], v13, off offset:512
	s_mov_b64 s[0:1], -1
	s_cbranch_execz .LBB161_68
	s_branch .LBB161_73
.LBB161_67:
	s_mov_b64 s[0:1], 0
                                        ; implicit-def: $vgpr7
.LBB161_68:
	s_barrier
	s_waitcnt lgkmcnt(0)
	ds_read_u8 v11, v8 offset:256
	ds_read_u8 v8, v9 offset:512
	;; [unrolled: 1-line block ×3, first 2 shown]
	s_sub_i32 s2, s16, s25
	v_cmp_gt_u32_e32 vcc, s2, v0
	s_and_saveexec_b64 s[0:1], vcc
	s_cbranch_execz .LBB161_76
; %bb.69:
	v_add_u32_e32 v0, v0, v6
	ds_read_u8 v0, v0
	s_waitcnt lgkmcnt(0)
	global_store_byte v[2:3], v0, off
	s_or_b64 exec, exec, s[0:1]
	v_cmp_gt_u32_e32 vcc, s2, v5
	s_and_saveexec_b64 s[0:1], vcc
	s_cbranch_execnz .LBB161_77
.LBB161_70:
	s_or_b64 exec, exec, s[0:1]
	v_cmp_gt_u32_e32 vcc, s2, v4
	s_and_saveexec_b64 s[0:1], vcc
	s_cbranch_execz .LBB161_72
.LBB161_71:
	s_waitcnt lgkmcnt(1)
	global_store_byte v[2:3], v8, off offset:512
.LBB161_72:
	s_or_b64 exec, exec, s[0:1]
	v_cmp_gt_u32_e64 s[0:1], s2, v1
.LBB161_73:
	s_and_saveexec_b64 s[2:3], s[0:1]
	s_cbranch_execz .LBB161_75
; %bb.74:
	s_waitcnt lgkmcnt(0)
	global_store_byte v[2:3], v7, off offset:768
.LBB161_75:
	s_endpgm
.LBB161_76:
	s_or_b64 exec, exec, s[0:1]
	v_cmp_gt_u32_e32 vcc, s2, v5
	s_and_saveexec_b64 s[0:1], vcc
	s_cbranch_execz .LBB161_70
.LBB161_77:
	s_waitcnt lgkmcnt(2)
	global_store_byte v[2:3], v11, off offset:256
	s_or_b64 exec, exec, s[0:1]
	v_cmp_gt_u32_e32 vcc, s2, v4
	s_and_saveexec_b64 s[0:1], vcc
	s_cbranch_execnz .LBB161_71
	s_branch .LBB161_72
	.section	.rodata,"a",@progbits
	.p2align	6, 0x0
	.amdhsa_kernel _ZN7rocprim17ROCPRIM_304000_NS6detail35device_block_merge_mergepath_kernelINS1_37wrapped_merge_sort_block_merge_configINS0_14default_configEbN2at4cuda3cub6detail10OpaqueTypeILi8EEEEEPbSC_PSA_SD_jNS1_19radix_merge_compareILb1ELb0EbNS0_19identity_decomposerEEEEEvT0_T1_T2_T3_T4_SL_jT5_PKSL_NS1_7vsmem_tE
		.amdhsa_group_segment_fixed_size 8208
		.amdhsa_private_segment_fixed_size 0
		.amdhsa_kernarg_size 320
		.amdhsa_user_sgpr_count 6
		.amdhsa_user_sgpr_private_segment_buffer 1
		.amdhsa_user_sgpr_dispatch_ptr 0
		.amdhsa_user_sgpr_queue_ptr 0
		.amdhsa_user_sgpr_kernarg_segment_ptr 1
		.amdhsa_user_sgpr_dispatch_id 0
		.amdhsa_user_sgpr_flat_scratch_init 0
		.amdhsa_user_sgpr_kernarg_preload_length 0
		.amdhsa_user_sgpr_kernarg_preload_offset 0
		.amdhsa_user_sgpr_private_segment_size 0
		.amdhsa_uses_dynamic_stack 0
		.amdhsa_system_sgpr_private_segment_wavefront_offset 0
		.amdhsa_system_sgpr_workgroup_id_x 1
		.amdhsa_system_sgpr_workgroup_id_y 1
		.amdhsa_system_sgpr_workgroup_id_z 1
		.amdhsa_system_sgpr_workgroup_info 0
		.amdhsa_system_vgpr_workitem_id 0
		.amdhsa_next_free_vgpr 25
		.amdhsa_next_free_sgpr 30
		.amdhsa_accum_offset 28
		.amdhsa_reserve_vcc 1
		.amdhsa_reserve_flat_scratch 0
		.amdhsa_float_round_mode_32 0
		.amdhsa_float_round_mode_16_64 0
		.amdhsa_float_denorm_mode_32 3
		.amdhsa_float_denorm_mode_16_64 3
		.amdhsa_dx10_clamp 1
		.amdhsa_ieee_mode 1
		.amdhsa_fp16_overflow 0
		.amdhsa_tg_split 0
		.amdhsa_exception_fp_ieee_invalid_op 0
		.amdhsa_exception_fp_denorm_src 0
		.amdhsa_exception_fp_ieee_div_zero 0
		.amdhsa_exception_fp_ieee_overflow 0
		.amdhsa_exception_fp_ieee_underflow 0
		.amdhsa_exception_fp_ieee_inexact 0
		.amdhsa_exception_int_div_zero 0
	.end_amdhsa_kernel
	.section	.text._ZN7rocprim17ROCPRIM_304000_NS6detail35device_block_merge_mergepath_kernelINS1_37wrapped_merge_sort_block_merge_configINS0_14default_configEbN2at4cuda3cub6detail10OpaqueTypeILi8EEEEEPbSC_PSA_SD_jNS1_19radix_merge_compareILb1ELb0EbNS0_19identity_decomposerEEEEEvT0_T1_T2_T3_T4_SL_jT5_PKSL_NS1_7vsmem_tE,"axG",@progbits,_ZN7rocprim17ROCPRIM_304000_NS6detail35device_block_merge_mergepath_kernelINS1_37wrapped_merge_sort_block_merge_configINS0_14default_configEbN2at4cuda3cub6detail10OpaqueTypeILi8EEEEEPbSC_PSA_SD_jNS1_19radix_merge_compareILb1ELb0EbNS0_19identity_decomposerEEEEEvT0_T1_T2_T3_T4_SL_jT5_PKSL_NS1_7vsmem_tE,comdat
.Lfunc_end161:
	.size	_ZN7rocprim17ROCPRIM_304000_NS6detail35device_block_merge_mergepath_kernelINS1_37wrapped_merge_sort_block_merge_configINS0_14default_configEbN2at4cuda3cub6detail10OpaqueTypeILi8EEEEEPbSC_PSA_SD_jNS1_19radix_merge_compareILb1ELb0EbNS0_19identity_decomposerEEEEEvT0_T1_T2_T3_T4_SL_jT5_PKSL_NS1_7vsmem_tE, .Lfunc_end161-_ZN7rocprim17ROCPRIM_304000_NS6detail35device_block_merge_mergepath_kernelINS1_37wrapped_merge_sort_block_merge_configINS0_14default_configEbN2at4cuda3cub6detail10OpaqueTypeILi8EEEEEPbSC_PSA_SD_jNS1_19radix_merge_compareILb1ELb0EbNS0_19identity_decomposerEEEEEvT0_T1_T2_T3_T4_SL_jT5_PKSL_NS1_7vsmem_tE
                                        ; -- End function
	.section	.AMDGPU.csdata,"",@progbits
; Kernel info:
; codeLenInByte = 3236
; NumSgprs: 34
; NumVgprs: 25
; NumAgprs: 0
; TotalNumVgprs: 25
; ScratchSize: 0
; MemoryBound: 1
; FloatMode: 240
; IeeeMode: 1
; LDSByteSize: 8208 bytes/workgroup (compile time only)
; SGPRBlocks: 4
; VGPRBlocks: 3
; NumSGPRsForWavesPerEU: 34
; NumVGPRsForWavesPerEU: 25
; AccumOffset: 28
; Occupancy: 7
; WaveLimiterHint : 1
; COMPUTE_PGM_RSRC2:SCRATCH_EN: 0
; COMPUTE_PGM_RSRC2:USER_SGPR: 6
; COMPUTE_PGM_RSRC2:TRAP_HANDLER: 0
; COMPUTE_PGM_RSRC2:TGID_X_EN: 1
; COMPUTE_PGM_RSRC2:TGID_Y_EN: 1
; COMPUTE_PGM_RSRC2:TGID_Z_EN: 1
; COMPUTE_PGM_RSRC2:TIDIG_COMP_CNT: 0
; COMPUTE_PGM_RSRC3_GFX90A:ACCUM_OFFSET: 6
; COMPUTE_PGM_RSRC3_GFX90A:TG_SPLIT: 0
	.section	.text._ZN7rocprim17ROCPRIM_304000_NS6detail33device_block_merge_oddeven_kernelINS1_37wrapped_merge_sort_block_merge_configINS0_14default_configEbN2at4cuda3cub6detail10OpaqueTypeILi8EEEEEPbSC_PSA_SD_jNS1_19radix_merge_compareILb1ELb0EbNS0_19identity_decomposerEEEEEvT0_T1_T2_T3_T4_SL_T5_,"axG",@progbits,_ZN7rocprim17ROCPRIM_304000_NS6detail33device_block_merge_oddeven_kernelINS1_37wrapped_merge_sort_block_merge_configINS0_14default_configEbN2at4cuda3cub6detail10OpaqueTypeILi8EEEEEPbSC_PSA_SD_jNS1_19radix_merge_compareILb1ELb0EbNS0_19identity_decomposerEEEEEvT0_T1_T2_T3_T4_SL_T5_,comdat
	.protected	_ZN7rocprim17ROCPRIM_304000_NS6detail33device_block_merge_oddeven_kernelINS1_37wrapped_merge_sort_block_merge_configINS0_14default_configEbN2at4cuda3cub6detail10OpaqueTypeILi8EEEEEPbSC_PSA_SD_jNS1_19radix_merge_compareILb1ELb0EbNS0_19identity_decomposerEEEEEvT0_T1_T2_T3_T4_SL_T5_ ; -- Begin function _ZN7rocprim17ROCPRIM_304000_NS6detail33device_block_merge_oddeven_kernelINS1_37wrapped_merge_sort_block_merge_configINS0_14default_configEbN2at4cuda3cub6detail10OpaqueTypeILi8EEEEEPbSC_PSA_SD_jNS1_19radix_merge_compareILb1ELb0EbNS0_19identity_decomposerEEEEEvT0_T1_T2_T3_T4_SL_T5_
	.globl	_ZN7rocprim17ROCPRIM_304000_NS6detail33device_block_merge_oddeven_kernelINS1_37wrapped_merge_sort_block_merge_configINS0_14default_configEbN2at4cuda3cub6detail10OpaqueTypeILi8EEEEEPbSC_PSA_SD_jNS1_19radix_merge_compareILb1ELb0EbNS0_19identity_decomposerEEEEEvT0_T1_T2_T3_T4_SL_T5_
	.p2align	8
	.type	_ZN7rocprim17ROCPRIM_304000_NS6detail33device_block_merge_oddeven_kernelINS1_37wrapped_merge_sort_block_merge_configINS0_14default_configEbN2at4cuda3cub6detail10OpaqueTypeILi8EEEEEPbSC_PSA_SD_jNS1_19radix_merge_compareILb1ELb0EbNS0_19identity_decomposerEEEEEvT0_T1_T2_T3_T4_SL_T5_,@function
_ZN7rocprim17ROCPRIM_304000_NS6detail33device_block_merge_oddeven_kernelINS1_37wrapped_merge_sort_block_merge_configINS0_14default_configEbN2at4cuda3cub6detail10OpaqueTypeILi8EEEEEPbSC_PSA_SD_jNS1_19radix_merge_compareILb1ELb0EbNS0_19identity_decomposerEEEEEvT0_T1_T2_T3_T4_SL_T5_: ; @_ZN7rocprim17ROCPRIM_304000_NS6detail33device_block_merge_oddeven_kernelINS1_37wrapped_merge_sort_block_merge_configINS0_14default_configEbN2at4cuda3cub6detail10OpaqueTypeILi8EEEEEPbSC_PSA_SD_jNS1_19radix_merge_compareILb1ELb0EbNS0_19identity_decomposerEEEEEvT0_T1_T2_T3_T4_SL_T5_
; %bb.0:
	s_load_dwordx2 s[16:17], s[4:5], 0x20
	s_waitcnt lgkmcnt(0)
	s_lshr_b32 s2, s16, 8
	s_cmp_lg_u32 s6, s2
	s_cselect_b64 s[0:1], -1, 0
	s_cmp_eq_u32 s6, s2
	s_cselect_b64 s[18:19], -1, 0
	s_lshl_b32 s20, s6, 8
	s_sub_i32 s2, s16, s20
	v_cmp_gt_u32_e64 s[2:3], s2, v0
	s_or_b64 s[0:1], s[0:1], s[2:3]
	s_and_saveexec_b64 s[8:9], s[0:1]
	s_cbranch_execz .LBB162_26
; %bb.1:
	s_load_dwordx8 s[8:15], s[4:5], 0x0
	s_mov_b32 s21, 0
	v_lshlrev_b32_e32 v1, 3, v0
	v_add_u32_e32 v4, s20, v0
	s_waitcnt lgkmcnt(0)
	s_add_u32 s0, s8, s20
	s_addc_u32 s1, s9, 0
	s_lshl_b64 s[4:5], s[20:21], 3
	s_add_u32 s4, s12, s4
	s_addc_u32 s5, s13, s5
	global_load_dwordx2 v[2:3], v1, s[4:5]
	global_load_ubyte v6, v0, s[0:1]
	s_lshr_b32 s0, s17, 8
	s_sub_i32 s1, 0, s0
	s_and_b32 s1, s6, s1
	s_and_b32 s0, s1, s0
	s_lshl_b32 s22, s1, 8
	s_sub_i32 s6, 0, s17
	s_cmp_eq_u32 s0, 0
	s_cselect_b64 s[0:1], -1, 0
	s_and_b64 s[4:5], s[0:1], exec
	s_cselect_b32 s21, s17, s6
	s_add_i32 s21, s21, s22
	s_cmp_lt_u32 s21, s16
	s_cbranch_scc1 .LBB162_6
; %bb.2:
	s_and_b64 vcc, exec, s[18:19]
	s_cbranch_vccz .LBB162_7
; %bb.3:
	v_cmp_gt_u32_e32 vcc, s16, v4
	s_mov_b64 s[6:7], 0
	s_mov_b64 s[4:5], 0
                                        ; implicit-def: $vgpr0_vgpr1
	s_and_saveexec_b64 s[12:13], vcc
	s_cbranch_execz .LBB162_5
; %bb.4:
	v_mov_b32_e32 v5, 0
	v_lshlrev_b64 v[0:1], 3, v[4:5]
	v_mov_b32_e32 v5, s15
	v_add_co_u32_e32 v0, vcc, s14, v0
	s_mov_b64 s[4:5], exec
	v_addc_co_u32_e32 v1, vcc, v5, v1, vcc
	s_waitcnt vmcnt(0)
	global_store_byte v4, v6, s[10:11]
.LBB162_5:
	s_or_b64 exec, exec, s[12:13]
	s_and_b64 vcc, exec, s[6:7]
	s_cbranch_vccnz .LBB162_8
	s_branch .LBB162_9
.LBB162_6:
	s_mov_b64 s[4:5], 0
                                        ; implicit-def: $vgpr0_vgpr1
	s_cbranch_execnz .LBB162_10
	s_branch .LBB162_24
.LBB162_7:
	s_mov_b64 s[4:5], 0
                                        ; implicit-def: $vgpr0_vgpr1
	s_cbranch_execz .LBB162_9
.LBB162_8:
	v_mov_b32_e32 v5, 0
	v_lshlrev_b64 v[0:1], 3, v[4:5]
	v_mov_b32_e32 v5, s15
	v_add_co_u32_e32 v0, vcc, s14, v0
	v_addc_co_u32_e32 v1, vcc, v5, v1, vcc
	s_or_b64 s[4:5], s[4:5], exec
	s_waitcnt vmcnt(0)
	global_store_byte v4, v6, s[10:11]
.LBB162_9:
	s_branch .LBB162_24
.LBB162_10:
	s_min_u32 s12, s21, s16
	s_add_i32 s6, s12, s17
	s_min_u32 s13, s6, s16
	s_min_u32 s6, s22, s12
	s_add_i32 s22, s22, s12
	v_subrev_u32_e32 v0, s22, v4
	v_add_u32_e32 v4, s6, v0
	s_and_b64 vcc, exec, s[18:19]
	s_cbranch_vccz .LBB162_18
; %bb.11:
                                        ; implicit-def: $vgpr0_vgpr1
	s_and_saveexec_b64 s[6:7], s[2:3]
	s_cbranch_execz .LBB162_17
; %bb.12:
	s_cmp_ge_u32 s21, s13
	v_mov_b32_e32 v0, s12
	s_cbranch_scc1 .LBB162_16
; %bb.13:
	s_mov_b64 s[2:3], 0
	v_mov_b32_e32 v1, s13
	v_mov_b32_e32 v0, s12
.LBB162_14:                             ; =>This Inner Loop Header: Depth=1
	v_add_u32_e32 v5, v0, v1
	v_lshrrev_b32_e32 v5, 1, v5
	global_load_ubyte v7, v5, s[8:9]
	v_add_u32_e32 v8, 1, v5
	s_waitcnt vmcnt(0)
	v_cmp_gt_u16_sdwa s[16:17], v7, v6 src0_sel:DWORD src1_sel:BYTE_0
	v_cndmask_b32_e64 v9, 0, 1, s[16:17]
	v_cmp_le_u16_sdwa s[16:17], v6, v7 src0_sel:BYTE_0 src1_sel:DWORD
	v_cndmask_b32_e64 v7, 0, 1, s[16:17]
	v_cndmask_b32_e64 v7, v7, v9, s[0:1]
	v_and_b32_e32 v7, 1, v7
	v_cmp_eq_u32_e32 vcc, 1, v7
	v_cndmask_b32_e32 v1, v5, v1, vcc
	v_cndmask_b32_e32 v0, v0, v8, vcc
	v_cmp_ge_u32_e32 vcc, v0, v1
	s_or_b64 s[2:3], vcc, s[2:3]
	s_andn2_b64 exec, exec, s[2:3]
	s_cbranch_execnz .LBB162_14
; %bb.15:
	s_or_b64 exec, exec, s[2:3]
.LBB162_16:
	v_add_u32_e32 v0, v0, v4
	v_mov_b32_e32 v1, 0
	s_waitcnt vmcnt(0)
	global_store_byte v0, v6, s[10:11]
	v_lshlrev_b64 v[0:1], 3, v[0:1]
	v_mov_b32_e32 v5, s15
	v_add_co_u32_e32 v0, vcc, s14, v0
	v_addc_co_u32_e32 v1, vcc, v5, v1, vcc
	s_or_b64 s[4:5], s[4:5], exec
.LBB162_17:
	s_or_b64 exec, exec, s[6:7]
	s_branch .LBB162_24
.LBB162_18:
                                        ; implicit-def: $vgpr0_vgpr1
	s_cbranch_execz .LBB162_24
; %bb.19:
	s_cmp_ge_u32 s21, s13
	v_mov_b32_e32 v0, s12
	s_cbranch_scc1 .LBB162_23
; %bb.20:
	s_mov_b64 s[2:3], 0
	v_mov_b32_e32 v1, s13
	v_mov_b32_e32 v0, s12
.LBB162_21:                             ; =>This Inner Loop Header: Depth=1
	v_add_u32_e32 v5, v0, v1
	v_lshrrev_b32_e32 v5, 1, v5
	global_load_ubyte v7, v5, s[8:9]
	v_add_u32_e32 v8, 1, v5
	s_waitcnt vmcnt(0)
	v_cmp_gt_u16_sdwa s[4:5], v7, v6 src0_sel:DWORD src1_sel:BYTE_0
	v_cndmask_b32_e64 v9, 0, 1, s[4:5]
	v_cmp_le_u16_sdwa s[4:5], v6, v7 src0_sel:BYTE_0 src1_sel:DWORD
	v_cndmask_b32_e64 v7, 0, 1, s[4:5]
	v_cndmask_b32_e64 v7, v7, v9, s[0:1]
	v_and_b32_e32 v7, 1, v7
	v_cmp_eq_u32_e32 vcc, 1, v7
	v_cndmask_b32_e32 v1, v5, v1, vcc
	v_cndmask_b32_e32 v0, v0, v8, vcc
	v_cmp_ge_u32_e32 vcc, v0, v1
	s_or_b64 s[2:3], vcc, s[2:3]
	s_andn2_b64 exec, exec, s[2:3]
	s_cbranch_execnz .LBB162_21
; %bb.22:
	s_or_b64 exec, exec, s[2:3]
.LBB162_23:
	v_add_u32_e32 v0, v0, v4
	v_mov_b32_e32 v1, 0
	s_waitcnt vmcnt(0)
	global_store_byte v0, v6, s[10:11]
	v_lshlrev_b64 v[0:1], 3, v[0:1]
	v_mov_b32_e32 v4, s15
	v_add_co_u32_e32 v0, vcc, s14, v0
	v_addc_co_u32_e32 v1, vcc, v4, v1, vcc
	s_mov_b64 s[4:5], -1
.LBB162_24:
	s_and_b64 exec, exec, s[4:5]
	s_cbranch_execz .LBB162_26
; %bb.25:
	s_waitcnt vmcnt(1)
	global_store_dwordx2 v[0:1], v[2:3], off
.LBB162_26:
	s_endpgm
	.section	.rodata,"a",@progbits
	.p2align	6, 0x0
	.amdhsa_kernel _ZN7rocprim17ROCPRIM_304000_NS6detail33device_block_merge_oddeven_kernelINS1_37wrapped_merge_sort_block_merge_configINS0_14default_configEbN2at4cuda3cub6detail10OpaqueTypeILi8EEEEEPbSC_PSA_SD_jNS1_19radix_merge_compareILb1ELb0EbNS0_19identity_decomposerEEEEEvT0_T1_T2_T3_T4_SL_T5_
		.amdhsa_group_segment_fixed_size 0
		.amdhsa_private_segment_fixed_size 0
		.amdhsa_kernarg_size 44
		.amdhsa_user_sgpr_count 6
		.amdhsa_user_sgpr_private_segment_buffer 1
		.amdhsa_user_sgpr_dispatch_ptr 0
		.amdhsa_user_sgpr_queue_ptr 0
		.amdhsa_user_sgpr_kernarg_segment_ptr 1
		.amdhsa_user_sgpr_dispatch_id 0
		.amdhsa_user_sgpr_flat_scratch_init 0
		.amdhsa_user_sgpr_kernarg_preload_length 0
		.amdhsa_user_sgpr_kernarg_preload_offset 0
		.amdhsa_user_sgpr_private_segment_size 0
		.amdhsa_uses_dynamic_stack 0
		.amdhsa_system_sgpr_private_segment_wavefront_offset 0
		.amdhsa_system_sgpr_workgroup_id_x 1
		.amdhsa_system_sgpr_workgroup_id_y 0
		.amdhsa_system_sgpr_workgroup_id_z 0
		.amdhsa_system_sgpr_workgroup_info 0
		.amdhsa_system_vgpr_workitem_id 0
		.amdhsa_next_free_vgpr 10
		.amdhsa_next_free_sgpr 23
		.amdhsa_accum_offset 12
		.amdhsa_reserve_vcc 1
		.amdhsa_reserve_flat_scratch 0
		.amdhsa_float_round_mode_32 0
		.amdhsa_float_round_mode_16_64 0
		.amdhsa_float_denorm_mode_32 3
		.amdhsa_float_denorm_mode_16_64 3
		.amdhsa_dx10_clamp 1
		.amdhsa_ieee_mode 1
		.amdhsa_fp16_overflow 0
		.amdhsa_tg_split 0
		.amdhsa_exception_fp_ieee_invalid_op 0
		.amdhsa_exception_fp_denorm_src 0
		.amdhsa_exception_fp_ieee_div_zero 0
		.amdhsa_exception_fp_ieee_overflow 0
		.amdhsa_exception_fp_ieee_underflow 0
		.amdhsa_exception_fp_ieee_inexact 0
		.amdhsa_exception_int_div_zero 0
	.end_amdhsa_kernel
	.section	.text._ZN7rocprim17ROCPRIM_304000_NS6detail33device_block_merge_oddeven_kernelINS1_37wrapped_merge_sort_block_merge_configINS0_14default_configEbN2at4cuda3cub6detail10OpaqueTypeILi8EEEEEPbSC_PSA_SD_jNS1_19radix_merge_compareILb1ELb0EbNS0_19identity_decomposerEEEEEvT0_T1_T2_T3_T4_SL_T5_,"axG",@progbits,_ZN7rocprim17ROCPRIM_304000_NS6detail33device_block_merge_oddeven_kernelINS1_37wrapped_merge_sort_block_merge_configINS0_14default_configEbN2at4cuda3cub6detail10OpaqueTypeILi8EEEEEPbSC_PSA_SD_jNS1_19radix_merge_compareILb1ELb0EbNS0_19identity_decomposerEEEEEvT0_T1_T2_T3_T4_SL_T5_,comdat
.Lfunc_end162:
	.size	_ZN7rocprim17ROCPRIM_304000_NS6detail33device_block_merge_oddeven_kernelINS1_37wrapped_merge_sort_block_merge_configINS0_14default_configEbN2at4cuda3cub6detail10OpaqueTypeILi8EEEEEPbSC_PSA_SD_jNS1_19radix_merge_compareILb1ELb0EbNS0_19identity_decomposerEEEEEvT0_T1_T2_T3_T4_SL_T5_, .Lfunc_end162-_ZN7rocprim17ROCPRIM_304000_NS6detail33device_block_merge_oddeven_kernelINS1_37wrapped_merge_sort_block_merge_configINS0_14default_configEbN2at4cuda3cub6detail10OpaqueTypeILi8EEEEEPbSC_PSA_SD_jNS1_19radix_merge_compareILb1ELb0EbNS0_19identity_decomposerEEEEEvT0_T1_T2_T3_T4_SL_T5_
                                        ; -- End function
	.section	.AMDGPU.csdata,"",@progbits
; Kernel info:
; codeLenInByte = 736
; NumSgprs: 27
; NumVgprs: 10
; NumAgprs: 0
; TotalNumVgprs: 10
; ScratchSize: 0
; MemoryBound: 0
; FloatMode: 240
; IeeeMode: 1
; LDSByteSize: 0 bytes/workgroup (compile time only)
; SGPRBlocks: 3
; VGPRBlocks: 1
; NumSGPRsForWavesPerEU: 27
; NumVGPRsForWavesPerEU: 10
; AccumOffset: 12
; Occupancy: 8
; WaveLimiterHint : 0
; COMPUTE_PGM_RSRC2:SCRATCH_EN: 0
; COMPUTE_PGM_RSRC2:USER_SGPR: 6
; COMPUTE_PGM_RSRC2:TRAP_HANDLER: 0
; COMPUTE_PGM_RSRC2:TGID_X_EN: 1
; COMPUTE_PGM_RSRC2:TGID_Y_EN: 0
; COMPUTE_PGM_RSRC2:TGID_Z_EN: 0
; COMPUTE_PGM_RSRC2:TIDIG_COMP_CNT: 0
; COMPUTE_PGM_RSRC3_GFX90A:ACCUM_OFFSET: 2
; COMPUTE_PGM_RSRC3_GFX90A:TG_SPLIT: 0
	.section	.text._ZN7rocprim17ROCPRIM_304000_NS6detail16transform_kernelINS1_24wrapped_transform_configINS0_14default_configEbEEbPbS6_NS0_8identityIbEEEEvT1_mT2_T3_,"axG",@progbits,_ZN7rocprim17ROCPRIM_304000_NS6detail16transform_kernelINS1_24wrapped_transform_configINS0_14default_configEbEEbPbS6_NS0_8identityIbEEEEvT1_mT2_T3_,comdat
	.protected	_ZN7rocprim17ROCPRIM_304000_NS6detail16transform_kernelINS1_24wrapped_transform_configINS0_14default_configEbEEbPbS6_NS0_8identityIbEEEEvT1_mT2_T3_ ; -- Begin function _ZN7rocprim17ROCPRIM_304000_NS6detail16transform_kernelINS1_24wrapped_transform_configINS0_14default_configEbEEbPbS6_NS0_8identityIbEEEEvT1_mT2_T3_
	.globl	_ZN7rocprim17ROCPRIM_304000_NS6detail16transform_kernelINS1_24wrapped_transform_configINS0_14default_configEbEEbPbS6_NS0_8identityIbEEEEvT1_mT2_T3_
	.p2align	8
	.type	_ZN7rocprim17ROCPRIM_304000_NS6detail16transform_kernelINS1_24wrapped_transform_configINS0_14default_configEbEEbPbS6_NS0_8identityIbEEEEvT1_mT2_T3_,@function
_ZN7rocprim17ROCPRIM_304000_NS6detail16transform_kernelINS1_24wrapped_transform_configINS0_14default_configEbEEbPbS6_NS0_8identityIbEEEEvT1_mT2_T3_: ; @_ZN7rocprim17ROCPRIM_304000_NS6detail16transform_kernelINS1_24wrapped_transform_configINS0_14default_configEbEEbPbS6_NS0_8identityIbEEEEvT1_mT2_T3_
; %bb.0:
	s_load_dword s7, s[4:5], 0x20
	s_load_dwordx4 s[0:3], s[4:5], 0x0
	s_load_dwordx2 s[34:35], s[4:5], 0x10
	s_lshl_b32 s33, s6, 10
	s_waitcnt lgkmcnt(0)
	s_add_i32 s7, s7, -1
	s_add_u32 s0, s0, s33
	s_addc_u32 s1, s1, 0
	v_mov_b32_e32 v1, s1
	v_add_co_u32_e32 v2, vcc, s0, v0
	s_cmp_lg_u32 s6, s7
	v_addc_co_u32_e32 v3, vcc, 0, v1, vcc
	s_cbranch_scc0 .LBB163_2
; %bb.1:
	global_load_ubyte v1, v[2:3], off
	global_load_ubyte v5, v[2:3], off offset:64
	global_load_ubyte v8, v[2:3], off offset:128
	;; [unrolled: 1-line block ×15, first 2 shown]
	s_add_u32 s3, s34, s33
	s_addc_u32 s4, s35, 0
	v_mov_b32_e32 v7, s4
	v_add_co_u32_e32 v6, vcc, s3, v0
	v_addc_co_u32_e32 v7, vcc, 0, v7, vcc
	s_mov_b64 s[36:37], -1
	s_waitcnt vmcnt(15)
	global_store_byte v[6:7], v1, off
	s_waitcnt vmcnt(15)
	global_store_byte v[6:7], v5, off offset:64
	s_waitcnt vmcnt(15)
	global_store_byte v[6:7], v8, off offset:128
	s_waitcnt vmcnt(15)
	global_store_byte v[6:7], v9, off offset:192
	s_waitcnt vmcnt(15)
	global_store_byte v[6:7], v10, off offset:256
	s_waitcnt vmcnt(15)
	global_store_byte v[6:7], v11, off offset:320
	s_waitcnt vmcnt(15)
	global_store_byte v[6:7], v12, off offset:384
	s_waitcnt vmcnt(15)
	global_store_byte v[6:7], v13, off offset:448
	s_waitcnt vmcnt(15)
	global_store_byte v[6:7], v14, off offset:512
	s_waitcnt vmcnt(15)
	global_store_byte v[6:7], v15, off offset:576
	s_waitcnt vmcnt(15)
	global_store_byte v[6:7], v16, off offset:640
	s_waitcnt vmcnt(15)
	global_store_byte v[6:7], v17, off offset:704
	s_waitcnt vmcnt(15)
	global_store_byte v[6:7], v18, off offset:768
	s_waitcnt vmcnt(15)
	global_store_byte v[6:7], v19, off offset:832
	s_waitcnt vmcnt(15)
	global_store_byte v[6:7], v20, off offset:896
	s_cbranch_execz .LBB163_3
	s_branch .LBB163_53
.LBB163_2:
	s_mov_b64 s[36:37], 0
                                        ; implicit-def: $vgpr4
.LBB163_3:
	s_sub_i32 s30, s2, s33
	v_cmp_gt_u32_e32 vcc, s30, v0
                                        ; implicit-def: $vgpr1
	s_and_saveexec_b64 s[0:1], vcc
	s_cbranch_execz .LBB163_5
; %bb.4:
	global_load_ubyte v1, v[2:3], off
.LBB163_5:
	s_or_b64 exec, exec, s[0:1]
	s_waitcnt vmcnt(15)
	v_or_b32_e32 v4, 64, v0
	v_cmp_gt_u32_e64 s[0:1], s30, v4
                                        ; implicit-def: $vgpr4
	s_and_saveexec_b64 s[2:3], s[0:1]
	s_cbranch_execz .LBB163_7
; %bb.6:
	global_load_ubyte v4, v[2:3], off offset:64
.LBB163_7:
	s_or_b64 exec, exec, s[2:3]
	v_or_b32_e32 v5, 0x80, v0
	v_cmp_gt_u32_e64 s[2:3], s30, v5
                                        ; implicit-def: $vgpr5
	s_and_saveexec_b64 s[4:5], s[2:3]
	s_cbranch_execz .LBB163_9
; %bb.8:
	global_load_ubyte v5, v[2:3], off offset:128
.LBB163_9:
	s_or_b64 exec, exec, s[4:5]
	v_or_b32_e32 v6, 0xc0, v0
	v_cmp_gt_u32_e64 s[4:5], s30, v6
                                        ; implicit-def: $vgpr6
	s_and_saveexec_b64 s[6:7], s[4:5]
	s_cbranch_execz .LBB163_11
; %bb.10:
	global_load_ubyte v6, v[2:3], off offset:192
.LBB163_11:
	s_or_b64 exec, exec, s[6:7]
	v_or_b32_e32 v7, 0x100, v0
	v_cmp_gt_u32_e64 s[6:7], s30, v7
                                        ; implicit-def: $vgpr7
	s_and_saveexec_b64 s[8:9], s[6:7]
	s_cbranch_execz .LBB163_13
; %bb.12:
	global_load_ubyte v7, v[2:3], off offset:256
.LBB163_13:
	s_or_b64 exec, exec, s[8:9]
	v_or_b32_e32 v8, 0x140, v0
	v_cmp_gt_u32_e64 s[8:9], s30, v8
                                        ; implicit-def: $vgpr8
	s_and_saveexec_b64 s[10:11], s[8:9]
	s_cbranch_execz .LBB163_15
; %bb.14:
	global_load_ubyte v8, v[2:3], off offset:320
.LBB163_15:
	s_or_b64 exec, exec, s[10:11]
	v_or_b32_e32 v9, 0x180, v0
	v_cmp_gt_u32_e64 s[10:11], s30, v9
                                        ; implicit-def: $vgpr9
	s_and_saveexec_b64 s[12:13], s[10:11]
	s_cbranch_execz .LBB163_17
; %bb.16:
	global_load_ubyte v9, v[2:3], off offset:384
.LBB163_17:
	s_or_b64 exec, exec, s[12:13]
	v_or_b32_e32 v10, 0x1c0, v0
	v_cmp_gt_u32_e64 s[12:13], s30, v10
                                        ; implicit-def: $vgpr10
	s_and_saveexec_b64 s[14:15], s[12:13]
	s_cbranch_execz .LBB163_19
; %bb.18:
	global_load_ubyte v10, v[2:3], off offset:448
.LBB163_19:
	s_or_b64 exec, exec, s[14:15]
	v_or_b32_e32 v11, 0x200, v0
	v_cmp_gt_u32_e64 s[14:15], s30, v11
                                        ; implicit-def: $vgpr11
	s_and_saveexec_b64 s[16:17], s[14:15]
	s_cbranch_execz .LBB163_21
; %bb.20:
	global_load_ubyte v11, v[2:3], off offset:512
.LBB163_21:
	s_or_b64 exec, exec, s[16:17]
	v_or_b32_e32 v12, 0x240, v0
	v_cmp_gt_u32_e64 s[16:17], s30, v12
                                        ; implicit-def: $vgpr12
	s_and_saveexec_b64 s[18:19], s[16:17]
	s_cbranch_execz .LBB163_23
; %bb.22:
	global_load_ubyte v12, v[2:3], off offset:576
.LBB163_23:
	s_or_b64 exec, exec, s[18:19]
	v_or_b32_e32 v13, 0x280, v0
	v_cmp_gt_u32_e64 s[18:19], s30, v13
                                        ; implicit-def: $vgpr13
	s_and_saveexec_b64 s[20:21], s[18:19]
	s_cbranch_execz .LBB163_25
; %bb.24:
	global_load_ubyte v13, v[2:3], off offset:640
.LBB163_25:
	s_or_b64 exec, exec, s[20:21]
	v_or_b32_e32 v14, 0x2c0, v0
	v_cmp_gt_u32_e64 s[20:21], s30, v14
                                        ; implicit-def: $vgpr14
	s_and_saveexec_b64 s[22:23], s[20:21]
	s_cbranch_execz .LBB163_27
; %bb.26:
	global_load_ubyte v14, v[2:3], off offset:704
.LBB163_27:
	s_or_b64 exec, exec, s[22:23]
	v_or_b32_e32 v15, 0x300, v0
	v_cmp_gt_u32_e64 s[22:23], s30, v15
                                        ; implicit-def: $vgpr15
	s_and_saveexec_b64 s[24:25], s[22:23]
	s_cbranch_execz .LBB163_29
; %bb.28:
	global_load_ubyte v15, v[2:3], off offset:768
.LBB163_29:
	s_or_b64 exec, exec, s[24:25]
	v_or_b32_e32 v16, 0x340, v0
	v_cmp_gt_u32_e64 s[24:25], s30, v16
                                        ; implicit-def: $vgpr16
	s_and_saveexec_b64 s[26:27], s[24:25]
	s_cbranch_execz .LBB163_31
; %bb.30:
	global_load_ubyte v16, v[2:3], off offset:832
.LBB163_31:
	s_or_b64 exec, exec, s[26:27]
	v_or_b32_e32 v17, 0x380, v0
	v_cmp_gt_u32_e64 s[26:27], s30, v17
                                        ; implicit-def: $vgpr17
	s_and_saveexec_b64 s[28:29], s[26:27]
	s_cbranch_execz .LBB163_33
; %bb.32:
	global_load_ubyte v17, v[2:3], off offset:896
.LBB163_33:
	s_or_b64 exec, exec, s[28:29]
	v_or_b32_e32 v18, 0x3c0, v0
	v_cmp_gt_u32_e64 s[28:29], s30, v18
                                        ; implicit-def: $vgpr18
	s_and_saveexec_b64 s[30:31], s[28:29]
	s_cbranch_execz .LBB163_35
; %bb.34:
	global_load_ubyte v18, v[2:3], off offset:960
.LBB163_35:
	s_or_b64 exec, exec, s[30:31]
	v_mov_b32_e32 v3, 1
	s_waitcnt vmcnt(0)
	v_and_b32_e32 v1, 1, v1
	v_and_b32_sdwa v4, v4, v3 dst_sel:BYTE_1 dst_unused:UNUSED_PAD src0_sel:DWORD src1_sel:DWORD
	v_and_b32_e32 v2, 0xffff, v1
	v_or_b32_e32 v1, v1, v4
	v_and_b32_e32 v1, 0xffff, v1
	v_cndmask_b32_e64 v1, v2, v1, s[0:1]
	v_and_b32_sdwa v2, v5, v3 dst_sel:WORD_1 dst_unused:UNUSED_PAD src0_sel:DWORD src1_sel:DWORD
	v_or_b32_e32 v2, v1, v2
	v_cndmask_b32_e64 v1, v1, v2, s[2:3]
	s_movk_i32 s31, 0xff
	v_and_b32_sdwa v2, v1, s31 dst_sel:DWORD dst_unused:UNUSED_PAD src0_sel:WORD_1 src1_sel:DWORD
	v_and_b32_sdwa v4, v6, v3 dst_sel:BYTE_1 dst_unused:UNUSED_PAD src0_sel:DWORD src1_sel:DWORD
	s_mov_b32 s30, 0xffff
	v_or_b32_sdwa v2, v2, v4 dst_sel:WORD_1 dst_unused:UNUSED_PAD src0_sel:DWORD src1_sel:DWORD
	v_and_or_b32 v2, v1, s30, v2
	v_cndmask_b32_e64 v6, v1, v2, s[4:5]
	v_and_b32_e32 v1, 1, v7
	v_and_b32_e32 v1, 0xffff, v1
	v_cndmask_b32_e64 v1, 0, v1, s[6:7]
	v_and_b32_sdwa v2, v8, v3 dst_sel:BYTE_1 dst_unused:UNUSED_PAD src0_sel:DWORD src1_sel:DWORD
	v_or_b32_sdwa v2, v1, v2 dst_sel:DWORD dst_unused:UNUSED_PAD src0_sel:BYTE_0 src1_sel:DWORD
	v_and_b32_e32 v2, 0xffff, v2
	s_movk_i32 s38, 0xff00
	v_cndmask_b32_e64 v1, v1, v2, s[8:9]
	v_and_b32_sdwa v2, v1, s38 dst_sel:DWORD dst_unused:UNUSED_PAD src0_sel:WORD_1 src1_sel:DWORD
	v_and_b32_e32 v4, 1, v9
	v_or_b32_sdwa v2, v4, v2 dst_sel:WORD_1 dst_unused:UNUSED_PAD src0_sel:DWORD src1_sel:DWORD
	v_and_or_b32 v2, v1, s30, v2
	v_cndmask_b32_e64 v1, v1, v2, s[10:11]
	v_and_b32_sdwa v2, v1, s31 dst_sel:DWORD dst_unused:UNUSED_PAD src0_sel:WORD_1 src1_sel:DWORD
	v_and_b32_sdwa v4, v10, v3 dst_sel:BYTE_1 dst_unused:UNUSED_PAD src0_sel:DWORD src1_sel:DWORD
	v_or_b32_sdwa v2, v2, v4 dst_sel:WORD_1 dst_unused:UNUSED_PAD src0_sel:DWORD src1_sel:DWORD
	v_and_or_b32 v2, v1, s30, v2
	v_cndmask_b32_e64 v5, v1, v2, s[12:13]
	v_and_b32_e32 v1, 1, v11
	v_and_b32_sdwa v4, v12, v3 dst_sel:BYTE_1 dst_unused:UNUSED_PAD src0_sel:DWORD src1_sel:DWORD
	v_and_b32_e32 v2, 0xffff, v1
	v_or_b32_e32 v1, v1, v4
	v_and_b32_e32 v1, 0xffff, v1
	v_cndmask_b32_e64 v1, v2, v1, s[16:17]
	v_and_b32_sdwa v2, v13, v3 dst_sel:WORD_1 dst_unused:UNUSED_PAD src0_sel:DWORD src1_sel:DWORD
	v_or_b32_e32 v2, v1, v2
	v_cndmask_b32_e64 v1, v1, v2, s[18:19]
	v_and_b32_sdwa v2, v1, s31 dst_sel:DWORD dst_unused:UNUSED_PAD src0_sel:WORD_1 src1_sel:DWORD
	v_and_b32_sdwa v4, v14, v3 dst_sel:BYTE_1 dst_unused:UNUSED_PAD src0_sel:DWORD src1_sel:DWORD
	v_or_b32_sdwa v2, v2, v4 dst_sel:WORD_1 dst_unused:UNUSED_PAD src0_sel:DWORD src1_sel:DWORD
	v_and_or_b32 v2, v1, s30, v2
	v_cndmask_b32_e64 v4, v1, v2, s[20:21]
	v_and_b32_e32 v1, 1, v15
	v_and_b32_e32 v1, 0xffff, v1
	v_cndmask_b32_e64 v1, 0, v1, s[22:23]
	v_and_b32_sdwa v2, v16, v3 dst_sel:BYTE_1 dst_unused:UNUSED_PAD src0_sel:DWORD src1_sel:DWORD
	v_or_b32_sdwa v2, v1, v2 dst_sel:DWORD dst_unused:UNUSED_PAD src0_sel:BYTE_0 src1_sel:DWORD
	v_and_b32_e32 v2, 0xffff, v2
	v_cndmask_b32_e64 v1, v1, v2, s[24:25]
	v_and_b32_sdwa v2, v1, s38 dst_sel:DWORD dst_unused:UNUSED_PAD src0_sel:WORD_1 src1_sel:DWORD
	v_and_b32_e32 v7, 1, v17
	v_or_b32_sdwa v2, v7, v2 dst_sel:WORD_1 dst_unused:UNUSED_PAD src0_sel:DWORD src1_sel:DWORD
	v_and_or_b32 v2, v1, s30, v2
	v_cndmask_b32_e64 v1, v1, v2, s[26:27]
	v_and_b32_sdwa v2, v1, s31 dst_sel:DWORD dst_unused:UNUSED_PAD src0_sel:WORD_1 src1_sel:DWORD
	v_and_b32_sdwa v3, v18, v3 dst_sel:BYTE_1 dst_unused:UNUSED_PAD src0_sel:DWORD src1_sel:DWORD
	v_or_b32_sdwa v2, v2, v3 dst_sel:WORD_1 dst_unused:UNUSED_PAD src0_sel:DWORD src1_sel:DWORD
	v_and_or_b32 v2, v1, s30, v2
	s_add_u32 s30, s34, s33
	s_addc_u32 s31, s35, 0
	v_cndmask_b32_e64 v1, v1, v2, s[28:29]
	v_mov_b32_e32 v3, s31
	v_add_co_u32_e64 v2, s[30:31], s30, v0
	v_addc_co_u32_e64 v3, s[30:31], 0, v3, s[30:31]
	s_and_saveexec_b64 s[30:31], vcc
	s_cbranch_execnz .LBB163_56
; %bb.36:
	s_or_b64 exec, exec, s[30:31]
	s_and_saveexec_b64 s[30:31], s[0:1]
	s_cbranch_execnz .LBB163_57
.LBB163_37:
	s_or_b64 exec, exec, s[30:31]
	s_and_saveexec_b64 s[0:1], s[2:3]
	s_cbranch_execnz .LBB163_58
.LBB163_38:
	s_or_b64 exec, exec, s[0:1]
	s_and_saveexec_b64 s[0:1], s[4:5]
	s_cbranch_execnz .LBB163_59
.LBB163_39:
	s_or_b64 exec, exec, s[0:1]
	s_and_saveexec_b64 s[0:1], s[6:7]
	s_cbranch_execnz .LBB163_60
.LBB163_40:
	s_or_b64 exec, exec, s[0:1]
	s_and_saveexec_b64 s[0:1], s[8:9]
	s_cbranch_execnz .LBB163_61
.LBB163_41:
	s_or_b64 exec, exec, s[0:1]
	s_and_saveexec_b64 s[0:1], s[10:11]
	s_cbranch_execnz .LBB163_62
.LBB163_42:
	s_or_b64 exec, exec, s[0:1]
	s_and_saveexec_b64 s[0:1], s[12:13]
	s_cbranch_execnz .LBB163_63
.LBB163_43:
	s_or_b64 exec, exec, s[0:1]
	s_and_saveexec_b64 s[0:1], s[14:15]
	s_cbranch_execnz .LBB163_64
.LBB163_44:
	s_or_b64 exec, exec, s[0:1]
	s_and_saveexec_b64 s[0:1], s[16:17]
	s_cbranch_execnz .LBB163_65
.LBB163_45:
	s_or_b64 exec, exec, s[0:1]
	s_and_saveexec_b64 s[0:1], s[18:19]
	s_cbranch_execnz .LBB163_66
.LBB163_46:
	s_or_b64 exec, exec, s[0:1]
	s_and_saveexec_b64 s[0:1], s[20:21]
	s_cbranch_execnz .LBB163_67
.LBB163_47:
	s_or_b64 exec, exec, s[0:1]
	s_and_saveexec_b64 s[0:1], s[22:23]
	s_cbranch_execnz .LBB163_68
.LBB163_48:
	s_or_b64 exec, exec, s[0:1]
	s_and_saveexec_b64 s[0:1], s[24:25]
	s_cbranch_execnz .LBB163_69
.LBB163_49:
	s_or_b64 exec, exec, s[0:1]
	s_and_saveexec_b64 s[0:1], s[26:27]
	s_cbranch_execnz .LBB163_70
.LBB163_50:
	s_or_b64 exec, exec, s[0:1]
                                        ; implicit-def: $vgpr4
	s_and_saveexec_b64 s[0:1], s[28:29]
.LBB163_51:
	v_lshrrev_b32_e32 v4, 24, v1
	s_or_b64 s[36:37], s[36:37], exec
.LBB163_52:
	s_or_b64 exec, exec, s[0:1]
.LBB163_53:
	s_and_saveexec_b64 s[0:1], s[36:37]
	s_cbranch_execnz .LBB163_55
; %bb.54:
	s_endpgm
.LBB163_55:
	s_add_u32 s0, s34, s33
	s_addc_u32 s1, s35, 0
	v_mov_b32_e32 v1, s1
	v_add_co_u32_e32 v0, vcc, s0, v0
	v_addc_co_u32_e32 v1, vcc, 0, v1, vcc
	s_waitcnt vmcnt(15)
	global_store_byte v[0:1], v4, off offset:960
	s_endpgm
.LBB163_56:
	global_store_byte v[2:3], v6, off
	s_or_b64 exec, exec, s[30:31]
	s_and_saveexec_b64 s[30:31], s[0:1]
	s_cbranch_execz .LBB163_37
.LBB163_57:
	v_lshrrev_b32_e32 v7, 8, v6
	global_store_byte v[2:3], v7, off offset:64
	s_or_b64 exec, exec, s[30:31]
	s_and_saveexec_b64 s[0:1], s[2:3]
	s_cbranch_execz .LBB163_38
.LBB163_58:
	global_store_byte_d16_hi v[2:3], v6, off offset:128
	s_or_b64 exec, exec, s[0:1]
	s_and_saveexec_b64 s[0:1], s[4:5]
	s_cbranch_execz .LBB163_39
.LBB163_59:
	v_lshrrev_b32_e32 v6, 24, v6
	global_store_byte v[2:3], v6, off offset:192
	s_or_b64 exec, exec, s[0:1]
	s_and_saveexec_b64 s[0:1], s[6:7]
	s_cbranch_execz .LBB163_40
.LBB163_60:
	global_store_byte v[2:3], v5, off offset:256
	s_or_b64 exec, exec, s[0:1]
	s_and_saveexec_b64 s[0:1], s[8:9]
	s_cbranch_execz .LBB163_41
.LBB163_61:
	v_lshrrev_b32_e32 v6, 8, v5
	global_store_byte v[2:3], v6, off offset:320
	s_or_b64 exec, exec, s[0:1]
	s_and_saveexec_b64 s[0:1], s[10:11]
	s_cbranch_execz .LBB163_42
.LBB163_62:
	global_store_byte_d16_hi v[2:3], v5, off offset:384
	s_or_b64 exec, exec, s[0:1]
	s_and_saveexec_b64 s[0:1], s[12:13]
	s_cbranch_execz .LBB163_43
.LBB163_63:
	v_lshrrev_b32_e32 v5, 24, v5
	global_store_byte v[2:3], v5, off offset:448
	s_or_b64 exec, exec, s[0:1]
	s_and_saveexec_b64 s[0:1], s[14:15]
	s_cbranch_execz .LBB163_44
.LBB163_64:
	global_store_byte v[2:3], v4, off offset:512
	s_or_b64 exec, exec, s[0:1]
	s_and_saveexec_b64 s[0:1], s[16:17]
	s_cbranch_execz .LBB163_45
.LBB163_65:
	v_lshrrev_b32_e32 v5, 8, v4
	global_store_byte v[2:3], v5, off offset:576
	s_or_b64 exec, exec, s[0:1]
	s_and_saveexec_b64 s[0:1], s[18:19]
	s_cbranch_execz .LBB163_46
.LBB163_66:
	global_store_byte_d16_hi v[2:3], v4, off offset:640
	s_or_b64 exec, exec, s[0:1]
	s_and_saveexec_b64 s[0:1], s[20:21]
	s_cbranch_execz .LBB163_47
.LBB163_67:
	v_lshrrev_b32_e32 v4, 24, v4
	global_store_byte v[2:3], v4, off offset:704
	s_or_b64 exec, exec, s[0:1]
	s_and_saveexec_b64 s[0:1], s[22:23]
	s_cbranch_execz .LBB163_48
.LBB163_68:
	global_store_byte v[2:3], v1, off offset:768
	s_or_b64 exec, exec, s[0:1]
	s_and_saveexec_b64 s[0:1], s[24:25]
	s_cbranch_execz .LBB163_49
.LBB163_69:
	v_lshrrev_b32_e32 v4, 8, v1
	global_store_byte v[2:3], v4, off offset:832
	s_or_b64 exec, exec, s[0:1]
	s_and_saveexec_b64 s[0:1], s[26:27]
	s_cbranch_execz .LBB163_50
.LBB163_70:
	global_store_byte_d16_hi v[2:3], v1, off offset:896
	s_or_b64 exec, exec, s[0:1]
                                        ; implicit-def: $vgpr4
	s_and_saveexec_b64 s[0:1], s[28:29]
	s_cbranch_execnz .LBB163_51
	s_branch .LBB163_52
	.section	.rodata,"a",@progbits
	.p2align	6, 0x0
	.amdhsa_kernel _ZN7rocprim17ROCPRIM_304000_NS6detail16transform_kernelINS1_24wrapped_transform_configINS0_14default_configEbEEbPbS6_NS0_8identityIbEEEEvT1_mT2_T3_
		.amdhsa_group_segment_fixed_size 0
		.amdhsa_private_segment_fixed_size 0
		.amdhsa_kernarg_size 288
		.amdhsa_user_sgpr_count 6
		.amdhsa_user_sgpr_private_segment_buffer 1
		.amdhsa_user_sgpr_dispatch_ptr 0
		.amdhsa_user_sgpr_queue_ptr 0
		.amdhsa_user_sgpr_kernarg_segment_ptr 1
		.amdhsa_user_sgpr_dispatch_id 0
		.amdhsa_user_sgpr_flat_scratch_init 0
		.amdhsa_user_sgpr_kernarg_preload_length 0
		.amdhsa_user_sgpr_kernarg_preload_offset 0
		.amdhsa_user_sgpr_private_segment_size 0
		.amdhsa_uses_dynamic_stack 0
		.amdhsa_system_sgpr_private_segment_wavefront_offset 0
		.amdhsa_system_sgpr_workgroup_id_x 1
		.amdhsa_system_sgpr_workgroup_id_y 0
		.amdhsa_system_sgpr_workgroup_id_z 0
		.amdhsa_system_sgpr_workgroup_info 0
		.amdhsa_system_vgpr_workitem_id 0
		.amdhsa_next_free_vgpr 21
		.amdhsa_next_free_sgpr 39
		.amdhsa_accum_offset 24
		.amdhsa_reserve_vcc 1
		.amdhsa_reserve_flat_scratch 0
		.amdhsa_float_round_mode_32 0
		.amdhsa_float_round_mode_16_64 0
		.amdhsa_float_denorm_mode_32 3
		.amdhsa_float_denorm_mode_16_64 3
		.amdhsa_dx10_clamp 1
		.amdhsa_ieee_mode 1
		.amdhsa_fp16_overflow 0
		.amdhsa_tg_split 0
		.amdhsa_exception_fp_ieee_invalid_op 0
		.amdhsa_exception_fp_denorm_src 0
		.amdhsa_exception_fp_ieee_div_zero 0
		.amdhsa_exception_fp_ieee_overflow 0
		.amdhsa_exception_fp_ieee_underflow 0
		.amdhsa_exception_fp_ieee_inexact 0
		.amdhsa_exception_int_div_zero 0
	.end_amdhsa_kernel
	.section	.text._ZN7rocprim17ROCPRIM_304000_NS6detail16transform_kernelINS1_24wrapped_transform_configINS0_14default_configEbEEbPbS6_NS0_8identityIbEEEEvT1_mT2_T3_,"axG",@progbits,_ZN7rocprim17ROCPRIM_304000_NS6detail16transform_kernelINS1_24wrapped_transform_configINS0_14default_configEbEEbPbS6_NS0_8identityIbEEEEvT1_mT2_T3_,comdat
.Lfunc_end163:
	.size	_ZN7rocprim17ROCPRIM_304000_NS6detail16transform_kernelINS1_24wrapped_transform_configINS0_14default_configEbEEbPbS6_NS0_8identityIbEEEEvT1_mT2_T3_, .Lfunc_end163-_ZN7rocprim17ROCPRIM_304000_NS6detail16transform_kernelINS1_24wrapped_transform_configINS0_14default_configEbEEbPbS6_NS0_8identityIbEEEEvT1_mT2_T3_
                                        ; -- End function
	.section	.AMDGPU.csdata,"",@progbits
; Kernel info:
; codeLenInByte = 2060
; NumSgprs: 43
; NumVgprs: 21
; NumAgprs: 0
; TotalNumVgprs: 21
; ScratchSize: 0
; MemoryBound: 0
; FloatMode: 240
; IeeeMode: 1
; LDSByteSize: 0 bytes/workgroup (compile time only)
; SGPRBlocks: 5
; VGPRBlocks: 2
; NumSGPRsForWavesPerEU: 43
; NumVGPRsForWavesPerEU: 21
; AccumOffset: 24
; Occupancy: 8
; WaveLimiterHint : 0
; COMPUTE_PGM_RSRC2:SCRATCH_EN: 0
; COMPUTE_PGM_RSRC2:USER_SGPR: 6
; COMPUTE_PGM_RSRC2:TRAP_HANDLER: 0
; COMPUTE_PGM_RSRC2:TGID_X_EN: 1
; COMPUTE_PGM_RSRC2:TGID_Y_EN: 0
; COMPUTE_PGM_RSRC2:TGID_Z_EN: 0
; COMPUTE_PGM_RSRC2:TIDIG_COMP_CNT: 0
; COMPUTE_PGM_RSRC3_GFX90A:ACCUM_OFFSET: 5
; COMPUTE_PGM_RSRC3_GFX90A:TG_SPLIT: 0
	.section	.text._ZN7rocprim17ROCPRIM_304000_NS6detail45device_block_merge_mergepath_partition_kernelINS1_37wrapped_merge_sort_block_merge_configINS0_14default_configEbN2at4cuda3cub6detail10OpaqueTypeILi8EEEEEPbjNS1_19radix_merge_compareILb1ELb1EbNS0_19identity_decomposerEEEEEvT0_T1_jPSH_T2_SH_,"axG",@progbits,_ZN7rocprim17ROCPRIM_304000_NS6detail45device_block_merge_mergepath_partition_kernelINS1_37wrapped_merge_sort_block_merge_configINS0_14default_configEbN2at4cuda3cub6detail10OpaqueTypeILi8EEEEEPbjNS1_19radix_merge_compareILb1ELb1EbNS0_19identity_decomposerEEEEEvT0_T1_jPSH_T2_SH_,comdat
	.protected	_ZN7rocprim17ROCPRIM_304000_NS6detail45device_block_merge_mergepath_partition_kernelINS1_37wrapped_merge_sort_block_merge_configINS0_14default_configEbN2at4cuda3cub6detail10OpaqueTypeILi8EEEEEPbjNS1_19radix_merge_compareILb1ELb1EbNS0_19identity_decomposerEEEEEvT0_T1_jPSH_T2_SH_ ; -- Begin function _ZN7rocprim17ROCPRIM_304000_NS6detail45device_block_merge_mergepath_partition_kernelINS1_37wrapped_merge_sort_block_merge_configINS0_14default_configEbN2at4cuda3cub6detail10OpaqueTypeILi8EEEEEPbjNS1_19radix_merge_compareILb1ELb1EbNS0_19identity_decomposerEEEEEvT0_T1_jPSH_T2_SH_
	.globl	_ZN7rocprim17ROCPRIM_304000_NS6detail45device_block_merge_mergepath_partition_kernelINS1_37wrapped_merge_sort_block_merge_configINS0_14default_configEbN2at4cuda3cub6detail10OpaqueTypeILi8EEEEEPbjNS1_19radix_merge_compareILb1ELb1EbNS0_19identity_decomposerEEEEEvT0_T1_jPSH_T2_SH_
	.p2align	8
	.type	_ZN7rocprim17ROCPRIM_304000_NS6detail45device_block_merge_mergepath_partition_kernelINS1_37wrapped_merge_sort_block_merge_configINS0_14default_configEbN2at4cuda3cub6detail10OpaqueTypeILi8EEEEEPbjNS1_19radix_merge_compareILb1ELb1EbNS0_19identity_decomposerEEEEEvT0_T1_jPSH_T2_SH_,@function
_ZN7rocprim17ROCPRIM_304000_NS6detail45device_block_merge_mergepath_partition_kernelINS1_37wrapped_merge_sort_block_merge_configINS0_14default_configEbN2at4cuda3cub6detail10OpaqueTypeILi8EEEEEPbjNS1_19radix_merge_compareILb1ELb1EbNS0_19identity_decomposerEEEEEvT0_T1_jPSH_T2_SH_: ; @_ZN7rocprim17ROCPRIM_304000_NS6detail45device_block_merge_mergepath_partition_kernelINS1_37wrapped_merge_sort_block_merge_configINS0_14default_configEbN2at4cuda3cub6detail10OpaqueTypeILi8EEEEEPbjNS1_19radix_merge_compareILb1ELb1EbNS0_19identity_decomposerEEEEEvT0_T1_jPSH_T2_SH_
; %bb.0:
	s_load_dwordx2 s[0:1], s[4:5], 0x8
	v_lshl_or_b32 v0, s6, 7, v0
	s_waitcnt lgkmcnt(0)
	v_cmp_gt_u32_e32 vcc, s1, v0
	s_and_saveexec_b64 s[2:3], vcc
	s_cbranch_execz .LBB164_6
; %bb.1:
	s_load_dwordx2 s[2:3], s[4:5], 0x18
	s_waitcnt lgkmcnt(0)
	s_lshr_b32 s1, s3, 9
	s_and_b32 s1, s1, 0x7ffffe
	s_add_i32 s6, s1, -1
	s_sub_i32 s1, 0, s1
	v_and_b32_e32 v1, s1, v0
	v_lshlrev_b32_e32 v3, 10, v1
	v_min_u32_e32 v1, s0, v3
	v_add_u32_e32 v3, s3, v3
	v_min_u32_e32 v7, s0, v3
	v_add_u32_e32 v3, s3, v7
	v_and_b32_e32 v2, s6, v0
	v_min_u32_e32 v4, s0, v3
	v_lshlrev_b32_e32 v2, 10, v2
	v_sub_u32_e32 v3, v4, v1
	v_min_u32_e32 v3, v3, v2
	v_sub_u32_e32 v5, v7, v1
	v_sub_u32_e32 v2, v4, v7
	v_sub_u32_e64 v2, v3, v2 clamp
	v_min_u32_e32 v4, v3, v5
	v_cmp_lt_u32_e32 vcc, v2, v4
	s_and_saveexec_b64 s[0:1], vcc
	s_cbranch_execz .LBB164_5
; %bb.2:
	s_load_dwordx2 s[6:7], s[4:5], 0x0
	v_and_b32_e64 v9, s2, 1
	s_mov_b64 s[2:3], 0
	s_waitcnt lgkmcnt(0)
	v_mov_b32_e32 v8, s7
	v_add_co_u32_e32 v5, vcc, s6, v1
	v_addc_co_u32_e32 v6, vcc, 0, v8, vcc
	v_add_co_u32_e32 v7, vcc, s6, v7
	v_addc_co_u32_e32 v8, vcc, 0, v8, vcc
.LBB164_3:                              ; =>This Inner Loop Header: Depth=1
	v_add_u32_e32 v10, v4, v2
	v_lshrrev_b32_e32 v14, 1, v10
	v_add_co_u32_e32 v10, vcc, v5, v14
	v_xad_u32 v12, v14, -1, v3
	v_addc_co_u32_e32 v11, vcc, 0, v6, vcc
	v_add_co_u32_e32 v12, vcc, v7, v12
	v_addc_co_u32_e32 v13, vcc, 0, v8, vcc
	global_load_ubyte v15, v[10:11], off
	global_load_ubyte v16, v[12:13], off
	v_add_u32_e32 v10, 1, v14
	s_waitcnt vmcnt(1)
	v_and_b32_e32 v11, v15, v9
	s_waitcnt vmcnt(0)
	v_and_b32_e32 v12, v16, v9
	v_cmp_gt_u16_e32 vcc, v12, v11
	v_cndmask_b32_e32 v4, v4, v14, vcc
	v_cndmask_b32_e32 v2, v10, v2, vcc
	v_cmp_ge_u32_e32 vcc, v2, v4
	s_or_b64 s[2:3], vcc, s[2:3]
	s_andn2_b64 exec, exec, s[2:3]
	s_cbranch_execnz .LBB164_3
; %bb.4:
	s_or_b64 exec, exec, s[2:3]
.LBB164_5:
	s_or_b64 exec, exec, s[0:1]
	s_load_dwordx2 s[0:1], s[4:5], 0x10
	v_add_u32_e32 v2, v2, v1
	v_mov_b32_e32 v1, 0
	v_lshlrev_b64 v[0:1], 2, v[0:1]
	s_waitcnt lgkmcnt(0)
	v_mov_b32_e32 v3, s1
	v_add_co_u32_e32 v0, vcc, s0, v0
	v_addc_co_u32_e32 v1, vcc, v3, v1, vcc
	global_store_dword v[0:1], v2, off
.LBB164_6:
	s_endpgm
	.section	.rodata,"a",@progbits
	.p2align	6, 0x0
	.amdhsa_kernel _ZN7rocprim17ROCPRIM_304000_NS6detail45device_block_merge_mergepath_partition_kernelINS1_37wrapped_merge_sort_block_merge_configINS0_14default_configEbN2at4cuda3cub6detail10OpaqueTypeILi8EEEEEPbjNS1_19radix_merge_compareILb1ELb1EbNS0_19identity_decomposerEEEEEvT0_T1_jPSH_T2_SH_
		.amdhsa_group_segment_fixed_size 0
		.amdhsa_private_segment_fixed_size 0
		.amdhsa_kernarg_size 32
		.amdhsa_user_sgpr_count 6
		.amdhsa_user_sgpr_private_segment_buffer 1
		.amdhsa_user_sgpr_dispatch_ptr 0
		.amdhsa_user_sgpr_queue_ptr 0
		.amdhsa_user_sgpr_kernarg_segment_ptr 1
		.amdhsa_user_sgpr_dispatch_id 0
		.amdhsa_user_sgpr_flat_scratch_init 0
		.amdhsa_user_sgpr_kernarg_preload_length 0
		.amdhsa_user_sgpr_kernarg_preload_offset 0
		.amdhsa_user_sgpr_private_segment_size 0
		.amdhsa_uses_dynamic_stack 0
		.amdhsa_system_sgpr_private_segment_wavefront_offset 0
		.amdhsa_system_sgpr_workgroup_id_x 1
		.amdhsa_system_sgpr_workgroup_id_y 0
		.amdhsa_system_sgpr_workgroup_id_z 0
		.amdhsa_system_sgpr_workgroup_info 0
		.amdhsa_system_vgpr_workitem_id 0
		.amdhsa_next_free_vgpr 17
		.amdhsa_next_free_sgpr 8
		.amdhsa_accum_offset 20
		.amdhsa_reserve_vcc 1
		.amdhsa_reserve_flat_scratch 0
		.amdhsa_float_round_mode_32 0
		.amdhsa_float_round_mode_16_64 0
		.amdhsa_float_denorm_mode_32 3
		.amdhsa_float_denorm_mode_16_64 3
		.amdhsa_dx10_clamp 1
		.amdhsa_ieee_mode 1
		.amdhsa_fp16_overflow 0
		.amdhsa_tg_split 0
		.amdhsa_exception_fp_ieee_invalid_op 0
		.amdhsa_exception_fp_denorm_src 0
		.amdhsa_exception_fp_ieee_div_zero 0
		.amdhsa_exception_fp_ieee_overflow 0
		.amdhsa_exception_fp_ieee_underflow 0
		.amdhsa_exception_fp_ieee_inexact 0
		.amdhsa_exception_int_div_zero 0
	.end_amdhsa_kernel
	.section	.text._ZN7rocprim17ROCPRIM_304000_NS6detail45device_block_merge_mergepath_partition_kernelINS1_37wrapped_merge_sort_block_merge_configINS0_14default_configEbN2at4cuda3cub6detail10OpaqueTypeILi8EEEEEPbjNS1_19radix_merge_compareILb1ELb1EbNS0_19identity_decomposerEEEEEvT0_T1_jPSH_T2_SH_,"axG",@progbits,_ZN7rocprim17ROCPRIM_304000_NS6detail45device_block_merge_mergepath_partition_kernelINS1_37wrapped_merge_sort_block_merge_configINS0_14default_configEbN2at4cuda3cub6detail10OpaqueTypeILi8EEEEEPbjNS1_19radix_merge_compareILb1ELb1EbNS0_19identity_decomposerEEEEEvT0_T1_jPSH_T2_SH_,comdat
.Lfunc_end164:
	.size	_ZN7rocprim17ROCPRIM_304000_NS6detail45device_block_merge_mergepath_partition_kernelINS1_37wrapped_merge_sort_block_merge_configINS0_14default_configEbN2at4cuda3cub6detail10OpaqueTypeILi8EEEEEPbjNS1_19radix_merge_compareILb1ELb1EbNS0_19identity_decomposerEEEEEvT0_T1_jPSH_T2_SH_, .Lfunc_end164-_ZN7rocprim17ROCPRIM_304000_NS6detail45device_block_merge_mergepath_partition_kernelINS1_37wrapped_merge_sort_block_merge_configINS0_14default_configEbN2at4cuda3cub6detail10OpaqueTypeILi8EEEEEPbjNS1_19radix_merge_compareILb1ELb1EbNS0_19identity_decomposerEEEEEvT0_T1_jPSH_T2_SH_
                                        ; -- End function
	.section	.AMDGPU.csdata,"",@progbits
; Kernel info:
; codeLenInByte = 340
; NumSgprs: 12
; NumVgprs: 17
; NumAgprs: 0
; TotalNumVgprs: 17
; ScratchSize: 0
; MemoryBound: 0
; FloatMode: 240
; IeeeMode: 1
; LDSByteSize: 0 bytes/workgroup (compile time only)
; SGPRBlocks: 1
; VGPRBlocks: 2
; NumSGPRsForWavesPerEU: 12
; NumVGPRsForWavesPerEU: 17
; AccumOffset: 20
; Occupancy: 8
; WaveLimiterHint : 0
; COMPUTE_PGM_RSRC2:SCRATCH_EN: 0
; COMPUTE_PGM_RSRC2:USER_SGPR: 6
; COMPUTE_PGM_RSRC2:TRAP_HANDLER: 0
; COMPUTE_PGM_RSRC2:TGID_X_EN: 1
; COMPUTE_PGM_RSRC2:TGID_Y_EN: 0
; COMPUTE_PGM_RSRC2:TGID_Z_EN: 0
; COMPUTE_PGM_RSRC2:TIDIG_COMP_CNT: 0
; COMPUTE_PGM_RSRC3_GFX90A:ACCUM_OFFSET: 4
; COMPUTE_PGM_RSRC3_GFX90A:TG_SPLIT: 0
	.section	.text._ZN7rocprim17ROCPRIM_304000_NS6detail35device_block_merge_mergepath_kernelINS1_37wrapped_merge_sort_block_merge_configINS0_14default_configEbN2at4cuda3cub6detail10OpaqueTypeILi8EEEEEPbSC_PSA_SD_jNS1_19radix_merge_compareILb1ELb1EbNS0_19identity_decomposerEEEEEvT0_T1_T2_T3_T4_SL_jT5_PKSL_NS1_7vsmem_tE,"axG",@progbits,_ZN7rocprim17ROCPRIM_304000_NS6detail35device_block_merge_mergepath_kernelINS1_37wrapped_merge_sort_block_merge_configINS0_14default_configEbN2at4cuda3cub6detail10OpaqueTypeILi8EEEEEPbSC_PSA_SD_jNS1_19radix_merge_compareILb1ELb1EbNS0_19identity_decomposerEEEEEvT0_T1_T2_T3_T4_SL_jT5_PKSL_NS1_7vsmem_tE,comdat
	.protected	_ZN7rocprim17ROCPRIM_304000_NS6detail35device_block_merge_mergepath_kernelINS1_37wrapped_merge_sort_block_merge_configINS0_14default_configEbN2at4cuda3cub6detail10OpaqueTypeILi8EEEEEPbSC_PSA_SD_jNS1_19radix_merge_compareILb1ELb1EbNS0_19identity_decomposerEEEEEvT0_T1_T2_T3_T4_SL_jT5_PKSL_NS1_7vsmem_tE ; -- Begin function _ZN7rocprim17ROCPRIM_304000_NS6detail35device_block_merge_mergepath_kernelINS1_37wrapped_merge_sort_block_merge_configINS0_14default_configEbN2at4cuda3cub6detail10OpaqueTypeILi8EEEEEPbSC_PSA_SD_jNS1_19radix_merge_compareILb1ELb1EbNS0_19identity_decomposerEEEEEvT0_T1_T2_T3_T4_SL_jT5_PKSL_NS1_7vsmem_tE
	.globl	_ZN7rocprim17ROCPRIM_304000_NS6detail35device_block_merge_mergepath_kernelINS1_37wrapped_merge_sort_block_merge_configINS0_14default_configEbN2at4cuda3cub6detail10OpaqueTypeILi8EEEEEPbSC_PSA_SD_jNS1_19radix_merge_compareILb1ELb1EbNS0_19identity_decomposerEEEEEvT0_T1_T2_T3_T4_SL_jT5_PKSL_NS1_7vsmem_tE
	.p2align	8
	.type	_ZN7rocprim17ROCPRIM_304000_NS6detail35device_block_merge_mergepath_kernelINS1_37wrapped_merge_sort_block_merge_configINS0_14default_configEbN2at4cuda3cub6detail10OpaqueTypeILi8EEEEEPbSC_PSA_SD_jNS1_19radix_merge_compareILb1ELb1EbNS0_19identity_decomposerEEEEEvT0_T1_T2_T3_T4_SL_jT5_PKSL_NS1_7vsmem_tE,@function
_ZN7rocprim17ROCPRIM_304000_NS6detail35device_block_merge_mergepath_kernelINS1_37wrapped_merge_sort_block_merge_configINS0_14default_configEbN2at4cuda3cub6detail10OpaqueTypeILi8EEEEEPbSC_PSA_SD_jNS1_19radix_merge_compareILb1ELb1EbNS0_19identity_decomposerEEEEEvT0_T1_T2_T3_T4_SL_jT5_PKSL_NS1_7vsmem_tE: ; @_ZN7rocprim17ROCPRIM_304000_NS6detail35device_block_merge_mergepath_kernelINS1_37wrapped_merge_sort_block_merge_configINS0_14default_configEbN2at4cuda3cub6detail10OpaqueTypeILi8EEEEEPbSC_PSA_SD_jNS1_19radix_merge_compareILb1ELb1EbNS0_19identity_decomposerEEEEEvT0_T1_T2_T3_T4_SL_jT5_PKSL_NS1_7vsmem_tE
; %bb.0:
	s_load_dwordx2 s[26:27], s[4:5], 0x40
	s_load_dwordx4 s[16:19], s[4:5], 0x20
	s_add_u32 s2, s4, 64
	s_addc_u32 s3, s5, 0
	s_waitcnt lgkmcnt(0)
	s_mul_i32 s0, s27, s8
	s_add_i32 s0, s0, s7
	s_mul_i32 s0, s0, s26
	s_add_i32 s0, s0, s6
	s_cmp_ge_u32 s0, s18
	s_cbranch_scc1 .LBB165_75
; %bb.1:
	s_load_dwordx8 s[8:15], s[4:5], 0x0
	s_load_dwordx2 s[22:23], s[4:5], 0x30
	s_lshr_b32 s28, s16, 10
	s_cmp_lg_u32 s0, s28
	s_mov_b32 s1, 0
	s_cselect_b64 s[20:21], -1, 0
	s_lshl_b64 s[4:5], s[0:1], 2
	s_waitcnt lgkmcnt(0)
	s_add_u32 s4, s22, s4
	s_addc_u32 s5, s23, s5
	s_load_dwordx2 s[22:23], s[4:5], 0x0
	s_lshr_b32 s4, s17, 9
	s_and_b32 s4, s4, 0x7ffffe
	s_sub_i32 s4, 0, s4
	s_and_b32 s5, s0, s4
	s_lshl_b32 s7, s5, 10
	s_lshl_b32 s18, s0, 10
	;; [unrolled: 1-line block ×3, first 2 shown]
	s_sub_i32 s24, s18, s7
	s_add_i32 s5, s5, s17
	s_add_i32 s25, s5, s24
	s_waitcnt lgkmcnt(0)
	s_sub_i32 s24, s25, s22
	s_sub_i32 s25, s25, s23
	;; [unrolled: 1-line block ×3, first 2 shown]
	s_min_u32 s24, s16, s24
	s_addk_i32 s25, 0x400
	s_or_b32 s4, s0, s4
	s_min_u32 s7, s16, s5
	s_add_i32 s5, s5, s17
	s_cmp_eq_u32 s4, -1
	s_cselect_b32 s4, s5, s25
	s_cselect_b32 s5, s7, s23
	s_min_u32 s4, s4, s16
	s_sub_i32 s17, s5, s22
	s_sub_i32 s27, s4, s24
	s_add_u32 s4, s8, s22
	s_addc_u32 s5, s9, 0
	s_add_u32 s7, s8, s24
	s_addc_u32 s8, s9, 0
	s_cmp_lt_u32 s6, s26
	v_mov_b32_e32 v1, 0
	s_cselect_b32 s6, 12, 18
	global_load_dword v2, v1, s[2:3] offset:14
	s_add_u32 s2, s2, s6
	s_addc_u32 s3, s3, 0
	global_load_ushort v1, v1, s[2:3]
	s_mov_b32 s25, s1
	s_mov_b32 s23, s1
	s_cmp_eq_u32 s0, s28
	v_cmp_gt_u32_e32 vcc, s17, v0
	s_waitcnt vmcnt(1)
	v_lshrrev_b32_e32 v3, 16, v2
	v_and_b32_e32 v2, 0xffff, v2
	v_mul_lo_u32 v2, v2, v3
	s_waitcnt vmcnt(0)
	v_mul_lo_u32 v2, v2, v1
	v_add_u32_e32 v4, v2, v0
	v_add_u32_e32 v3, v4, v2
	s_cbranch_scc1 .LBB165_3
; %bb.2:
	v_mov_b32_e32 v1, s17
	v_cndmask_b32_e64 v5, v1, 0, vcc
	v_mov_b32_e32 v12, s7
	v_mov_b32_e32 v13, s4
	v_sub_u32_e32 v5, v0, v5
	v_mov_b32_e32 v6, s8
	v_mov_b32_e32 v7, s5
	v_cndmask_b32_e32 v8, v12, v13, vcc
	v_cndmask_b32_e32 v9, v6, v7, vcc
	v_add_co_u32_e32 v8, vcc, v8, v5
	v_addc_co_u32_e32 v9, vcc, 0, v9, vcc
	v_cmp_gt_u32_e32 vcc, s17, v4
	v_cndmask_b32_e64 v5, v1, 0, vcc
	v_sub_u32_e32 v5, v4, v5
	v_cndmask_b32_e32 v10, v12, v13, vcc
	v_cndmask_b32_e32 v11, v6, v7, vcc
	v_add_co_u32_e32 v10, vcc, v10, v5
	v_addc_co_u32_e32 v11, vcc, 0, v11, vcc
	v_cmp_gt_u32_e32 vcc, s17, v3
	v_cndmask_b32_e64 v1, v1, 0, vcc
	v_sub_u32_e32 v1, v3, v1
	v_cndmask_b32_e32 v5, v6, v7, vcc
	v_cndmask_b32_e32 v6, v12, v13, vcc
	v_add_co_u32_e32 v12, vcc, v6, v1
	v_addc_co_u32_e32 v13, vcc, 0, v5, vcc
	global_load_ubyte v6, v[10:11], off
	global_load_ubyte v7, v[12:13], off
	;; [unrolled: 1-line block ×3, first 2 shown]
	v_add_u32_e32 v5, v3, v2
	s_add_i32 s6, s27, s17
	s_mov_b64 s[0:1], -1
	s_cbranch_execz .LBB165_4
	s_branch .LBB165_11
.LBB165_3:
	s_mov_b64 s[0:1], 0
                                        ; implicit-def: $vgpr5
                                        ; implicit-def: $vgpr1
                                        ; implicit-def: $vgpr6
                                        ; implicit-def: $vgpr7
                                        ; implicit-def: $sgpr6
.LBB165_4:
	s_add_i32 s6, s27, s17
	v_cmp_gt_u32_e32 vcc, s6, v0
                                        ; implicit-def: $vgpr1
	s_and_saveexec_b64 s[0:1], vcc
	s_cbranch_execz .LBB165_6
; %bb.5:
	s_waitcnt vmcnt(0)
	v_mov_b32_e32 v1, s8
	v_mov_b32_e32 v5, s5
	v_cmp_gt_u32_e32 vcc, s17, v0
	v_cndmask_b32_e32 v1, v1, v5, vcc
	v_mov_b32_e32 v5, s7
	v_mov_b32_e32 v6, s4
	v_cndmask_b32_e32 v5, v5, v6, vcc
	v_mov_b32_e32 v6, s17
	v_cndmask_b32_e64 v6, v6, 0, vcc
	v_sub_u32_e32 v6, v0, v6
	v_add_co_u32_e32 v6, vcc, v5, v6
	v_addc_co_u32_e32 v7, vcc, 0, v1, vcc
	global_load_ubyte v1, v[6:7], off
.LBB165_6:
	s_or_b64 exec, exec, s[0:1]
	v_cmp_gt_u32_e32 vcc, s6, v4
                                        ; implicit-def: $vgpr6
	s_and_saveexec_b64 s[0:1], vcc
	s_cbranch_execz .LBB165_8
; %bb.7:
	v_mov_b32_e32 v5, s8
	s_waitcnt vmcnt(2)
	v_mov_b32_e32 v6, s5
	v_cmp_gt_u32_e32 vcc, s17, v4
	v_cndmask_b32_e32 v5, v5, v6, vcc
	v_mov_b32_e32 v6, s7
	s_waitcnt vmcnt(1)
	v_mov_b32_e32 v7, s4
	v_cndmask_b32_e32 v6, v6, v7, vcc
	v_mov_b32_e32 v7, s17
	v_cndmask_b32_e64 v7, v7, 0, vcc
	v_sub_u32_e32 v4, v4, v7
	v_add_co_u32_e32 v4, vcc, v6, v4
	v_addc_co_u32_e32 v5, vcc, 0, v5, vcc
	global_load_ubyte v6, v[4:5], off
.LBB165_8:
	s_or_b64 exec, exec, s[0:1]
	v_cmp_gt_u32_e32 vcc, s6, v3
                                        ; implicit-def: $vgpr7
	s_and_saveexec_b64 s[0:1], vcc
	s_cbranch_execz .LBB165_10
; %bb.9:
	v_mov_b32_e32 v4, s8
	v_mov_b32_e32 v5, s5
	v_cmp_gt_u32_e32 vcc, s17, v3
	v_cndmask_b32_e32 v5, v4, v5, vcc
	v_mov_b32_e32 v4, s7
	s_waitcnt vmcnt(1)
	v_mov_b32_e32 v7, s4
	v_cndmask_b32_e32 v4, v4, v7, vcc
	v_mov_b32_e32 v7, s17
	v_cndmask_b32_e64 v7, v7, 0, vcc
	v_sub_u32_e32 v7, v3, v7
	v_add_co_u32_e32 v4, vcc, v4, v7
	v_addc_co_u32_e32 v5, vcc, 0, v5, vcc
	global_load_ubyte v7, v[4:5], off
.LBB165_10:
	s_or_b64 exec, exec, s[0:1]
	v_add_u32_e32 v5, v3, v2
	v_cmp_gt_u32_e64 s[0:1], s6, v5
.LBB165_11:
	v_mov_b32_e32 v9, s6
                                        ; implicit-def: $vgpr10
	s_and_saveexec_b64 s[2:3], s[0:1]
	s_cbranch_execz .LBB165_13
; %bb.12:
	v_mov_b32_e32 v2, s17
	v_cmp_gt_u32_e32 vcc, s17, v5
	v_cndmask_b32_e64 v2, v2, 0, vcc
	v_mov_b32_e32 v3, s8
	v_mov_b32_e32 v4, s5
	v_sub_u32_e32 v2, v5, v2
	v_cndmask_b32_e32 v3, v3, v4, vcc
	v_mov_b32_e32 v4, s7
	v_mov_b32_e32 v5, s4
	v_cndmask_b32_e32 v4, v4, v5, vcc
	v_add_co_u32_e32 v2, vcc, v4, v2
	v_addc_co_u32_e32 v3, vcc, 0, v3, vcc
	global_load_ubyte v10, v[2:3], off
	v_mov_b32_e32 v9, s6
.LBB165_13:
	s_or_b64 exec, exec, s[2:3]
	v_lshlrev_b32_e32 v8, 2, v0
	v_min_u32_e32 v4, v9, v8
	v_sub_u32_e64 v3, v4, s27 clamp
	v_min_u32_e32 v5, s17, v4
	v_and_b32_e64 v2, s19, 1
	v_cmp_lt_u32_e32 vcc, v3, v5
	s_waitcnt vmcnt(0)
	ds_write_b8 v0, v1
	ds_write_b8 v0, v6 offset:256
	ds_write_b8 v0, v7 offset:512
	;; [unrolled: 1-line block ×3, first 2 shown]
	s_waitcnt lgkmcnt(0)
	s_barrier
	s_and_saveexec_b64 s[0:1], vcc
	s_cbranch_execz .LBB165_17
; %bb.14:
	v_add_u32_e32 v11, s17, v4
	s_mov_b64 s[2:3], 0
.LBB165_15:                             ; =>This Inner Loop Header: Depth=1
	v_add_u32_e32 v12, v5, v3
	v_lshrrev_b32_e32 v12, 1, v12
	v_xad_u32 v13, v12, -1, v11
	ds_read_u8 v14, v12
	ds_read_u8 v13, v13
	v_add_u32_e32 v15, 1, v12
	s_waitcnt lgkmcnt(1)
	v_and_b32_e32 v14, v14, v2
	s_waitcnt lgkmcnt(0)
	v_and_b32_e32 v13, v13, v2
	v_cmp_gt_u16_e32 vcc, v13, v14
	v_cndmask_b32_e32 v5, v5, v12, vcc
	v_cndmask_b32_e32 v3, v15, v3, vcc
	v_cmp_ge_u32_e32 vcc, v3, v5
	s_or_b64 s[2:3], vcc, s[2:3]
	s_andn2_b64 exec, exec, s[2:3]
	s_cbranch_execnz .LBB165_15
; %bb.16:
	s_or_b64 exec, exec, s[2:3]
.LBB165_17:
	s_or_b64 exec, exec, s[0:1]
	v_sub_u32_e32 v4, v4, v3
	v_add_u32_e32 v4, s17, v4
	v_cmp_ge_u32_e32 vcc, s17, v3
	v_cmp_le_u32_e64 s[0:1], v4, v9
	s_or_b64 s[0:1], vcc, s[0:1]
                                        ; implicit-def: $vgpr11
                                        ; implicit-def: $vgpr12
                                        ; implicit-def: $vgpr13
                                        ; implicit-def: $vgpr14
	s_and_saveexec_b64 s[6:7], s[0:1]
	s_cbranch_execz .LBB165_23
; %bb.18:
	v_cmp_gt_u32_e32 vcc, s17, v3
                                        ; implicit-def: $vgpr1
	s_and_saveexec_b64 s[0:1], vcc
	s_cbranch_execz .LBB165_20
; %bb.19:
	ds_read_u8 v1, v3
.LBB165_20:
	s_or_b64 exec, exec, s[0:1]
	v_cmp_ge_u32_e64 s[0:1], v4, v9
	v_cmp_lt_u32_e64 s[2:3], v4, v9
                                        ; implicit-def: $vgpr5
	s_and_saveexec_b64 s[4:5], s[2:3]
	s_cbranch_execz .LBB165_22
; %bb.21:
	ds_read_u8 v5, v4
.LBB165_22:
	s_or_b64 exec, exec, s[4:5]
	s_waitcnt lgkmcnt(0)
	v_and_b32_e32 v6, v5, v2
	v_and_b32_e32 v7, v1, v2
	v_cmp_le_u16_sdwa s[2:3], v6, v7 src0_sel:BYTE_0 src1_sel:BYTE_0
	s_and_b64 s[2:3], vcc, s[2:3]
	s_or_b64 vcc, s[0:1], s[2:3]
	v_mov_b32_e32 v6, s17
	v_cndmask_b32_e32 v14, v4, v3, vcc
	v_cndmask_b32_e32 v7, v9, v6, vcc
	v_add_u32_e32 v10, 1, v14
	v_add_u32_e32 v7, -1, v7
	v_min_u32_e32 v7, v10, v7
	ds_read_u8 v7, v7
	v_cndmask_b32_e32 v4, v10, v4, vcc
	v_cndmask_b32_e32 v3, v3, v10, vcc
	v_cmp_gt_u32_e64 s[2:3], s17, v3
	v_cmp_ge_u32_e64 s[0:1], v4, v9
	s_waitcnt lgkmcnt(0)
	v_cndmask_b32_e32 v11, v7, v5, vcc
	v_cndmask_b32_e32 v7, v1, v7, vcc
	v_and_b32_e32 v10, v11, v2
	v_and_b32_e32 v12, v7, v2
	v_cmp_le_u16_sdwa s[4:5], v10, v12 src0_sel:BYTE_0 src1_sel:BYTE_0
	s_and_b64 s[2:3], s[2:3], s[4:5]
	s_or_b64 s[0:1], s[0:1], s[2:3]
	v_cndmask_b32_e64 v13, v4, v3, s[0:1]
	v_cndmask_b32_e64 v10, v9, v6, s[0:1]
	v_add_u32_e32 v12, 1, v13
	v_add_u32_e32 v10, -1, v10
	v_min_u32_e32 v10, v12, v10
	ds_read_u8 v10, v10
	v_cndmask_b32_e64 v4, v12, v4, s[0:1]
	v_cndmask_b32_e64 v3, v3, v12, s[0:1]
	v_cmp_gt_u32_e64 s[4:5], s17, v3
	v_cmp_ge_u32_e64 s[2:3], v4, v9
	s_waitcnt lgkmcnt(0)
	v_cndmask_b32_e64 v15, v10, v11, s[0:1]
	v_cndmask_b32_e64 v10, v7, v10, s[0:1]
	v_and_b32_e32 v12, v15, v2
	v_and_b32_e32 v16, v10, v2
	v_cmp_le_u16_sdwa s[8:9], v12, v16 src0_sel:BYTE_0 src1_sel:BYTE_0
	s_and_b64 s[4:5], s[4:5], s[8:9]
	s_or_b64 s[2:3], s[2:3], s[4:5]
	v_cndmask_b32_e64 v12, v4, v3, s[2:3]
	v_cndmask_b32_e64 v6, v9, v6, s[2:3]
	v_add_u32_e32 v16, 1, v12
	v_add_u32_e32 v6, -1, v6
	v_min_u32_e32 v6, v16, v6
	ds_read_u8 v17, v6
	v_cndmask_b32_e32 v1, v5, v1, vcc
	v_cndmask_b32_e64 v6, v11, v7, s[0:1]
	v_cndmask_b32_e64 v7, v15, v10, s[2:3]
	;; [unrolled: 1-line block ×3, first 2 shown]
	s_waitcnt lgkmcnt(0)
	v_cndmask_b32_e64 v5, v17, v15, s[2:3]
	v_cndmask_b32_e64 v10, v10, v17, s[2:3]
	v_and_b32_e32 v11, v5, v2
	v_and_b32_e32 v2, v10, v2
	v_cndmask_b32_e64 v4, v16, v4, s[2:3]
	v_cmp_gt_u32_e64 s[0:1], s17, v3
	v_cmp_le_u16_sdwa s[2:3], v11, v2 src0_sel:BYTE_0 src1_sel:BYTE_0
	v_cmp_ge_u32_e32 vcc, v4, v9
	s_and_b64 s[0:1], s[0:1], s[2:3]
	s_or_b64 vcc, vcc, s[0:1]
	v_cndmask_b32_e32 v11, v4, v3, vcc
	v_cndmask_b32_e32 v10, v5, v10, vcc
.LBB165_23:
	s_or_b64 exec, exec, s[6:7]
	s_lshl_b64 s[0:1], s[22:23], 3
	s_add_u32 s19, s12, s0
	s_addc_u32 s26, s13, s1
	s_lshl_b64 s[0:1], s[24:25], 3
	s_add_u32 s28, s12, s0
	v_cndmask_b32_e64 v2, 0, 1, s[20:21]
	s_addc_u32 s29, s13, s1
	v_cmp_gt_u32_e64 s[4:5], s17, v0
	v_cmp_ne_u32_e64 s[0:1], 1, v2
	s_andn2_b64 vcc, exec, s[20:21]
	v_cmp_le_u32_e64 s[2:3], s17, v0
	s_barrier
	s_cbranch_vccnz .LBB165_25
; %bb.24:
	v_subrev_u32_e32 v2, s17, v0
	v_mov_b32_e32 v3, 0
	v_lshlrev_b64 v[4:5], 3, v[2:3]
	v_mov_b32_e32 v2, s29
	v_add_co_u32_e32 v4, vcc, s28, v4
	v_addc_co_u32_e32 v2, vcc, v2, v5, vcc
	v_lshlrev_b32_e32 v20, 3, v0
	v_mov_b32_e32 v5, s26
	v_add_co_u32_e32 v21, vcc, s19, v20
	v_addc_co_u32_e32 v22, vcc, 0, v5, vcc
	v_cndmask_b32_e64 v5, v2, v22, s[4:5]
	v_cndmask_b32_e64 v4, v4, v21, s[4:5]
	v_or_b32_e32 v15, 0x100, v0
	s_movk_i32 s4, 0x800
	v_add_co_u32_e32 v18, vcc, s4, v21
	v_subrev_u32_e32 v2, s17, v15
	v_addc_co_u32_e32 v19, vcc, 0, v22, vcc
	v_lshlrev_b64 v[16:17], 3, v[2:3]
	v_mov_b32_e32 v2, s29
	v_add_co_u32_e32 v16, vcc, s28, v16
	v_addc_co_u32_e32 v2, vcc, v2, v17, vcc
	v_cmp_gt_u32_e32 vcc, s17, v15
	v_or_b32_e32 v15, 0x200, v0
	s_movk_i32 s4, 0x1000
	v_cndmask_b32_e32 v17, v2, v19, vcc
	v_cndmask_b32_e32 v16, v16, v18, vcc
	v_add_co_u32_e32 v23, vcc, s4, v21
	v_subrev_u32_e32 v2, s17, v15
	v_addc_co_u32_e32 v24, vcc, 0, v22, vcc
	v_lshlrev_b64 v[18:19], 3, v[2:3]
	v_mov_b32_e32 v2, s29
	v_add_co_u32_e32 v18, vcc, s28, v18
	v_addc_co_u32_e32 v2, vcc, v2, v19, vcc
	v_cmp_gt_u32_e32 vcc, s17, v15
	global_load_dwordx2 v[4:5], v[4:5], off
	v_cndmask_b32_e32 v19, v2, v24, vcc
	global_load_dwordx2 v[16:17], v[16:17], off
	v_cndmask_b32_e32 v18, v18, v23, vcc
	global_load_dwordx2 v[18:19], v[18:19], off
	v_or_b32_e32 v23, 0x300, v0
	s_movk_i32 s4, 0x1800
	v_add_co_u32_e32 v21, vcc, s4, v21
	v_subrev_u32_e32 v2, s17, v23
	v_addc_co_u32_e32 v22, vcc, 0, v22, vcc
	v_lshlrev_b64 v[2:3], 3, v[2:3]
	v_mov_b32_e32 v24, s29
	v_add_co_u32_e32 v2, vcc, s28, v2
	v_addc_co_u32_e32 v3, vcc, v24, v3, vcc
	v_cmp_gt_u32_e32 vcc, s17, v23
	v_or_b32_e32 v15, 0x1800, v20
	v_cndmask_b32_e32 v3, v3, v22, vcc
	v_cndmask_b32_e32 v2, v2, v21, vcc
	s_mov_b64 s[4:5], -1
	s_waitcnt vmcnt(1)
	ds_write2st64_b64 v20, v[4:5], v[16:17] offset1:4
	s_waitcnt vmcnt(0)
	ds_write_b64 v20, v[18:19] offset:4096
	s_cbranch_execz .LBB165_26
	s_branch .LBB165_47
.LBB165_25:
	s_mov_b64 s[4:5], 0
                                        ; implicit-def: $vgpr15
                                        ; implicit-def: $vgpr2_vgpr3
.LBB165_26:
	s_mov_b64 s[6:7], 0
                                        ; implicit-def: $vgpr2_vgpr3
	s_and_saveexec_b64 s[8:9], s[2:3]
	s_xor_b64 s[2:3], exec, s[8:9]
	s_cbranch_execz .LBB165_51
; %bb.27:
	v_subrev_u32_e32 v4, s17, v0
	v_cmp_gt_u32_e32 vcc, s27, v4
                                        ; implicit-def: $vgpr2_vgpr3
	s_and_saveexec_b64 s[8:9], vcc
	s_xor_b64 s[8:9], exec, s[8:9]
; %bb.28:
	v_mov_b32_e32 v5, 0
	v_lshlrev_b64 v[2:3], 3, v[4:5]
	v_mov_b32_e32 v4, s29
	v_add_co_u32_e32 v2, vcc, s28, v2
	s_mov_b64 s[6:7], exec
	v_addc_co_u32_e32 v3, vcc, v4, v3, vcc
; %bb.29:
	s_or_b64 exec, exec, s[8:9]
	s_and_b64 s[6:7], s[6:7], exec
	s_andn2_saveexec_b64 s[2:3], s[2:3]
	s_cbranch_execnz .LBB165_52
.LBB165_30:
	s_or_b64 exec, exec, s[2:3]
	v_mad_u32_u24 v15, v0, 7, v0
	s_and_saveexec_b64 s[2:3], s[6:7]
	s_cbranch_execz .LBB165_32
.LBB165_31:
	global_load_dwordx2 v[2:3], v[2:3], off
	s_waitcnt vmcnt(0)
	ds_write_b64 v15, v[2:3]
.LBB165_32:
	s_or_b64 exec, exec, s[2:3]
	v_or_b32_e32 v2, 0x100, v0
	v_cmp_le_u32_e32 vcc, s17, v2
	s_mov_b64 s[6:7], -1
	v_pk_mov_b32 v[4:5], s[22:23], s[22:23] op_sel:[0,1]
	s_and_saveexec_b64 s[2:3], vcc
; %bb.33:
	v_subrev_u32_e32 v2, s17, v2
	v_cmp_gt_u32_e32 vcc, s27, v2
	v_pk_mov_b32 v[4:5], s[24:25], s[24:25] op_sel:[0,1]
	s_orn2_b64 s[6:7], vcc, exec
; %bb.34:
	s_or_b64 exec, exec, s[2:3]
	s_and_saveexec_b64 s[2:3], s[6:7]
	s_cbranch_execz .LBB165_36
; %bb.35:
	v_lshlrev_b64 v[4:5], 3, v[4:5]
	v_mov_b32_e32 v3, s13
	v_add_co_u32_e32 v4, vcc, s12, v4
	v_addc_co_u32_e32 v5, vcc, v3, v5, vcc
	v_mov_b32_e32 v3, 0
	v_lshlrev_b64 v[2:3], 3, v[2:3]
	v_add_co_u32_e32 v2, vcc, v4, v2
	v_addc_co_u32_e32 v3, vcc, v5, v3, vcc
	global_load_dwordx2 v[2:3], v[2:3], off
	s_waitcnt vmcnt(0)
	ds_write_b64 v15, v[2:3] offset:2048
.LBB165_36:
	s_or_b64 exec, exec, s[2:3]
	v_or_b32_e32 v2, 0x200, v0
	v_cmp_le_u32_e32 vcc, s17, v2
	s_mov_b64 s[6:7], -1
	v_pk_mov_b32 v[4:5], s[22:23], s[22:23] op_sel:[0,1]
	s_and_saveexec_b64 s[2:3], vcc
; %bb.37:
	v_subrev_u32_e32 v2, s17, v2
	v_cmp_gt_u32_e32 vcc, s27, v2
	v_pk_mov_b32 v[4:5], s[24:25], s[24:25] op_sel:[0,1]
	s_orn2_b64 s[6:7], vcc, exec
; %bb.38:
	s_or_b64 exec, exec, s[2:3]
	s_and_saveexec_b64 s[2:3], s[6:7]
	s_cbranch_execz .LBB165_40
; %bb.39:
	v_lshlrev_b64 v[4:5], 3, v[4:5]
	v_mov_b32_e32 v3, s13
	v_add_co_u32_e32 v4, vcc, s12, v4
	v_addc_co_u32_e32 v5, vcc, v3, v5, vcc
	v_mov_b32_e32 v3, 0
	v_lshlrev_b64 v[2:3], 3, v[2:3]
	v_add_co_u32_e32 v2, vcc, v4, v2
	v_addc_co_u32_e32 v3, vcc, v5, v3, vcc
	global_load_dwordx2 v[2:3], v[2:3], off
	s_waitcnt vmcnt(0)
	ds_write_b64 v15, v[2:3] offset:4096
.LBB165_40:
	s_or_b64 exec, exec, s[2:3]
	v_or_b32_e32 v4, 0x300, v0
	v_cmp_le_u32_e32 vcc, s17, v4
                                        ; implicit-def: $vgpr15
                                        ; implicit-def: $vgpr2_vgpr3
	s_and_saveexec_b64 s[2:3], vcc
	s_xor_b64 s[2:3], exec, s[2:3]
	s_cbranch_execz .LBB165_44
; %bb.41:
	v_subrev_u32_e32 v4, s17, v4
	v_cmp_gt_u32_e32 vcc, s27, v4
	s_mov_b64 s[8:9], s[4:5]
                                        ; implicit-def: $vgpr15
                                        ; implicit-def: $vgpr2_vgpr3
	s_and_saveexec_b64 s[6:7], vcc
; %bb.42:
	v_mul_u32_u24_e32 v2, 7, v0
	s_movk_i32 s8, 0x1800
	v_mov_b32_e32 v5, 0
	v_add3_u32 v15, v0, v2, s8
	v_lshlrev_b64 v[2:3], 3, v[4:5]
	v_mov_b32_e32 v4, s29
	v_add_co_u32_e32 v2, vcc, s28, v2
	v_addc_co_u32_e32 v3, vcc, v4, v3, vcc
	s_or_b64 s[8:9], s[4:5], exec
; %bb.43:
	s_or_b64 exec, exec, s[6:7]
	s_andn2_b64 s[4:5], s[4:5], exec
	s_and_b64 s[6:7], s[8:9], exec
	s_or_b64 s[4:5], s[4:5], s[6:7]
                                        ; implicit-def: $vgpr4
.LBB165_44:
	s_andn2_saveexec_b64 s[2:3], s[2:3]
; %bb.45:
	v_lshlrev_b32_e32 v2, 3, v4
	v_mov_b32_e32 v3, s26
	v_add_co_u32_e32 v2, vcc, s19, v2
	v_mul_u32_u24_e32 v4, 7, v0
	s_movk_i32 s6, 0x1800
	v_addc_co_u32_e32 v3, vcc, 0, v3, vcc
	v_add3_u32 v15, v0, v4, s6
	s_or_b64 s[4:5], s[4:5], exec
; %bb.46:
	s_or_b64 exec, exec, s[2:3]
.LBB165_47:
	s_and_saveexec_b64 s[2:3], s[4:5]
	s_cbranch_execz .LBB165_49
; %bb.48:
	global_load_dwordx2 v[2:3], v[2:3], off
	s_waitcnt vmcnt(0)
	ds_write_b64 v15, v[2:3]
.LBB165_49:
	s_or_b64 exec, exec, s[2:3]
	s_and_b64 vcc, exec, s[0:1]
	v_add_u32_e32 v2, s18, v8
	s_waitcnt lgkmcnt(0)
	s_barrier
	s_cbranch_vccnz .LBB165_53
; %bb.50:
	v_lshlrev_b32_e32 v15, 3, v14
	v_lshlrev_b32_e32 v18, 3, v13
	;; [unrolled: 1-line block ×3, first 2 shown]
	ds_read_b64 v[16:17], v15
	ds_read_b64 v[18:19], v18
	;; [unrolled: 1-line block ×3, first 2 shown]
	v_mov_b32_e32 v3, 0
	v_lshlrev_b64 v[4:5], 3, v[2:3]
	v_mov_b32_e32 v22, s15
	v_add_co_u32_e32 v4, vcc, s14, v4
	v_addc_co_u32_e32 v5, vcc, v22, v5, vcc
	s_mov_b64 s[0:1], -1
	s_waitcnt lgkmcnt(1)
	global_store_dwordx4 v[4:5], v[16:19], off
	s_waitcnt lgkmcnt(0)
	global_store_dwordx2 v[4:5], v[20:21], off offset:16
	s_cbranch_execz .LBB165_54
	s_branch .LBB165_63
.LBB165_51:
	s_andn2_saveexec_b64 s[2:3], s[2:3]
	s_cbranch_execz .LBB165_30
.LBB165_52:
	v_lshlrev_b32_e32 v2, 3, v0
	v_mov_b32_e32 v3, s26
	v_add_co_u32_e32 v2, vcc, s19, v2
	v_addc_co_u32_e32 v3, vcc, 0, v3, vcc
	s_or_b64 s[6:7], s[6:7], exec
	s_or_b64 exec, exec, s[2:3]
	v_mad_u32_u24 v15, v0, 7, v0
	s_and_saveexec_b64 s[2:3], s[6:7]
	s_cbranch_execnz .LBB165_31
	s_branch .LBB165_32
.LBB165_53:
	s_mov_b64 s[0:1], 0
.LBB165_54:
	v_cmp_lt_u32_e32 vcc, v8, v9
	s_and_saveexec_b64 s[2:3], vcc
	s_cbranch_execz .LBB165_56
; %bb.55:
	v_lshlrev_b32_e32 v14, 3, v14
	ds_read_b64 v[14:15], v14
	v_mov_b32_e32 v3, 0
	v_lshlrev_b64 v[4:5], 3, v[2:3]
	v_mov_b32_e32 v3, s15
	v_add_co_u32_e32 v4, vcc, s14, v4
	v_addc_co_u32_e32 v5, vcc, v3, v5, vcc
	s_waitcnt lgkmcnt(0)
	global_store_dwordx2 v[4:5], v[14:15], off
.LBB165_56:
	s_or_b64 exec, exec, s[2:3]
	v_or_b32_e32 v3, 1, v8
	v_cmp_lt_u32_e32 vcc, v3, v9
	s_and_saveexec_b64 s[2:3], vcc
	s_cbranch_execz .LBB165_58
; %bb.57:
	v_lshlrev_b32_e32 v13, 3, v13
	ds_read_b64 v[14:15], v13
	v_mov_b32_e32 v3, 0
	v_lshlrev_b64 v[4:5], 3, v[2:3]
	v_mov_b32_e32 v3, s15
	v_add_co_u32_e32 v4, vcc, s14, v4
	v_addc_co_u32_e32 v5, vcc, v3, v5, vcc
	s_waitcnt lgkmcnt(0)
	global_store_dwordx2 v[4:5], v[14:15], off offset:8
.LBB165_58:
	s_or_b64 exec, exec, s[2:3]
	v_or_b32_e32 v3, 2, v8
	v_cmp_lt_u32_e32 vcc, v3, v9
	s_and_saveexec_b64 s[2:3], vcc
	s_cbranch_execz .LBB165_60
; %bb.59:
	v_lshlrev_b32_e32 v12, 3, v12
	ds_read_b64 v[12:13], v12
	v_mov_b32_e32 v3, 0
	v_lshlrev_b64 v[4:5], 3, v[2:3]
	v_mov_b32_e32 v3, s15
	v_add_co_u32_e32 v4, vcc, s14, v4
	v_addc_co_u32_e32 v5, vcc, v3, v5, vcc
	s_waitcnt lgkmcnt(0)
	global_store_dwordx2 v[4:5], v[12:13], off offset:16
.LBB165_60:
	s_or_b64 exec, exec, s[2:3]
	v_or_b32_e32 v3, 3, v8
	v_cmp_lt_u32_e32 vcc, v3, v9
	s_and_saveexec_b64 s[2:3], vcc
; %bb.61:
	v_mov_b32_e32 v3, 0
	s_or_b64 s[0:1], s[0:1], exec
; %bb.62:
	s_or_b64 exec, exec, s[2:3]
.LBB165_63:
	s_and_saveexec_b64 s[2:3], s[0:1]
	s_cbranch_execz .LBB165_65
; %bb.64:
	v_lshlrev_b32_e32 v4, 3, v11
	ds_read_b64 v[4:5], v4
	v_lshlrev_b64 v[2:3], 3, v[2:3]
	v_mov_b32_e32 v9, s15
	v_add_co_u32_e32 v2, vcc, s14, v2
	v_addc_co_u32_e32 v3, vcc, v9, v3, vcc
	s_waitcnt lgkmcnt(0)
	global_store_dwordx2 v[2:3], v[4:5], off offset:24
.LBB165_65:
	s_or_b64 exec, exec, s[2:3]
	v_lshlrev_b16_e32 v3, 8, v6
	v_lshrrev_b32_e32 v2, 3, v0
	v_or_b32_sdwa v1, v1, v3 dst_sel:DWORD dst_unused:UNUSED_PAD src0_sel:BYTE_0 src1_sel:DWORD
	v_lshlrev_b16_e32 v3, 8, v10
	v_and_b32_e32 v2, 28, v2
	v_or_b32_sdwa v3, v7, v3 dst_sel:WORD_1 dst_unused:UNUSED_PAD src0_sel:BYTE_0 src1_sel:DWORD
	v_add_u32_e32 v2, v2, v8
	v_or_b32_sdwa v1, v1, v3 dst_sel:DWORD dst_unused:UNUSED_PAD src0_sel:WORD_0 src1_sel:DWORD
	s_barrier
	s_barrier
	ds_write_b32 v2, v1
	v_lshrrev_b32_e32 v1, 5, v0
	v_or_b32_e32 v5, 0x100, v0
	v_and_b32_e32 v6, 4, v1
	v_lshrrev_b32_e32 v1, 5, v5
	v_or_b32_e32 v4, 0x200, v0
	v_and_b32_e32 v7, 12, v1
	v_lshrrev_b32_e32 v1, 5, v4
	s_add_u32 s0, s10, s18
	v_and_b32_e32 v9, 20, v1
	v_or_b32_e32 v1, 0x300, v0
	s_addc_u32 s1, s11, 0
	v_lshrrev_b32_e32 v2, 5, v1
	v_and_b32_e32 v10, 28, v2
	v_mov_b32_e32 v3, s1
	v_add_co_u32_e32 v2, vcc, s0, v0
	v_addc_co_u32_e32 v3, vcc, 0, v3, vcc
	s_and_b64 vcc, exec, s[20:21]
	v_add_u32_e32 v8, v0, v7
	v_add_u32_e32 v9, v0, v9
	v_add_u32_e32 v10, v0, v10
	s_waitcnt lgkmcnt(0)
	s_cbranch_vccz .LBB165_67
; %bb.66:
	v_add_u32_e32 v7, v0, v6
	s_barrier
	ds_read_u8 v11, v7
	ds_read_u8 v12, v8 offset:256
	ds_read_u8 v13, v9 offset:512
	ds_read_u8 v7, v10 offset:768
	s_waitcnt lgkmcnt(3)
	global_store_byte v[2:3], v11, off
	s_waitcnt lgkmcnt(2)
	global_store_byte v[2:3], v12, off offset:256
	s_waitcnt lgkmcnt(1)
	global_store_byte v[2:3], v13, off offset:512
	s_mov_b64 s[0:1], -1
	s_cbranch_execz .LBB165_68
	s_branch .LBB165_73
.LBB165_67:
	s_mov_b64 s[0:1], 0
                                        ; implicit-def: $vgpr7
.LBB165_68:
	s_barrier
	s_waitcnt lgkmcnt(0)
	ds_read_u8 v11, v8 offset:256
	ds_read_u8 v8, v9 offset:512
	;; [unrolled: 1-line block ×3, first 2 shown]
	s_sub_i32 s2, s16, s18
	v_cmp_gt_u32_e32 vcc, s2, v0
	s_and_saveexec_b64 s[0:1], vcc
	s_cbranch_execz .LBB165_76
; %bb.69:
	v_add_u32_e32 v0, v0, v6
	ds_read_u8 v0, v0
	s_waitcnt lgkmcnt(0)
	global_store_byte v[2:3], v0, off
	s_or_b64 exec, exec, s[0:1]
	v_cmp_gt_u32_e32 vcc, s2, v5
	s_and_saveexec_b64 s[0:1], vcc
	s_cbranch_execnz .LBB165_77
.LBB165_70:
	s_or_b64 exec, exec, s[0:1]
	v_cmp_gt_u32_e32 vcc, s2, v4
	s_and_saveexec_b64 s[0:1], vcc
	s_cbranch_execz .LBB165_72
.LBB165_71:
	s_waitcnt lgkmcnt(1)
	global_store_byte v[2:3], v8, off offset:512
.LBB165_72:
	s_or_b64 exec, exec, s[0:1]
	v_cmp_gt_u32_e64 s[0:1], s2, v1
.LBB165_73:
	s_and_saveexec_b64 s[2:3], s[0:1]
	s_cbranch_execz .LBB165_75
; %bb.74:
	s_waitcnt lgkmcnt(0)
	global_store_byte v[2:3], v7, off offset:768
.LBB165_75:
	s_endpgm
.LBB165_76:
	s_or_b64 exec, exec, s[0:1]
	v_cmp_gt_u32_e32 vcc, s2, v5
	s_and_saveexec_b64 s[0:1], vcc
	s_cbranch_execz .LBB165_70
.LBB165_77:
	s_waitcnt lgkmcnt(2)
	global_store_byte v[2:3], v11, off offset:256
	s_or_b64 exec, exec, s[0:1]
	v_cmp_gt_u32_e32 vcc, s2, v4
	s_and_saveexec_b64 s[0:1], vcc
	s_cbranch_execnz .LBB165_71
	s_branch .LBB165_72
	.section	.rodata,"a",@progbits
	.p2align	6, 0x0
	.amdhsa_kernel _ZN7rocprim17ROCPRIM_304000_NS6detail35device_block_merge_mergepath_kernelINS1_37wrapped_merge_sort_block_merge_configINS0_14default_configEbN2at4cuda3cub6detail10OpaqueTypeILi8EEEEEPbSC_PSA_SD_jNS1_19radix_merge_compareILb1ELb1EbNS0_19identity_decomposerEEEEEvT0_T1_T2_T3_T4_SL_jT5_PKSL_NS1_7vsmem_tE
		.amdhsa_group_segment_fixed_size 8208
		.amdhsa_private_segment_fixed_size 0
		.amdhsa_kernarg_size 320
		.amdhsa_user_sgpr_count 6
		.amdhsa_user_sgpr_private_segment_buffer 1
		.amdhsa_user_sgpr_dispatch_ptr 0
		.amdhsa_user_sgpr_queue_ptr 0
		.amdhsa_user_sgpr_kernarg_segment_ptr 1
		.amdhsa_user_sgpr_dispatch_id 0
		.amdhsa_user_sgpr_flat_scratch_init 0
		.amdhsa_user_sgpr_kernarg_preload_length 0
		.amdhsa_user_sgpr_kernarg_preload_offset 0
		.amdhsa_user_sgpr_private_segment_size 0
		.amdhsa_uses_dynamic_stack 0
		.amdhsa_system_sgpr_private_segment_wavefront_offset 0
		.amdhsa_system_sgpr_workgroup_id_x 1
		.amdhsa_system_sgpr_workgroup_id_y 1
		.amdhsa_system_sgpr_workgroup_id_z 1
		.amdhsa_system_sgpr_workgroup_info 0
		.amdhsa_system_vgpr_workitem_id 0
		.amdhsa_next_free_vgpr 25
		.amdhsa_next_free_sgpr 30
		.amdhsa_accum_offset 28
		.amdhsa_reserve_vcc 1
		.amdhsa_reserve_flat_scratch 0
		.amdhsa_float_round_mode_32 0
		.amdhsa_float_round_mode_16_64 0
		.amdhsa_float_denorm_mode_32 3
		.amdhsa_float_denorm_mode_16_64 3
		.amdhsa_dx10_clamp 1
		.amdhsa_ieee_mode 1
		.amdhsa_fp16_overflow 0
		.amdhsa_tg_split 0
		.amdhsa_exception_fp_ieee_invalid_op 0
		.amdhsa_exception_fp_denorm_src 0
		.amdhsa_exception_fp_ieee_div_zero 0
		.amdhsa_exception_fp_ieee_overflow 0
		.amdhsa_exception_fp_ieee_underflow 0
		.amdhsa_exception_fp_ieee_inexact 0
		.amdhsa_exception_int_div_zero 0
	.end_amdhsa_kernel
	.section	.text._ZN7rocprim17ROCPRIM_304000_NS6detail35device_block_merge_mergepath_kernelINS1_37wrapped_merge_sort_block_merge_configINS0_14default_configEbN2at4cuda3cub6detail10OpaqueTypeILi8EEEEEPbSC_PSA_SD_jNS1_19radix_merge_compareILb1ELb1EbNS0_19identity_decomposerEEEEEvT0_T1_T2_T3_T4_SL_jT5_PKSL_NS1_7vsmem_tE,"axG",@progbits,_ZN7rocprim17ROCPRIM_304000_NS6detail35device_block_merge_mergepath_kernelINS1_37wrapped_merge_sort_block_merge_configINS0_14default_configEbN2at4cuda3cub6detail10OpaqueTypeILi8EEEEEPbSC_PSA_SD_jNS1_19radix_merge_compareILb1ELb1EbNS0_19identity_decomposerEEEEEvT0_T1_T2_T3_T4_SL_jT5_PKSL_NS1_7vsmem_tE,comdat
.Lfunc_end165:
	.size	_ZN7rocprim17ROCPRIM_304000_NS6detail35device_block_merge_mergepath_kernelINS1_37wrapped_merge_sort_block_merge_configINS0_14default_configEbN2at4cuda3cub6detail10OpaqueTypeILi8EEEEEPbSC_PSA_SD_jNS1_19radix_merge_compareILb1ELb1EbNS0_19identity_decomposerEEEEEvT0_T1_T2_T3_T4_SL_jT5_PKSL_NS1_7vsmem_tE, .Lfunc_end165-_ZN7rocprim17ROCPRIM_304000_NS6detail35device_block_merge_mergepath_kernelINS1_37wrapped_merge_sort_block_merge_configINS0_14default_configEbN2at4cuda3cub6detail10OpaqueTypeILi8EEEEEPbSC_PSA_SD_jNS1_19radix_merge_compareILb1ELb1EbNS0_19identity_decomposerEEEEEvT0_T1_T2_T3_T4_SL_jT5_PKSL_NS1_7vsmem_tE
                                        ; -- End function
	.section	.AMDGPU.csdata,"",@progbits
; Kernel info:
; codeLenInByte = 3288
; NumSgprs: 34
; NumVgprs: 25
; NumAgprs: 0
; TotalNumVgprs: 25
; ScratchSize: 0
; MemoryBound: 1
; FloatMode: 240
; IeeeMode: 1
; LDSByteSize: 8208 bytes/workgroup (compile time only)
; SGPRBlocks: 4
; VGPRBlocks: 3
; NumSGPRsForWavesPerEU: 34
; NumVGPRsForWavesPerEU: 25
; AccumOffset: 28
; Occupancy: 7
; WaveLimiterHint : 1
; COMPUTE_PGM_RSRC2:SCRATCH_EN: 0
; COMPUTE_PGM_RSRC2:USER_SGPR: 6
; COMPUTE_PGM_RSRC2:TRAP_HANDLER: 0
; COMPUTE_PGM_RSRC2:TGID_X_EN: 1
; COMPUTE_PGM_RSRC2:TGID_Y_EN: 1
; COMPUTE_PGM_RSRC2:TGID_Z_EN: 1
; COMPUTE_PGM_RSRC2:TIDIG_COMP_CNT: 0
; COMPUTE_PGM_RSRC3_GFX90A:ACCUM_OFFSET: 6
; COMPUTE_PGM_RSRC3_GFX90A:TG_SPLIT: 0
	.section	.text._ZN7rocprim17ROCPRIM_304000_NS6detail33device_block_merge_oddeven_kernelINS1_37wrapped_merge_sort_block_merge_configINS0_14default_configEbN2at4cuda3cub6detail10OpaqueTypeILi8EEEEEPbSC_PSA_SD_jNS1_19radix_merge_compareILb1ELb1EbNS0_19identity_decomposerEEEEEvT0_T1_T2_T3_T4_SL_T5_,"axG",@progbits,_ZN7rocprim17ROCPRIM_304000_NS6detail33device_block_merge_oddeven_kernelINS1_37wrapped_merge_sort_block_merge_configINS0_14default_configEbN2at4cuda3cub6detail10OpaqueTypeILi8EEEEEPbSC_PSA_SD_jNS1_19radix_merge_compareILb1ELb1EbNS0_19identity_decomposerEEEEEvT0_T1_T2_T3_T4_SL_T5_,comdat
	.protected	_ZN7rocprim17ROCPRIM_304000_NS6detail33device_block_merge_oddeven_kernelINS1_37wrapped_merge_sort_block_merge_configINS0_14default_configEbN2at4cuda3cub6detail10OpaqueTypeILi8EEEEEPbSC_PSA_SD_jNS1_19radix_merge_compareILb1ELb1EbNS0_19identity_decomposerEEEEEvT0_T1_T2_T3_T4_SL_T5_ ; -- Begin function _ZN7rocprim17ROCPRIM_304000_NS6detail33device_block_merge_oddeven_kernelINS1_37wrapped_merge_sort_block_merge_configINS0_14default_configEbN2at4cuda3cub6detail10OpaqueTypeILi8EEEEEPbSC_PSA_SD_jNS1_19radix_merge_compareILb1ELb1EbNS0_19identity_decomposerEEEEEvT0_T1_T2_T3_T4_SL_T5_
	.globl	_ZN7rocprim17ROCPRIM_304000_NS6detail33device_block_merge_oddeven_kernelINS1_37wrapped_merge_sort_block_merge_configINS0_14default_configEbN2at4cuda3cub6detail10OpaqueTypeILi8EEEEEPbSC_PSA_SD_jNS1_19radix_merge_compareILb1ELb1EbNS0_19identity_decomposerEEEEEvT0_T1_T2_T3_T4_SL_T5_
	.p2align	8
	.type	_ZN7rocprim17ROCPRIM_304000_NS6detail33device_block_merge_oddeven_kernelINS1_37wrapped_merge_sort_block_merge_configINS0_14default_configEbN2at4cuda3cub6detail10OpaqueTypeILi8EEEEEPbSC_PSA_SD_jNS1_19radix_merge_compareILb1ELb1EbNS0_19identity_decomposerEEEEEvT0_T1_T2_T3_T4_SL_T5_,@function
_ZN7rocprim17ROCPRIM_304000_NS6detail33device_block_merge_oddeven_kernelINS1_37wrapped_merge_sort_block_merge_configINS0_14default_configEbN2at4cuda3cub6detail10OpaqueTypeILi8EEEEEPbSC_PSA_SD_jNS1_19radix_merge_compareILb1ELb1EbNS0_19identity_decomposerEEEEEvT0_T1_T2_T3_T4_SL_T5_: ; @_ZN7rocprim17ROCPRIM_304000_NS6detail33device_block_merge_oddeven_kernelINS1_37wrapped_merge_sort_block_merge_configINS0_14default_configEbN2at4cuda3cub6detail10OpaqueTypeILi8EEEEEPbSC_PSA_SD_jNS1_19radix_merge_compareILb1ELb1EbNS0_19identity_decomposerEEEEEvT0_T1_T2_T3_T4_SL_T5_
; %bb.0:
	s_load_dwordx4 s[16:19], s[4:5], 0x20
	s_waitcnt lgkmcnt(0)
	s_lshr_b32 s2, s16, 8
	s_cmp_lg_u32 s6, s2
	s_cselect_b64 s[0:1], -1, 0
	s_cmp_eq_u32 s6, s2
	s_cselect_b64 s[20:21], -1, 0
	s_lshl_b32 s22, s6, 8
	s_sub_i32 s2, s16, s22
	v_cmp_gt_u32_e64 s[2:3], s2, v0
	s_or_b64 s[0:1], s[0:1], s[2:3]
	s_and_saveexec_b64 s[8:9], s[0:1]
	s_cbranch_execz .LBB166_26
; %bb.1:
	s_load_dwordx8 s[8:15], s[4:5], 0x0
	s_mov_b32 s23, 0
	v_lshlrev_b32_e32 v1, 3, v0
	v_add_u32_e32 v4, s22, v0
	s_waitcnt lgkmcnt(0)
	s_add_u32 s0, s8, s22
	s_addc_u32 s1, s9, 0
	s_lshl_b64 s[4:5], s[22:23], 3
	s_add_u32 s4, s12, s4
	s_addc_u32 s5, s13, s5
	global_load_dwordx2 v[2:3], v1, s[4:5]
	global_load_ubyte v6, v0, s[0:1]
	s_lshr_b32 s0, s17, 8
	s_sub_i32 s1, 0, s0
	s_and_b32 s1, s6, s1
	s_and_b32 s0, s1, s0
	s_lshl_b32 s23, s1, 8
	s_sub_i32 s6, 0, s17
	s_cmp_eq_u32 s0, 0
	s_cselect_b64 s[0:1], -1, 0
	s_and_b64 s[4:5], s[0:1], exec
	s_cselect_b32 s19, s17, s6
	s_add_i32 s19, s19, s23
	s_cmp_lt_u32 s19, s16
	s_cbranch_scc1 .LBB166_6
; %bb.2:
	s_and_b64 vcc, exec, s[20:21]
	s_cbranch_vccz .LBB166_7
; %bb.3:
	v_cmp_gt_u32_e32 vcc, s16, v4
	s_mov_b64 s[6:7], 0
	s_mov_b64 s[4:5], 0
                                        ; implicit-def: $vgpr0_vgpr1
	s_and_saveexec_b64 s[12:13], vcc
	s_cbranch_execz .LBB166_5
; %bb.4:
	v_mov_b32_e32 v5, 0
	v_lshlrev_b64 v[0:1], 3, v[4:5]
	v_mov_b32_e32 v5, s15
	v_add_co_u32_e32 v0, vcc, s14, v0
	s_mov_b64 s[4:5], exec
	v_addc_co_u32_e32 v1, vcc, v5, v1, vcc
	s_waitcnt vmcnt(0)
	global_store_byte v4, v6, s[10:11]
.LBB166_5:
	s_or_b64 exec, exec, s[12:13]
	s_and_b64 vcc, exec, s[6:7]
	s_cbranch_vccnz .LBB166_8
	s_branch .LBB166_9
.LBB166_6:
	s_mov_b64 s[4:5], 0
                                        ; implicit-def: $vgpr0_vgpr1
	s_cbranch_execnz .LBB166_10
	s_branch .LBB166_24
.LBB166_7:
	s_mov_b64 s[4:5], 0
                                        ; implicit-def: $vgpr0_vgpr1
	s_cbranch_execz .LBB166_9
.LBB166_8:
	v_mov_b32_e32 v5, 0
	v_lshlrev_b64 v[0:1], 3, v[4:5]
	v_mov_b32_e32 v5, s15
	v_add_co_u32_e32 v0, vcc, s14, v0
	v_addc_co_u32_e32 v1, vcc, v5, v1, vcc
	s_or_b64 s[4:5], s[4:5], exec
	s_waitcnt vmcnt(0)
	global_store_byte v4, v6, s[10:11]
.LBB166_9:
	s_branch .LBB166_24
.LBB166_10:
	s_min_u32 s12, s19, s16
	s_add_i32 s6, s12, s17
	s_min_u32 s13, s6, s16
	s_min_u32 s6, s23, s12
	s_add_i32 s23, s23, s12
	v_subrev_u32_e32 v0, s23, v4
	v_and_b32_e64 v5, s18, 1
	v_add_u32_e32 v4, s6, v0
	s_and_b64 vcc, exec, s[20:21]
	s_cbranch_vccz .LBB166_18
; %bb.11:
                                        ; implicit-def: $vgpr0_vgpr1
	s_and_saveexec_b64 s[6:7], s[2:3]
	s_cbranch_execz .LBB166_17
; %bb.12:
	s_cmp_ge_u32 s19, s13
	v_mov_b32_e32 v0, s12
	s_cbranch_scc1 .LBB166_16
; %bb.13:
	s_waitcnt vmcnt(0)
	v_and_b32_e32 v1, v6, v5
	s_mov_b64 s[2:3], 0
	v_mov_b32_e32 v7, s13
	v_mov_b32_e32 v0, s12
.LBB166_14:                             ; =>This Inner Loop Header: Depth=1
	v_add_u32_e32 v8, v0, v7
	v_lshrrev_b32_e32 v8, 1, v8
	global_load_ubyte v9, v8, s[8:9]
	v_add_u32_e32 v10, 1, v8
	s_waitcnt vmcnt(0)
	v_and_b32_e32 v9, v9, v5
	v_cmp_gt_u16_e32 vcc, v9, v1
	v_cndmask_b32_e64 v11, 0, 1, vcc
	v_cmp_le_u16_e32 vcc, v1, v9
	v_cndmask_b32_e64 v9, 0, 1, vcc
	v_cndmask_b32_e64 v9, v9, v11, s[0:1]
	v_and_b32_e32 v9, 1, v9
	v_cmp_eq_u32_e32 vcc, 1, v9
	v_cndmask_b32_e32 v7, v8, v7, vcc
	v_cndmask_b32_e32 v0, v0, v10, vcc
	v_cmp_ge_u32_e32 vcc, v0, v7
	s_or_b64 s[2:3], vcc, s[2:3]
	s_andn2_b64 exec, exec, s[2:3]
	s_cbranch_execnz .LBB166_14
; %bb.15:
	s_or_b64 exec, exec, s[2:3]
.LBB166_16:
	v_add_u32_e32 v0, v0, v4
	v_mov_b32_e32 v1, 0
	s_waitcnt vmcnt(0)
	global_store_byte v0, v6, s[10:11]
	v_lshlrev_b64 v[0:1], 3, v[0:1]
	v_mov_b32_e32 v7, s15
	v_add_co_u32_e32 v0, vcc, s14, v0
	v_addc_co_u32_e32 v1, vcc, v7, v1, vcc
	s_or_b64 s[4:5], s[4:5], exec
.LBB166_17:
	s_or_b64 exec, exec, s[6:7]
	s_branch .LBB166_24
.LBB166_18:
                                        ; implicit-def: $vgpr0_vgpr1
	s_cbranch_execz .LBB166_24
; %bb.19:
	s_cmp_ge_u32 s19, s13
	v_mov_b32_e32 v0, s12
	s_cbranch_scc1 .LBB166_23
; %bb.20:
	s_waitcnt vmcnt(0)
	v_and_b32_e32 v1, v6, v5
	s_mov_b64 s[2:3], 0
	v_mov_b32_e32 v7, s13
	v_mov_b32_e32 v0, s12
.LBB166_21:                             ; =>This Inner Loop Header: Depth=1
	v_add_u32_e32 v8, v0, v7
	v_lshrrev_b32_e32 v8, 1, v8
	global_load_ubyte v9, v8, s[8:9]
	v_add_u32_e32 v10, 1, v8
	s_waitcnt vmcnt(0)
	v_and_b32_e32 v9, v9, v5
	v_cmp_gt_u16_e32 vcc, v9, v1
	v_cndmask_b32_e64 v11, 0, 1, vcc
	v_cmp_le_u16_e32 vcc, v1, v9
	v_cndmask_b32_e64 v9, 0, 1, vcc
	v_cndmask_b32_e64 v9, v9, v11, s[0:1]
	v_and_b32_e32 v9, 1, v9
	v_cmp_eq_u32_e32 vcc, 1, v9
	v_cndmask_b32_e32 v7, v8, v7, vcc
	v_cndmask_b32_e32 v0, v0, v10, vcc
	v_cmp_ge_u32_e32 vcc, v0, v7
	s_or_b64 s[2:3], vcc, s[2:3]
	s_andn2_b64 exec, exec, s[2:3]
	s_cbranch_execnz .LBB166_21
; %bb.22:
	s_or_b64 exec, exec, s[2:3]
.LBB166_23:
	v_add_u32_e32 v0, v0, v4
	v_mov_b32_e32 v1, 0
	s_waitcnt vmcnt(0)
	global_store_byte v0, v6, s[10:11]
	v_lshlrev_b64 v[0:1], 3, v[0:1]
	v_mov_b32_e32 v4, s15
	v_add_co_u32_e32 v0, vcc, s14, v0
	v_addc_co_u32_e32 v1, vcc, v4, v1, vcc
	s_mov_b64 s[4:5], -1
.LBB166_24:
	s_and_b64 exec, exec, s[4:5]
	s_cbranch_execz .LBB166_26
; %bb.25:
	s_waitcnt vmcnt(1)
	global_store_dwordx2 v[0:1], v[2:3], off
.LBB166_26:
	s_endpgm
	.section	.rodata,"a",@progbits
	.p2align	6, 0x0
	.amdhsa_kernel _ZN7rocprim17ROCPRIM_304000_NS6detail33device_block_merge_oddeven_kernelINS1_37wrapped_merge_sort_block_merge_configINS0_14default_configEbN2at4cuda3cub6detail10OpaqueTypeILi8EEEEEPbSC_PSA_SD_jNS1_19radix_merge_compareILb1ELb1EbNS0_19identity_decomposerEEEEEvT0_T1_T2_T3_T4_SL_T5_
		.amdhsa_group_segment_fixed_size 0
		.amdhsa_private_segment_fixed_size 0
		.amdhsa_kernarg_size 44
		.amdhsa_user_sgpr_count 6
		.amdhsa_user_sgpr_private_segment_buffer 1
		.amdhsa_user_sgpr_dispatch_ptr 0
		.amdhsa_user_sgpr_queue_ptr 0
		.amdhsa_user_sgpr_kernarg_segment_ptr 1
		.amdhsa_user_sgpr_dispatch_id 0
		.amdhsa_user_sgpr_flat_scratch_init 0
		.amdhsa_user_sgpr_kernarg_preload_length 0
		.amdhsa_user_sgpr_kernarg_preload_offset 0
		.amdhsa_user_sgpr_private_segment_size 0
		.amdhsa_uses_dynamic_stack 0
		.amdhsa_system_sgpr_private_segment_wavefront_offset 0
		.amdhsa_system_sgpr_workgroup_id_x 1
		.amdhsa_system_sgpr_workgroup_id_y 0
		.amdhsa_system_sgpr_workgroup_id_z 0
		.amdhsa_system_sgpr_workgroup_info 0
		.amdhsa_system_vgpr_workitem_id 0
		.amdhsa_next_free_vgpr 12
		.amdhsa_next_free_sgpr 24
		.amdhsa_accum_offset 12
		.amdhsa_reserve_vcc 1
		.amdhsa_reserve_flat_scratch 0
		.amdhsa_float_round_mode_32 0
		.amdhsa_float_round_mode_16_64 0
		.amdhsa_float_denorm_mode_32 3
		.amdhsa_float_denorm_mode_16_64 3
		.amdhsa_dx10_clamp 1
		.amdhsa_ieee_mode 1
		.amdhsa_fp16_overflow 0
		.amdhsa_tg_split 0
		.amdhsa_exception_fp_ieee_invalid_op 0
		.amdhsa_exception_fp_denorm_src 0
		.amdhsa_exception_fp_ieee_div_zero 0
		.amdhsa_exception_fp_ieee_overflow 0
		.amdhsa_exception_fp_ieee_underflow 0
		.amdhsa_exception_fp_ieee_inexact 0
		.amdhsa_exception_int_div_zero 0
	.end_amdhsa_kernel
	.section	.text._ZN7rocprim17ROCPRIM_304000_NS6detail33device_block_merge_oddeven_kernelINS1_37wrapped_merge_sort_block_merge_configINS0_14default_configEbN2at4cuda3cub6detail10OpaqueTypeILi8EEEEEPbSC_PSA_SD_jNS1_19radix_merge_compareILb1ELb1EbNS0_19identity_decomposerEEEEEvT0_T1_T2_T3_T4_SL_T5_,"axG",@progbits,_ZN7rocprim17ROCPRIM_304000_NS6detail33device_block_merge_oddeven_kernelINS1_37wrapped_merge_sort_block_merge_configINS0_14default_configEbN2at4cuda3cub6detail10OpaqueTypeILi8EEEEEPbSC_PSA_SD_jNS1_19radix_merge_compareILb1ELb1EbNS0_19identity_decomposerEEEEEvT0_T1_T2_T3_T4_SL_T5_,comdat
.Lfunc_end166:
	.size	_ZN7rocprim17ROCPRIM_304000_NS6detail33device_block_merge_oddeven_kernelINS1_37wrapped_merge_sort_block_merge_configINS0_14default_configEbN2at4cuda3cub6detail10OpaqueTypeILi8EEEEEPbSC_PSA_SD_jNS1_19radix_merge_compareILb1ELb1EbNS0_19identity_decomposerEEEEEvT0_T1_T2_T3_T4_SL_T5_, .Lfunc_end166-_ZN7rocprim17ROCPRIM_304000_NS6detail33device_block_merge_oddeven_kernelINS1_37wrapped_merge_sort_block_merge_configINS0_14default_configEbN2at4cuda3cub6detail10OpaqueTypeILi8EEEEEPbSC_PSA_SD_jNS1_19radix_merge_compareILb1ELb1EbNS0_19identity_decomposerEEEEEvT0_T1_T2_T3_T4_SL_T5_
                                        ; -- End function
	.section	.AMDGPU.csdata,"",@progbits
; Kernel info:
; codeLenInByte = 752
; NumSgprs: 28
; NumVgprs: 12
; NumAgprs: 0
; TotalNumVgprs: 12
; ScratchSize: 0
; MemoryBound: 0
; FloatMode: 240
; IeeeMode: 1
; LDSByteSize: 0 bytes/workgroup (compile time only)
; SGPRBlocks: 3
; VGPRBlocks: 1
; NumSGPRsForWavesPerEU: 28
; NumVGPRsForWavesPerEU: 12
; AccumOffset: 12
; Occupancy: 8
; WaveLimiterHint : 0
; COMPUTE_PGM_RSRC2:SCRATCH_EN: 0
; COMPUTE_PGM_RSRC2:USER_SGPR: 6
; COMPUTE_PGM_RSRC2:TRAP_HANDLER: 0
; COMPUTE_PGM_RSRC2:TGID_X_EN: 1
; COMPUTE_PGM_RSRC2:TGID_Y_EN: 0
; COMPUTE_PGM_RSRC2:TGID_Z_EN: 0
; COMPUTE_PGM_RSRC2:TIDIG_COMP_CNT: 0
; COMPUTE_PGM_RSRC3_GFX90A:ACCUM_OFFSET: 2
; COMPUTE_PGM_RSRC3_GFX90A:TG_SPLIT: 0
	.section	.text._ZN7rocprim17ROCPRIM_304000_NS6detail26onesweep_histograms_kernelINS1_34wrapped_radix_sort_onesweep_configINS0_14default_configEbN2at4cuda3cub6detail10OpaqueTypeILi8EEEEELb1EPKbmNS0_19identity_decomposerEEEvT1_PT2_SG_SG_T3_jj,"axG",@progbits,_ZN7rocprim17ROCPRIM_304000_NS6detail26onesweep_histograms_kernelINS1_34wrapped_radix_sort_onesweep_configINS0_14default_configEbN2at4cuda3cub6detail10OpaqueTypeILi8EEEEELb1EPKbmNS0_19identity_decomposerEEEvT1_PT2_SG_SG_T3_jj,comdat
	.protected	_ZN7rocprim17ROCPRIM_304000_NS6detail26onesweep_histograms_kernelINS1_34wrapped_radix_sort_onesweep_configINS0_14default_configEbN2at4cuda3cub6detail10OpaqueTypeILi8EEEEELb1EPKbmNS0_19identity_decomposerEEEvT1_PT2_SG_SG_T3_jj ; -- Begin function _ZN7rocprim17ROCPRIM_304000_NS6detail26onesweep_histograms_kernelINS1_34wrapped_radix_sort_onesweep_configINS0_14default_configEbN2at4cuda3cub6detail10OpaqueTypeILi8EEEEELb1EPKbmNS0_19identity_decomposerEEEvT1_PT2_SG_SG_T3_jj
	.globl	_ZN7rocprim17ROCPRIM_304000_NS6detail26onesweep_histograms_kernelINS1_34wrapped_radix_sort_onesweep_configINS0_14default_configEbN2at4cuda3cub6detail10OpaqueTypeILi8EEEEELb1EPKbmNS0_19identity_decomposerEEEvT1_PT2_SG_SG_T3_jj
	.p2align	8
	.type	_ZN7rocprim17ROCPRIM_304000_NS6detail26onesweep_histograms_kernelINS1_34wrapped_radix_sort_onesweep_configINS0_14default_configEbN2at4cuda3cub6detail10OpaqueTypeILi8EEEEELb1EPKbmNS0_19identity_decomposerEEEvT1_PT2_SG_SG_T3_jj,@function
_ZN7rocprim17ROCPRIM_304000_NS6detail26onesweep_histograms_kernelINS1_34wrapped_radix_sort_onesweep_configINS0_14default_configEbN2at4cuda3cub6detail10OpaqueTypeILi8EEEEELb1EPKbmNS0_19identity_decomposerEEEvT1_PT2_SG_SG_T3_jj: ; @_ZN7rocprim17ROCPRIM_304000_NS6detail26onesweep_histograms_kernelINS1_34wrapped_radix_sort_onesweep_configINS0_14default_configEbN2at4cuda3cub6detail10OpaqueTypeILi8EEEEELb1EPKbmNS0_19identity_decomposerEEEvT1_PT2_SG_SG_T3_jj
; %bb.0:
	s_load_dwordx8 s[20:27], s[4:5], 0x0
	s_load_dwordx2 s[28:29], s[4:5], 0x24
	s_mov_b32 s7, 0
	s_mul_i32 s1, s6, 0xc00
	s_mul_hi_u32 s0, s6, 0xc00
	s_waitcnt lgkmcnt(0)
	v_pk_mov_b32 v[2:3], s[26:27], s[26:27] op_sel:[0,1]
	v_cmp_ge_u64_e32 vcc, s[6:7], v[2:3]
	s_add_u32 s30, s20, s1
	s_addc_u32 s31, s21, s0
	s_mov_b64 s[0:1], -1
	s_cbranch_vccz .LBB167_50
; %bb.1:
	s_mul_i32 s12, s26, 0xfffff400
	s_add_i32 s12, s12, s24
	v_mov_b32_e32 v1, s31
	v_add_co_u32_e32 v2, vcc, s30, v0
	v_addc_co_u32_e32 v3, vcc, 0, v1, vcc
	v_cmp_gt_u32_e64 s[8:9], s12, v0
                                        ; implicit-def: $vgpr1
	s_and_saveexec_b64 s[0:1], s[8:9]
	s_cbranch_execz .LBB167_3
; %bb.2:
	global_load_ubyte v1, v[2:3], off
.LBB167_3:
	s_or_b64 exec, exec, s[0:1]
	v_or_b32_e32 v4, 0x200, v0
	v_cmp_gt_u32_e64 s[6:7], s12, v4
                                        ; implicit-def: $vgpr4
	s_and_saveexec_b64 s[0:1], s[6:7]
	s_cbranch_execz .LBB167_5
; %bb.4:
	global_load_ubyte v4, v[2:3], off offset:512
.LBB167_5:
	s_or_b64 exec, exec, s[0:1]
	v_or_b32_e32 v5, 0x400, v0
	v_cmp_gt_u32_e64 s[4:5], s12, v5
                                        ; implicit-def: $vgpr5
	s_and_saveexec_b64 s[0:1], s[4:5]
	s_cbranch_execz .LBB167_7
; %bb.6:
	global_load_ubyte v5, v[2:3], off offset:1024
.LBB167_7:
	s_or_b64 exec, exec, s[0:1]
	v_or_b32_e32 v6, 0x600, v0
	v_cmp_gt_u32_e64 s[2:3], s12, v6
                                        ; implicit-def: $vgpr6
	s_and_saveexec_b64 s[0:1], s[2:3]
	s_cbranch_execz .LBB167_9
; %bb.8:
	global_load_ubyte v6, v[2:3], off offset:1536
.LBB167_9:
	s_or_b64 exec, exec, s[0:1]
	v_or_b32_e32 v7, 0x800, v0
	v_cmp_gt_u32_e64 s[0:1], s12, v7
                                        ; implicit-def: $vgpr7
	s_and_saveexec_b64 s[10:11], s[0:1]
	s_cbranch_execz .LBB167_11
; %bb.10:
	global_load_ubyte v7, v[2:3], off offset:2048
.LBB167_11:
	s_or_b64 exec, exec, s[10:11]
	v_or_b32_e32 v8, 0xa00, v0
	v_cmp_gt_u32_e32 vcc, s12, v8
                                        ; implicit-def: $vgpr8
	s_and_saveexec_b64 s[10:11], vcc
	s_cbranch_execz .LBB167_13
; %bb.12:
	global_load_ubyte v8, v[2:3], off offset:2560
.LBB167_13:
	s_or_b64 exec, exec, s[10:11]
	v_lshlrev_b32_e32 v2, 2, v0
	s_mov_b32 s16, 0
	s_mov_b64 s[10:11], 0
	v_mov_b32_e32 v3, 0
	s_branch .LBB167_15
.LBB167_14:                             ;   in Loop: Header=BB167_15 Depth=1
	s_or_b64 exec, exec, s[14:15]
	s_add_i32 s16, s16, 2
	v_cmp_eq_u32_e64 s[12:13], 2, s16
	s_or_b64 s[10:11], s[12:13], s[10:11]
	v_add_u32_e32 v2, 0x1000, v2
	s_andn2_b64 exec, exec, s[10:11]
	s_cbranch_execz .LBB167_19
.LBB167_15:                             ; =>This Inner Loop Header: Depth=1
	s_or_b32 s12, s16, 1
	v_cmp_le_u32_e64 s[12:13], s12, 1
	v_cmp_le_u32_e64 s[18:19], s16, 1
	s_and_saveexec_b64 s[14:15], s[18:19]
	s_cbranch_execz .LBB167_17
; %bb.16:                               ;   in Loop: Header=BB167_15 Depth=1
	ds_write_b32 v2, v3
.LBB167_17:                             ;   in Loop: Header=BB167_15 Depth=1
	s_or_b64 exec, exec, s[14:15]
	s_and_saveexec_b64 s[14:15], s[12:13]
	s_cbranch_execz .LBB167_14
; %bb.18:                               ;   in Loop: Header=BB167_15 Depth=1
	ds_write_b32 v2, v3 offset:2048
	s_branch .LBB167_14
.LBB167_19:
	s_or_b64 exec, exec, s[10:11]
	s_cmp_gt_u32 s29, s28
	s_cselect_b64 s[24:25], -1, 0
	s_cmp_le_u32 s29, s28
	s_waitcnt lgkmcnt(0)
	s_barrier
	s_cbranch_scc1 .LBB167_44
; %bb.20:
	s_waitcnt vmcnt(0)
	v_and_b32_e32 v2, 1, v4
	v_cmp_eq_u32_e64 s[18:19], 1, v2
	v_and_b32_e32 v2, 1, v5
	v_cmp_eq_u32_e64 s[16:17], 1, v2
	v_and_b32_e32 v2, 1, v6
	v_and_b32_e32 v1, 1, v1
	v_cmp_eq_u32_e64 s[14:15], 1, v2
	v_and_b32_e32 v2, 1, v7
	v_cmp_eq_u32_e64 s[20:21], 1, v1
	;; [unrolled: 2-line block ×3, first 2 shown]
	v_and_b32_e32 v2, 1, v8
	s_xor_b64 s[20:21], s[20:21], -1
	v_lshlrev_b32_e32 v1, 2, v1
	s_sub_i32 s26, s29, s28
	v_cmp_eq_u32_e64 s[10:11], 1, v2
	v_cndmask_b32_e64 v2, 0, 1, s[20:21]
	v_mov_b32_e32 v3, 1
	s_mov_b32 s27, s26
	v_mov_b32_e32 v4, v1
	s_mov_b32 s33, s28
	s_branch .LBB167_22
.LBB167_21:                             ;   in Loop: Header=BB167_22 Depth=1
	s_or_b64 exec, exec, s[20:21]
	s_add_i32 s33, s33, 8
	s_add_i32 s27, s27, -8
	s_cmp_ge_u32 s33, s29
	v_add_u32_e32 v4, 0x1000, v4
	s_cbranch_scc1 .LBB167_24
.LBB167_22:                             ; =>This Inner Loop Header: Depth=1
	s_and_saveexec_b64 s[20:21], s[8:9]
	s_cbranch_execz .LBB167_21
; %bb.23:                               ;   in Loop: Header=BB167_22 Depth=1
	s_min_u32 s34, s27, 8
	v_lshrrev_b32_e32 v5, s33, v2
	v_bfe_u32 v5, v5, 0, s34
	v_lshl_add_u32 v5, v5, 4, v4
	ds_add_u32 v5, v3
	s_branch .LBB167_21
.LBB167_24:
	s_xor_b64 s[8:9], s[18:19], -1
	v_cndmask_b32_e64 v2, 0, 1, s[8:9]
	v_mov_b32_e32 v3, 1
	s_mov_b32 s18, s26
	v_mov_b32_e32 v4, v1
	s_mov_b32 s19, s28
	s_branch .LBB167_26
.LBB167_25:                             ;   in Loop: Header=BB167_26 Depth=1
	s_or_b64 exec, exec, s[8:9]
	s_add_i32 s19, s19, 8
	s_add_i32 s18, s18, -8
	s_cmp_lt_u32 s19, s29
	v_add_u32_e32 v4, 0x1000, v4
	s_cbranch_scc0 .LBB167_28
.LBB167_26:                             ; =>This Inner Loop Header: Depth=1
	s_and_saveexec_b64 s[8:9], s[6:7]
	s_cbranch_execz .LBB167_25
; %bb.27:                               ;   in Loop: Header=BB167_26 Depth=1
	s_min_u32 s20, s18, 8
	v_lshrrev_b32_e32 v5, s19, v2
	v_bfe_u32 v5, v5, 0, s20
	v_lshl_add_u32 v5, v5, 4, v4
	ds_add_u32 v5, v3
	s_branch .LBB167_25
.LBB167_28:
	s_xor_b64 s[6:7], s[16:17], -1
	v_cndmask_b32_e64 v2, 0, 1, s[6:7]
	v_mov_b32_e32 v3, 1
	s_mov_b32 s8, s26
	v_mov_b32_e32 v4, v1
	s_mov_b32 s9, s28
	s_branch .LBB167_30
.LBB167_29:                             ;   in Loop: Header=BB167_30 Depth=1
	s_or_b64 exec, exec, s[6:7]
	s_add_i32 s9, s9, 8
	s_add_i32 s8, s8, -8
	s_cmp_lt_u32 s9, s29
	v_add_u32_e32 v4, 0x1000, v4
	s_cbranch_scc0 .LBB167_32
.LBB167_30:                             ; =>This Inner Loop Header: Depth=1
	s_and_saveexec_b64 s[6:7], s[4:5]
	s_cbranch_execz .LBB167_29
; %bb.31:                               ;   in Loop: Header=BB167_30 Depth=1
	s_min_u32 s16, s8, 8
	v_lshrrev_b32_e32 v5, s9, v2
	v_bfe_u32 v5, v5, 0, s16
	v_lshl_add_u32 v5, v5, 4, v4
	ds_add_u32 v5, v3
	s_branch .LBB167_29
.LBB167_32:
	;; [unrolled: 25-line block ×4, first 2 shown]
	s_xor_b64 s[0:1], s[10:11], -1
	v_cndmask_b32_e64 v2, 0, 1, s[0:1]
	v_mov_b32_e32 v3, 1
	s_mov_b32 s2, s28
	s_branch .LBB167_42
.LBB167_41:                             ;   in Loop: Header=BB167_42 Depth=1
	s_or_b64 exec, exec, s[0:1]
	s_add_i32 s2, s2, 8
	s_add_i32 s26, s26, -8
	s_cmp_lt_u32 s2, s29
	v_add_u32_e32 v1, 0x1000, v1
	s_cbranch_scc0 .LBB167_44
.LBB167_42:                             ; =>This Inner Loop Header: Depth=1
	s_and_saveexec_b64 s[0:1], vcc
	s_cbranch_execz .LBB167_41
; %bb.43:                               ;   in Loop: Header=BB167_42 Depth=1
	s_min_u32 s3, s26, 8
	v_lshrrev_b32_e32 v4, s2, v2
	v_bfe_u32 v4, v4, 0, s3
	v_lshl_add_u32 v4, v4, 4, v1
	ds_add_u32 v4, v3
	s_branch .LBB167_41
.LBB167_44:
	s_and_b64 vcc, exec, s[24:25]
	s_waitcnt lgkmcnt(0)
	s_barrier
	s_cbranch_vccz .LBB167_49
; %bb.45:
	s_movk_i32 s0, 0x100
	v_cmp_gt_u32_e32 vcc, s0, v0
	s_waitcnt vmcnt(0)
	v_lshlrev_b32_e32 v1, 4, v0
	v_mov_b32_e32 v3, 0
	v_mov_b32_e32 v2, v0
	s_mov_b32 s4, s28
	s_branch .LBB167_47
.LBB167_46:                             ;   in Loop: Header=BB167_47 Depth=1
	s_or_b64 exec, exec, s[2:3]
	s_add_i32 s4, s4, 8
	v_add_u32_e32 v2, 0x100, v2
	s_cmp_lt_u32 s4, s29
	v_add_u32_e32 v1, 0x1000, v1
	s_cbranch_scc0 .LBB167_49
.LBB167_47:                             ; =>This Inner Loop Header: Depth=1
	s_and_saveexec_b64 s[2:3], vcc
	s_cbranch_execz .LBB167_46
; %bb.48:                               ;   in Loop: Header=BB167_47 Depth=1
	ds_read2_b32 v[4:5], v1 offset1:1
	ds_read2_b32 v[6:7], v1 offset0:2 offset1:3
	v_lshlrev_b64 v[8:9], 3, v[2:3]
	v_mov_b32_e32 v10, s23
	s_waitcnt lgkmcnt(1)
	v_add_u32_e32 v4, v5, v4
	s_waitcnt lgkmcnt(0)
	v_add3_u32 v4, v4, v6, v7
	v_add_co_u32_e64 v6, s[0:1], s22, v8
	v_addc_co_u32_e64 v7, s[0:1], v10, v9, s[0:1]
	v_mov_b32_e32 v5, v3
	global_atomic_add_x2 v[6:7], v[4:5], off
	s_branch .LBB167_46
.LBB167_49:
	s_mov_b64 s[0:1], 0
.LBB167_50:
	s_and_b64 vcc, exec, s[0:1]
	s_cbranch_vccz .LBB167_86
; %bb.51:
	global_load_ubyte v9, v0, s[30:31]
	global_load_ubyte v8, v0, s[30:31] offset:512
	global_load_ubyte v7, v0, s[30:31] offset:1024
	;; [unrolled: 1-line block ×5, first 2 shown]
	s_cmp_eq_u32 s28, 0
	s_cselect_b64 s[0:1], -1, 0
	s_cmp_eq_u32 s29, 8
	s_cselect_b64 s[2:3], -1, 0
	s_and_b64 s[2:3], s[0:1], s[2:3]
	s_mov_b32 s6, 0
	v_mov_b32_e32 v2, 0
	s_mov_b64 s[0:1], -1
	s_and_b64 vcc, exec, s[2:3]
	s_waitcnt vmcnt(6)
	v_lshlrev_b32_e32 v1, 2, v0
	s_cbranch_vccnz .LBB167_77
; %bb.52:
	v_lshlrev_b32_e32 v3, 2, v0
	s_mov_b64 s[0:1], 0
	s_branch .LBB167_54
.LBB167_53:                             ;   in Loop: Header=BB167_54 Depth=1
	s_or_b64 exec, exec, s[4:5]
	s_add_i32 s6, s6, 2
	v_cmp_eq_u32_e64 s[2:3], 2, s6
	s_or_b64 s[0:1], s[2:3], s[0:1]
	v_add_u32_e32 v3, 0x1000, v3
	s_andn2_b64 exec, exec, s[0:1]
	s_cbranch_execz .LBB167_58
.LBB167_54:                             ; =>This Inner Loop Header: Depth=1
	s_or_b32 s2, s6, 1
	v_cmp_le_u32_e64 s[2:3], s2, 1
	v_cmp_le_u32_e64 s[8:9], s6, 1
	s_and_saveexec_b64 s[4:5], s[8:9]
	s_cbranch_execz .LBB167_56
; %bb.55:                               ;   in Loop: Header=BB167_54 Depth=1
	ds_write_b32 v3, v2
.LBB167_56:                             ;   in Loop: Header=BB167_54 Depth=1
	s_or_b64 exec, exec, s[4:5]
	s_and_saveexec_b64 s[4:5], s[2:3]
	s_cbranch_execz .LBB167_53
; %bb.57:                               ;   in Loop: Header=BB167_54 Depth=1
	ds_write_b32 v3, v2 offset:2048
	s_branch .LBB167_53
.LBB167_58:
	s_or_b64 exec, exec, s[0:1]
	s_cmp_gt_u32 s29, s28
	s_cselect_b64 s[0:1], -1, 0
	s_cmp_le_u32 s29, s28
	s_waitcnt lgkmcnt(0)
	s_barrier
	s_cbranch_scc1 .LBB167_71
; %bb.59:
	v_and_b32_e32 v2, 3, v0
	v_lshlrev_b32_e32 v2, 2, v2
	s_sub_i32 s2, s29, s28
	s_waitcnt vmcnt(5)
	v_xor_b32_e32 v3, 1, v9
	v_mov_b32_e32 v10, 1
	s_mov_b32 s3, s2
	v_mov_b32_e32 v11, v2
	s_mov_b32 s4, s28
.LBB167_60:                             ; =>This Inner Loop Header: Depth=1
	s_min_u32 s5, s3, 8
	v_lshrrev_b32_sdwa v12, s4, v3 dst_sel:DWORD dst_unused:UNUSED_PAD src0_sel:DWORD src1_sel:BYTE_0
	v_bfe_u32 v12, v12, 0, s5
	v_lshl_add_u32 v12, v12, 4, v11
	ds_add_u32 v12, v10
	s_add_i32 s4, s4, 8
	s_add_i32 s3, s3, -8
	s_cmp_lt_u32 s4, s29
	v_add_u32_e32 v11, 0x1000, v11
	s_cbranch_scc1 .LBB167_60
; %bb.61:
	s_waitcnt vmcnt(4)
	v_xor_b32_e32 v3, 1, v8
	v_mov_b32_e32 v10, 1
	s_mov_b32 s3, s2
	v_mov_b32_e32 v11, v2
	s_mov_b32 s4, s28
.LBB167_62:                             ; =>This Inner Loop Header: Depth=1
	s_min_u32 s5, s3, 8
	v_lshrrev_b32_sdwa v12, s4, v3 dst_sel:DWORD dst_unused:UNUSED_PAD src0_sel:DWORD src1_sel:BYTE_0
	v_bfe_u32 v12, v12, 0, s5
	v_lshl_add_u32 v12, v12, 4, v11
	ds_add_u32 v12, v10
	s_add_i32 s4, s4, 8
	s_add_i32 s3, s3, -8
	s_cmp_lt_u32 s4, s29
	v_add_u32_e32 v11, 0x1000, v11
	s_cbranch_scc1 .LBB167_62
; %bb.63:
	;; [unrolled: 18-line block ×5, first 2 shown]
	s_waitcnt vmcnt(0)
	v_xor_b32_e32 v3, 1, v4
	v_mov_b32_e32 v10, 1
	s_mov_b32 s3, s28
.LBB167_70:                             ; =>This Inner Loop Header: Depth=1
	s_min_u32 s4, s2, 8
	v_lshrrev_b32_sdwa v11, s3, v3 dst_sel:DWORD dst_unused:UNUSED_PAD src0_sel:DWORD src1_sel:BYTE_0
	v_bfe_u32 v11, v11, 0, s4
	v_lshl_add_u32 v11, v11, 4, v2
	ds_add_u32 v11, v10
	s_add_i32 s3, s3, 8
	s_add_i32 s2, s2, -8
	s_cmp_lt_u32 s3, s29
	v_add_u32_e32 v2, 0x1000, v2
	s_cbranch_scc1 .LBB167_70
.LBB167_71:
	s_and_b64 vcc, exec, s[0:1]
	s_waitcnt lgkmcnt(0)
	s_barrier
	s_cbranch_vccz .LBB167_76
; %bb.72:
	s_movk_i32 s0, 0x100
	v_cmp_gt_u32_e32 vcc, s0, v0
	v_lshlrev_b32_e32 v10, 4, v0
	v_mov_b32_e32 v3, 0
	v_mov_b32_e32 v2, v0
	s_branch .LBB167_74
.LBB167_73:                             ;   in Loop: Header=BB167_74 Depth=1
	s_or_b64 exec, exec, s[2:3]
	s_add_i32 s28, s28, 8
	v_add_u32_e32 v2, 0x100, v2
	s_cmp_ge_u32 s28, s29
	v_add_u32_e32 v10, 0x1000, v10
	s_cbranch_scc1 .LBB167_76
.LBB167_74:                             ; =>This Inner Loop Header: Depth=1
	s_and_saveexec_b64 s[2:3], vcc
	s_cbranch_execz .LBB167_73
; %bb.75:                               ;   in Loop: Header=BB167_74 Depth=1
	ds_read2_b32 v[12:13], v10 offset1:1
	ds_read2_b32 v[14:15], v10 offset0:2 offset1:3
	v_lshlrev_b64 v[16:17], 3, v[2:3]
	v_mov_b32_e32 v11, s23
	s_waitcnt lgkmcnt(1)
	v_add_u32_e32 v12, v13, v12
	s_waitcnt lgkmcnt(0)
	v_add3_u32 v12, v12, v14, v15
	v_add_co_u32_e64 v14, s[0:1], s22, v16
	v_addc_co_u32_e64 v15, s[0:1], v11, v17, s[0:1]
	v_mov_b32_e32 v13, v3
	global_atomic_add_x2 v[14:15], v[12:13], off
	s_branch .LBB167_73
.LBB167_76:
	s_mov_b64 s[0:1], 0
.LBB167_77:
	s_and_b64 vcc, exec, s[0:1]
	s_cbranch_vccz .LBB167_86
; %bb.78:
	s_mov_b32 s6, 0
	s_mov_b64 s[0:1], 0
	v_mov_b32_e32 v2, 0
	v_mov_b32_e32 v3, v1
	s_branch .LBB167_80
.LBB167_79:                             ;   in Loop: Header=BB167_80 Depth=1
	s_or_b64 exec, exec, s[4:5]
	s_add_i32 s6, s6, 2
	v_cmp_eq_u32_e64 s[2:3], 2, s6
	s_or_b64 s[0:1], s[2:3], s[0:1]
	v_add_u32_e32 v3, 0x1000, v3
	s_andn2_b64 exec, exec, s[0:1]
	s_cbranch_execz .LBB167_84
.LBB167_80:                             ; =>This Inner Loop Header: Depth=1
	s_or_b32 s2, s6, 1
	v_cmp_le_u32_e64 s[2:3], s2, 1
	v_cmp_le_u32_e64 s[8:9], s6, 1
	s_and_saveexec_b64 s[4:5], s[8:9]
	s_cbranch_execz .LBB167_82
; %bb.81:                               ;   in Loop: Header=BB167_80 Depth=1
	ds_write_b32 v3, v2
.LBB167_82:                             ;   in Loop: Header=BB167_80 Depth=1
	s_or_b64 exec, exec, s[4:5]
	s_and_saveexec_b64 s[4:5], s[2:3]
	s_cbranch_execz .LBB167_79
; %bb.83:                               ;   in Loop: Header=BB167_80 Depth=1
	ds_write_b32 v3, v2 offset:2048
	s_branch .LBB167_79
.LBB167_84:
	s_or_b64 exec, exec, s[0:1]
	s_waitcnt vmcnt(5)
	v_and_b32_e32 v2, 1, v9
	v_cmp_eq_u32_e32 vcc, 1, v2
	s_waitcnt vmcnt(4)
	v_and_b32_e32 v3, 1, v8
	v_and_b32_e32 v8, 3, v0
	v_cndmask_b32_e64 v2, 4, 0, vcc
	v_or_b32_e32 v2, v2, v8
	v_lshlrev_b32_e32 v2, 2, v2
	v_mov_b32_e32 v9, 1
	v_cmp_eq_u32_e32 vcc, 1, v3
	s_waitcnt lgkmcnt(0)
	s_barrier
	ds_add_u32 v2, v9
	v_cndmask_b32_e64 v2, 4, 0, vcc
	s_waitcnt vmcnt(3)
	v_and_b32_e32 v7, 1, v7
	v_or_b32_e32 v2, v2, v8
	v_lshlrev_b32_e32 v2, 2, v2
	v_cmp_eq_u32_e32 vcc, 1, v7
	ds_add_u32 v2, v9
	v_cndmask_b32_e64 v2, 4, 0, vcc
	s_waitcnt vmcnt(2)
	v_and_b32_e32 v6, 1, v6
	v_or_b32_e32 v2, v2, v8
	v_lshlrev_b32_e32 v2, 2, v2
	v_cmp_eq_u32_e32 vcc, 1, v6
	;; [unrolled: 7-line block ×4, first 2 shown]
	ds_add_u32 v2, v9
	v_cndmask_b32_e64 v2, 4, 0, vcc
	v_or_b32_e32 v2, v2, v8
	v_lshlrev_b32_e32 v2, 2, v2
	ds_add_u32 v2, v9
	s_movk_i32 s0, 0x100
	v_cmp_gt_u32_e32 vcc, s0, v0
	s_waitcnt lgkmcnt(0)
	s_barrier
	s_and_saveexec_b64 s[0:1], vcc
	s_cbranch_execz .LBB167_86
; %bb.85:
	v_lshlrev_b32_e32 v1, 2, v1
	ds_read2_b32 v[2:3], v1 offset1:1
	ds_read2_b32 v[4:5], v1 offset0:2 offset1:3
	v_lshlrev_b32_e32 v6, 3, v0
	v_mov_b32_e32 v1, 0
	s_waitcnt lgkmcnt(1)
	v_add_u32_e32 v0, v3, v2
	s_waitcnt lgkmcnt(0)
	v_add3_u32 v0, v0, v4, v5
	global_atomic_add_x2 v6, v[0:1], s[22:23]
.LBB167_86:
	s_endpgm
	.section	.rodata,"a",@progbits
	.p2align	6, 0x0
	.amdhsa_kernel _ZN7rocprim17ROCPRIM_304000_NS6detail26onesweep_histograms_kernelINS1_34wrapped_radix_sort_onesweep_configINS0_14default_configEbN2at4cuda3cub6detail10OpaqueTypeILi8EEEEELb1EPKbmNS0_19identity_decomposerEEEvT1_PT2_SG_SG_T3_jj
		.amdhsa_group_segment_fixed_size 4096
		.amdhsa_private_segment_fixed_size 0
		.amdhsa_kernarg_size 44
		.amdhsa_user_sgpr_count 6
		.amdhsa_user_sgpr_private_segment_buffer 1
		.amdhsa_user_sgpr_dispatch_ptr 0
		.amdhsa_user_sgpr_queue_ptr 0
		.amdhsa_user_sgpr_kernarg_segment_ptr 1
		.amdhsa_user_sgpr_dispatch_id 0
		.amdhsa_user_sgpr_flat_scratch_init 0
		.amdhsa_user_sgpr_kernarg_preload_length 0
		.amdhsa_user_sgpr_kernarg_preload_offset 0
		.amdhsa_user_sgpr_private_segment_size 0
		.amdhsa_uses_dynamic_stack 0
		.amdhsa_system_sgpr_private_segment_wavefront_offset 0
		.amdhsa_system_sgpr_workgroup_id_x 1
		.amdhsa_system_sgpr_workgroup_id_y 0
		.amdhsa_system_sgpr_workgroup_id_z 0
		.amdhsa_system_sgpr_workgroup_info 0
		.amdhsa_system_vgpr_workitem_id 0
		.amdhsa_next_free_vgpr 18
		.amdhsa_next_free_sgpr 35
		.amdhsa_accum_offset 20
		.amdhsa_reserve_vcc 1
		.amdhsa_reserve_flat_scratch 0
		.amdhsa_float_round_mode_32 0
		.amdhsa_float_round_mode_16_64 0
		.amdhsa_float_denorm_mode_32 3
		.amdhsa_float_denorm_mode_16_64 3
		.amdhsa_dx10_clamp 1
		.amdhsa_ieee_mode 1
		.amdhsa_fp16_overflow 0
		.amdhsa_tg_split 0
		.amdhsa_exception_fp_ieee_invalid_op 0
		.amdhsa_exception_fp_denorm_src 0
		.amdhsa_exception_fp_ieee_div_zero 0
		.amdhsa_exception_fp_ieee_overflow 0
		.amdhsa_exception_fp_ieee_underflow 0
		.amdhsa_exception_fp_ieee_inexact 0
		.amdhsa_exception_int_div_zero 0
	.end_amdhsa_kernel
	.section	.text._ZN7rocprim17ROCPRIM_304000_NS6detail26onesweep_histograms_kernelINS1_34wrapped_radix_sort_onesweep_configINS0_14default_configEbN2at4cuda3cub6detail10OpaqueTypeILi8EEEEELb1EPKbmNS0_19identity_decomposerEEEvT1_PT2_SG_SG_T3_jj,"axG",@progbits,_ZN7rocprim17ROCPRIM_304000_NS6detail26onesweep_histograms_kernelINS1_34wrapped_radix_sort_onesweep_configINS0_14default_configEbN2at4cuda3cub6detail10OpaqueTypeILi8EEEEELb1EPKbmNS0_19identity_decomposerEEEvT1_PT2_SG_SG_T3_jj,comdat
.Lfunc_end167:
	.size	_ZN7rocprim17ROCPRIM_304000_NS6detail26onesweep_histograms_kernelINS1_34wrapped_radix_sort_onesweep_configINS0_14default_configEbN2at4cuda3cub6detail10OpaqueTypeILi8EEEEELb1EPKbmNS0_19identity_decomposerEEEvT1_PT2_SG_SG_T3_jj, .Lfunc_end167-_ZN7rocprim17ROCPRIM_304000_NS6detail26onesweep_histograms_kernelINS1_34wrapped_radix_sort_onesweep_configINS0_14default_configEbN2at4cuda3cub6detail10OpaqueTypeILi8EEEEELb1EPKbmNS0_19identity_decomposerEEEvT1_PT2_SG_SG_T3_jj
                                        ; -- End function
	.section	.AMDGPU.csdata,"",@progbits
; Kernel info:
; codeLenInByte = 2672
; NumSgprs: 39
; NumVgprs: 18
; NumAgprs: 0
; TotalNumVgprs: 18
; ScratchSize: 0
; MemoryBound: 0
; FloatMode: 240
; IeeeMode: 1
; LDSByteSize: 4096 bytes/workgroup (compile time only)
; SGPRBlocks: 4
; VGPRBlocks: 2
; NumSGPRsForWavesPerEU: 39
; NumVGPRsForWavesPerEU: 18
; AccumOffset: 20
; Occupancy: 8
; WaveLimiterHint : 1
; COMPUTE_PGM_RSRC2:SCRATCH_EN: 0
; COMPUTE_PGM_RSRC2:USER_SGPR: 6
; COMPUTE_PGM_RSRC2:TRAP_HANDLER: 0
; COMPUTE_PGM_RSRC2:TGID_X_EN: 1
; COMPUTE_PGM_RSRC2:TGID_Y_EN: 0
; COMPUTE_PGM_RSRC2:TGID_Z_EN: 0
; COMPUTE_PGM_RSRC2:TIDIG_COMP_CNT: 0
; COMPUTE_PGM_RSRC3_GFX90A:ACCUM_OFFSET: 4
; COMPUTE_PGM_RSRC3_GFX90A:TG_SPLIT: 0
	.section	.text._ZN7rocprim17ROCPRIM_304000_NS6detail31onesweep_scan_histograms_kernelINS1_34wrapped_radix_sort_onesweep_configINS0_14default_configEbN2at4cuda3cub6detail10OpaqueTypeILi8EEEEEmEEvPT0_,"axG",@progbits,_ZN7rocprim17ROCPRIM_304000_NS6detail31onesweep_scan_histograms_kernelINS1_34wrapped_radix_sort_onesweep_configINS0_14default_configEbN2at4cuda3cub6detail10OpaqueTypeILi8EEEEEmEEvPT0_,comdat
	.protected	_ZN7rocprim17ROCPRIM_304000_NS6detail31onesweep_scan_histograms_kernelINS1_34wrapped_radix_sort_onesweep_configINS0_14default_configEbN2at4cuda3cub6detail10OpaqueTypeILi8EEEEEmEEvPT0_ ; -- Begin function _ZN7rocprim17ROCPRIM_304000_NS6detail31onesweep_scan_histograms_kernelINS1_34wrapped_radix_sort_onesweep_configINS0_14default_configEbN2at4cuda3cub6detail10OpaqueTypeILi8EEEEEmEEvPT0_
	.globl	_ZN7rocprim17ROCPRIM_304000_NS6detail31onesweep_scan_histograms_kernelINS1_34wrapped_radix_sort_onesweep_configINS0_14default_configEbN2at4cuda3cub6detail10OpaqueTypeILi8EEEEEmEEvPT0_
	.p2align	8
	.type	_ZN7rocprim17ROCPRIM_304000_NS6detail31onesweep_scan_histograms_kernelINS1_34wrapped_radix_sort_onesweep_configINS0_14default_configEbN2at4cuda3cub6detail10OpaqueTypeILi8EEEEEmEEvPT0_,@function
_ZN7rocprim17ROCPRIM_304000_NS6detail31onesweep_scan_histograms_kernelINS1_34wrapped_radix_sort_onesweep_configINS0_14default_configEbN2at4cuda3cub6detail10OpaqueTypeILi8EEEEEmEEvPT0_: ; @_ZN7rocprim17ROCPRIM_304000_NS6detail31onesweep_scan_histograms_kernelINS1_34wrapped_radix_sort_onesweep_configINS0_14default_configEbN2at4cuda3cub6detail10OpaqueTypeILi8EEEEEmEEvPT0_
; %bb.0:
	s_load_dwordx2 s[0:1], s[4:5], 0x0
	s_lshl_b32 s2, s6, 8
	s_mov_b32 s3, 0
	s_lshl_b64 s[2:3], s[2:3], 3
	v_lshlrev_b32_e32 v5, 3, v0
	s_waitcnt lgkmcnt(0)
	s_add_u32 s6, s0, s2
	s_movk_i32 s0, 0x100
	s_addc_u32 s7, s1, s3
	v_cmp_gt_u32_e32 vcc, s0, v0
                                        ; implicit-def: $vgpr2_vgpr3
	s_and_saveexec_b64 s[0:1], vcc
	s_cbranch_execz .LBB168_2
; %bb.1:
	global_load_dwordx2 v[2:3], v5, s[6:7]
.LBB168_2:
	s_or_b64 exec, exec, s[0:1]
	s_waitcnt vmcnt(0)
	v_mov_b32_dpp v4, v2 row_shr:1 row_mask:0xf bank_mask:0xf
	v_add_co_u32_e64 v4, s[0:1], v2, v4
	v_mbcnt_lo_u32_b32 v1, -1, 0
	v_addc_co_u32_e64 v8, s[0:1], 0, v3, s[0:1]
	v_mbcnt_hi_u32_b32 v6, -1, v1
	v_mov_b32_dpp v7, v3 row_shr:1 row_mask:0xf bank_mask:0xf
	v_add_co_u32_e64 v9, s[0:1], 0, v4
	v_and_b32_e32 v1, 15, v6
	v_addc_co_u32_e64 v7, s[0:1], v7, v8, s[0:1]
	v_cmp_eq_u32_e64 s[0:1], 0, v1
	v_cndmask_b32_e64 v4, v4, v2, s[0:1]
	v_cndmask_b32_e64 v7, v7, v3, s[0:1]
	v_cndmask_b32_e64 v8, v9, v2, s[0:1]
	v_mov_b32_dpp v9, v4 row_shr:2 row_mask:0xf bank_mask:0xf
	v_mov_b32_dpp v10, v7 row_shr:2 row_mask:0xf bank_mask:0xf
	v_add_co_u32_e64 v9, s[0:1], v9, v8
	v_addc_co_u32_e64 v10, s[0:1], v10, v7, s[0:1]
	v_cmp_lt_u32_e64 s[0:1], 1, v1
	v_cndmask_b32_e64 v4, v4, v9, s[0:1]
	v_cndmask_b32_e64 v7, v7, v10, s[0:1]
	v_cndmask_b32_e64 v8, v8, v9, s[0:1]
	v_mov_b32_dpp v9, v4 row_shr:4 row_mask:0xf bank_mask:0xf
	v_mov_b32_dpp v10, v7 row_shr:4 row_mask:0xf bank_mask:0xf
	v_add_co_u32_e64 v9, s[0:1], v9, v8
	v_addc_co_u32_e64 v10, s[0:1], v10, v7, s[0:1]
	v_cmp_lt_u32_e64 s[0:1], 3, v1
	;; [unrolled: 8-line block ×3, first 2 shown]
	v_cndmask_b32_e64 v11, v4, v9, s[0:1]
	v_cndmask_b32_e64 v1, v7, v10, s[0:1]
	;; [unrolled: 1-line block ×3, first 2 shown]
	v_mov_b32_dpp v7, v11 row_bcast:15 row_mask:0xf bank_mask:0xf
	v_mov_b32_dpp v8, v1 row_bcast:15 row_mask:0xf bank_mask:0xf
	v_and_b32_e32 v10, 16, v6
	v_add_co_u32_e64 v7, s[0:1], v7, v4
	v_addc_co_u32_e64 v9, s[0:1], v8, v1, s[0:1]
	v_cmp_eq_u32_e64 s[2:3], 0, v10
	v_cndmask_b32_e64 v10, v9, v1, s[2:3]
	v_cndmask_b32_e64 v8, v7, v11, s[2:3]
	v_cmp_eq_u32_e64 s[0:1], 0, v6
	v_mov_b32_dpp v10, v10 row_bcast:31 row_mask:0xf bank_mask:0xf
	v_mov_b32_dpp v8, v8 row_bcast:31 row_mask:0xf bank_mask:0xf
	v_cmp_ne_u32_e64 s[4:5], 0, v6
	s_and_saveexec_b64 s[8:9], s[4:5]
; %bb.3:
	v_cndmask_b32_e64 v1, v9, v1, s[2:3]
	v_cndmask_b32_e64 v2, v7, v4, s[2:3]
	v_cmp_lt_u32_e64 s[2:3], 31, v6
	v_cndmask_b32_e64 v4, 0, v8, s[2:3]
	v_cndmask_b32_e64 v3, 0, v10, s[2:3]
	v_add_co_u32_e64 v2, s[2:3], v4, v2
	v_addc_co_u32_e64 v3, s[2:3], v3, v1, s[2:3]
; %bb.4:
	s_or_b64 exec, exec, s[8:9]
	v_or_b32_e32 v1, 63, v0
	v_lshrrev_b32_e32 v4, 6, v0
	v_cmp_eq_u32_e64 s[2:3], v1, v0
	s_and_saveexec_b64 s[4:5], s[2:3]
	s_cbranch_execz .LBB168_6
; %bb.5:
	v_lshlrev_b32_e32 v1, 3, v4
	ds_write_b64 v1, v[2:3]
.LBB168_6:
	s_or_b64 exec, exec, s[4:5]
	v_cmp_gt_u32_e64 s[2:3], 8, v0
	s_waitcnt lgkmcnt(0)
	s_barrier
	s_and_saveexec_b64 s[4:5], s[2:3]
	s_cbranch_execz .LBB168_8
; %bb.7:
	ds_read_b64 v[8:9], v5
	v_and_b32_e32 v1, 7, v6
	s_waitcnt lgkmcnt(0)
	v_mov_b32_dpp v7, v8 row_shr:1 row_mask:0xf bank_mask:0xf
	v_add_co_u32_e64 v7, s[2:3], v8, v7
	v_addc_co_u32_e64 v11, s[2:3], 0, v9, s[2:3]
	v_mov_b32_dpp v10, v9 row_shr:1 row_mask:0xf bank_mask:0xf
	v_add_co_u32_e64 v12, s[2:3], 0, v7
	v_addc_co_u32_e64 v10, s[2:3], v10, v11, s[2:3]
	v_cmp_eq_u32_e64 s[2:3], 0, v1
	v_cndmask_b32_e64 v7, v7, v8, s[2:3]
	v_cndmask_b32_e64 v9, v10, v9, s[2:3]
	;; [unrolled: 1-line block ×3, first 2 shown]
	v_mov_b32_dpp v8, v7 row_shr:2 row_mask:0xf bank_mask:0xf
	v_add_co_u32_e64 v8, s[2:3], v10, v8
	v_addc_co_u32_e64 v12, s[2:3], 0, v9, s[2:3]
	v_mov_b32_dpp v11, v9 row_shr:2 row_mask:0xf bank_mask:0xf
	v_add_co_u32_e64 v13, s[2:3], 0, v8
	v_addc_co_u32_e64 v11, s[2:3], v12, v11, s[2:3]
	v_cmp_lt_u32_e64 s[2:3], 1, v1
	v_cndmask_b32_e64 v7, v7, v8, s[2:3]
	v_cndmask_b32_e64 v9, v9, v11, s[2:3]
	;; [unrolled: 1-line block ×3, first 2 shown]
	v_mov_b32_dpp v7, v7 row_shr:4 row_mask:0xf bank_mask:0xf
	v_cmp_lt_u32_e64 s[2:3], 3, v1
	v_mov_b32_dpp v8, v9 row_shr:4 row_mask:0xf bank_mask:0xf
	v_cndmask_b32_e64 v1, 0, v7, s[2:3]
	v_cndmask_b32_e64 v7, 0, v8, s[2:3]
	v_add_co_u32_e64 v8, s[2:3], v1, v10
	v_addc_co_u32_e64 v9, s[2:3], v7, v9, s[2:3]
	ds_write_b64 v5, v[8:9]
.LBB168_8:
	s_or_b64 exec, exec, s[4:5]
	v_cmp_lt_u32_e64 s[2:3], 63, v0
	v_pk_mov_b32 v[0:1], 0, 0
	s_waitcnt lgkmcnt(0)
	s_barrier
	s_and_saveexec_b64 s[4:5], s[2:3]
	s_cbranch_execz .LBB168_10
; %bb.9:
	v_lshl_add_u32 v0, v4, 3, -8
	ds_read_b64 v[0:1], v0
.LBB168_10:
	s_or_b64 exec, exec, s[4:5]
	s_waitcnt lgkmcnt(0)
	v_add_co_u32_e64 v2, s[2:3], v0, v2
	v_addc_co_u32_e64 v3, s[2:3], v1, v3, s[2:3]
	v_add_u32_e32 v4, -1, v6
	v_and_b32_e32 v7, 64, v6
	v_cmp_lt_i32_e64 s[2:3], v4, v7
	v_cndmask_b32_e64 v4, v4, v6, s[2:3]
	v_lshlrev_b32_e32 v4, 2, v4
	ds_bpermute_b32 v2, v4, v2
	ds_bpermute_b32 v3, v4, v3
	s_and_saveexec_b64 s[2:3], vcc
	s_cbranch_execz .LBB168_12
; %bb.11:
	s_waitcnt lgkmcnt(0)
	v_cndmask_b32_e64 v1, v3, v1, s[0:1]
	v_cndmask_b32_e64 v0, v2, v0, s[0:1]
	global_store_dwordx2 v5, v[0:1], s[6:7]
.LBB168_12:
	s_endpgm
	.section	.rodata,"a",@progbits
	.p2align	6, 0x0
	.amdhsa_kernel _ZN7rocprim17ROCPRIM_304000_NS6detail31onesweep_scan_histograms_kernelINS1_34wrapped_radix_sort_onesweep_configINS0_14default_configEbN2at4cuda3cub6detail10OpaqueTypeILi8EEEEEmEEvPT0_
		.amdhsa_group_segment_fixed_size 64
		.amdhsa_private_segment_fixed_size 0
		.amdhsa_kernarg_size 8
		.amdhsa_user_sgpr_count 6
		.amdhsa_user_sgpr_private_segment_buffer 1
		.amdhsa_user_sgpr_dispatch_ptr 0
		.amdhsa_user_sgpr_queue_ptr 0
		.amdhsa_user_sgpr_kernarg_segment_ptr 1
		.amdhsa_user_sgpr_dispatch_id 0
		.amdhsa_user_sgpr_flat_scratch_init 0
		.amdhsa_user_sgpr_kernarg_preload_length 0
		.amdhsa_user_sgpr_kernarg_preload_offset 0
		.amdhsa_user_sgpr_private_segment_size 0
		.amdhsa_uses_dynamic_stack 0
		.amdhsa_system_sgpr_private_segment_wavefront_offset 0
		.amdhsa_system_sgpr_workgroup_id_x 1
		.amdhsa_system_sgpr_workgroup_id_y 0
		.amdhsa_system_sgpr_workgroup_id_z 0
		.amdhsa_system_sgpr_workgroup_info 0
		.amdhsa_system_vgpr_workitem_id 0
		.amdhsa_next_free_vgpr 14
		.amdhsa_next_free_sgpr 10
		.amdhsa_accum_offset 16
		.amdhsa_reserve_vcc 1
		.amdhsa_reserve_flat_scratch 0
		.amdhsa_float_round_mode_32 0
		.amdhsa_float_round_mode_16_64 0
		.amdhsa_float_denorm_mode_32 3
		.amdhsa_float_denorm_mode_16_64 3
		.amdhsa_dx10_clamp 1
		.amdhsa_ieee_mode 1
		.amdhsa_fp16_overflow 0
		.amdhsa_tg_split 0
		.amdhsa_exception_fp_ieee_invalid_op 0
		.amdhsa_exception_fp_denorm_src 0
		.amdhsa_exception_fp_ieee_div_zero 0
		.amdhsa_exception_fp_ieee_overflow 0
		.amdhsa_exception_fp_ieee_underflow 0
		.amdhsa_exception_fp_ieee_inexact 0
		.amdhsa_exception_int_div_zero 0
	.end_amdhsa_kernel
	.section	.text._ZN7rocprim17ROCPRIM_304000_NS6detail31onesweep_scan_histograms_kernelINS1_34wrapped_radix_sort_onesweep_configINS0_14default_configEbN2at4cuda3cub6detail10OpaqueTypeILi8EEEEEmEEvPT0_,"axG",@progbits,_ZN7rocprim17ROCPRIM_304000_NS6detail31onesweep_scan_histograms_kernelINS1_34wrapped_radix_sort_onesweep_configINS0_14default_configEbN2at4cuda3cub6detail10OpaqueTypeILi8EEEEEmEEvPT0_,comdat
.Lfunc_end168:
	.size	_ZN7rocprim17ROCPRIM_304000_NS6detail31onesweep_scan_histograms_kernelINS1_34wrapped_radix_sort_onesweep_configINS0_14default_configEbN2at4cuda3cub6detail10OpaqueTypeILi8EEEEEmEEvPT0_, .Lfunc_end168-_ZN7rocprim17ROCPRIM_304000_NS6detail31onesweep_scan_histograms_kernelINS1_34wrapped_radix_sort_onesweep_configINS0_14default_configEbN2at4cuda3cub6detail10OpaqueTypeILi8EEEEEmEEvPT0_
                                        ; -- End function
	.section	.AMDGPU.csdata,"",@progbits
; Kernel info:
; codeLenInByte = 980
; NumSgprs: 14
; NumVgprs: 14
; NumAgprs: 0
; TotalNumVgprs: 14
; ScratchSize: 0
; MemoryBound: 0
; FloatMode: 240
; IeeeMode: 1
; LDSByteSize: 64 bytes/workgroup (compile time only)
; SGPRBlocks: 1
; VGPRBlocks: 1
; NumSGPRsForWavesPerEU: 14
; NumVGPRsForWavesPerEU: 14
; AccumOffset: 16
; Occupancy: 8
; WaveLimiterHint : 0
; COMPUTE_PGM_RSRC2:SCRATCH_EN: 0
; COMPUTE_PGM_RSRC2:USER_SGPR: 6
; COMPUTE_PGM_RSRC2:TRAP_HANDLER: 0
; COMPUTE_PGM_RSRC2:TGID_X_EN: 1
; COMPUTE_PGM_RSRC2:TGID_Y_EN: 0
; COMPUTE_PGM_RSRC2:TGID_Z_EN: 0
; COMPUTE_PGM_RSRC2:TIDIG_COMP_CNT: 0
; COMPUTE_PGM_RSRC3_GFX90A:ACCUM_OFFSET: 3
; COMPUTE_PGM_RSRC3_GFX90A:TG_SPLIT: 0
	.section	.text._ZN7rocprim17ROCPRIM_304000_NS6detail16transform_kernelINS1_24wrapped_transform_configINS0_14default_configEbEEbPKbPbNS0_8identityIbEEEEvT1_mT2_T3_,"axG",@progbits,_ZN7rocprim17ROCPRIM_304000_NS6detail16transform_kernelINS1_24wrapped_transform_configINS0_14default_configEbEEbPKbPbNS0_8identityIbEEEEvT1_mT2_T3_,comdat
	.protected	_ZN7rocprim17ROCPRIM_304000_NS6detail16transform_kernelINS1_24wrapped_transform_configINS0_14default_configEbEEbPKbPbNS0_8identityIbEEEEvT1_mT2_T3_ ; -- Begin function _ZN7rocprim17ROCPRIM_304000_NS6detail16transform_kernelINS1_24wrapped_transform_configINS0_14default_configEbEEbPKbPbNS0_8identityIbEEEEvT1_mT2_T3_
	.globl	_ZN7rocprim17ROCPRIM_304000_NS6detail16transform_kernelINS1_24wrapped_transform_configINS0_14default_configEbEEbPKbPbNS0_8identityIbEEEEvT1_mT2_T3_
	.p2align	8
	.type	_ZN7rocprim17ROCPRIM_304000_NS6detail16transform_kernelINS1_24wrapped_transform_configINS0_14default_configEbEEbPKbPbNS0_8identityIbEEEEvT1_mT2_T3_,@function
_ZN7rocprim17ROCPRIM_304000_NS6detail16transform_kernelINS1_24wrapped_transform_configINS0_14default_configEbEEbPKbPbNS0_8identityIbEEEEvT1_mT2_T3_: ; @_ZN7rocprim17ROCPRIM_304000_NS6detail16transform_kernelINS1_24wrapped_transform_configINS0_14default_configEbEEbPKbPbNS0_8identityIbEEEEvT1_mT2_T3_
; %bb.0:
	s_load_dword s7, s[4:5], 0x20
	s_load_dwordx4 s[0:3], s[4:5], 0x0
	s_load_dwordx2 s[34:35], s[4:5], 0x10
	s_lshl_b32 s33, s6, 10
	s_waitcnt lgkmcnt(0)
	s_add_i32 s7, s7, -1
	s_add_u32 s0, s0, s33
	s_addc_u32 s1, s1, 0
	v_mov_b32_e32 v1, s1
	v_add_co_u32_e32 v2, vcc, s0, v0
	s_cmp_lg_u32 s6, s7
	v_addc_co_u32_e32 v3, vcc, 0, v1, vcc
	s_cbranch_scc0 .LBB169_2
; %bb.1:
	global_load_ubyte v1, v[2:3], off
	global_load_ubyte v5, v[2:3], off offset:64
	global_load_ubyte v8, v[2:3], off offset:128
	;; [unrolled: 1-line block ×15, first 2 shown]
	s_add_u32 s3, s34, s33
	s_addc_u32 s4, s35, 0
	v_mov_b32_e32 v7, s4
	v_add_co_u32_e32 v6, vcc, s3, v0
	v_addc_co_u32_e32 v7, vcc, 0, v7, vcc
	s_mov_b64 s[36:37], -1
	s_waitcnt vmcnt(15)
	global_store_byte v[6:7], v1, off
	s_waitcnt vmcnt(15)
	global_store_byte v[6:7], v5, off offset:64
	s_waitcnt vmcnt(15)
	global_store_byte v[6:7], v8, off offset:128
	;; [unrolled: 2-line block ×14, first 2 shown]
	s_cbranch_execz .LBB169_3
	s_branch .LBB169_53
.LBB169_2:
	s_mov_b64 s[36:37], 0
                                        ; implicit-def: $vgpr4
.LBB169_3:
	s_sub_i32 s30, s2, s33
	v_cmp_gt_u32_e32 vcc, s30, v0
                                        ; implicit-def: $vgpr1
	s_and_saveexec_b64 s[0:1], vcc
	s_cbranch_execz .LBB169_5
; %bb.4:
	global_load_ubyte v1, v[2:3], off
.LBB169_5:
	s_or_b64 exec, exec, s[0:1]
	s_waitcnt vmcnt(15)
	v_or_b32_e32 v4, 64, v0
	v_cmp_gt_u32_e64 s[0:1], s30, v4
                                        ; implicit-def: $vgpr4
	s_and_saveexec_b64 s[2:3], s[0:1]
	s_cbranch_execz .LBB169_7
; %bb.6:
	global_load_ubyte v4, v[2:3], off offset:64
.LBB169_7:
	s_or_b64 exec, exec, s[2:3]
	v_or_b32_e32 v5, 0x80, v0
	v_cmp_gt_u32_e64 s[2:3], s30, v5
                                        ; implicit-def: $vgpr5
	s_and_saveexec_b64 s[4:5], s[2:3]
	s_cbranch_execz .LBB169_9
; %bb.8:
	global_load_ubyte v5, v[2:3], off offset:128
.LBB169_9:
	s_or_b64 exec, exec, s[4:5]
	v_or_b32_e32 v6, 0xc0, v0
	v_cmp_gt_u32_e64 s[4:5], s30, v6
                                        ; implicit-def: $vgpr6
	s_and_saveexec_b64 s[6:7], s[4:5]
	s_cbranch_execz .LBB169_11
; %bb.10:
	global_load_ubyte v6, v[2:3], off offset:192
.LBB169_11:
	s_or_b64 exec, exec, s[6:7]
	v_or_b32_e32 v7, 0x100, v0
	v_cmp_gt_u32_e64 s[6:7], s30, v7
                                        ; implicit-def: $vgpr7
	s_and_saveexec_b64 s[8:9], s[6:7]
	s_cbranch_execz .LBB169_13
; %bb.12:
	global_load_ubyte v7, v[2:3], off offset:256
.LBB169_13:
	s_or_b64 exec, exec, s[8:9]
	v_or_b32_e32 v8, 0x140, v0
	v_cmp_gt_u32_e64 s[8:9], s30, v8
                                        ; implicit-def: $vgpr8
	s_and_saveexec_b64 s[10:11], s[8:9]
	s_cbranch_execz .LBB169_15
; %bb.14:
	global_load_ubyte v8, v[2:3], off offset:320
.LBB169_15:
	s_or_b64 exec, exec, s[10:11]
	v_or_b32_e32 v9, 0x180, v0
	v_cmp_gt_u32_e64 s[10:11], s30, v9
                                        ; implicit-def: $vgpr9
	s_and_saveexec_b64 s[12:13], s[10:11]
	s_cbranch_execz .LBB169_17
; %bb.16:
	global_load_ubyte v9, v[2:3], off offset:384
.LBB169_17:
	s_or_b64 exec, exec, s[12:13]
	v_or_b32_e32 v10, 0x1c0, v0
	v_cmp_gt_u32_e64 s[12:13], s30, v10
                                        ; implicit-def: $vgpr10
	s_and_saveexec_b64 s[14:15], s[12:13]
	s_cbranch_execz .LBB169_19
; %bb.18:
	global_load_ubyte v10, v[2:3], off offset:448
.LBB169_19:
	s_or_b64 exec, exec, s[14:15]
	v_or_b32_e32 v11, 0x200, v0
	v_cmp_gt_u32_e64 s[14:15], s30, v11
                                        ; implicit-def: $vgpr11
	s_and_saveexec_b64 s[16:17], s[14:15]
	s_cbranch_execz .LBB169_21
; %bb.20:
	global_load_ubyte v11, v[2:3], off offset:512
.LBB169_21:
	s_or_b64 exec, exec, s[16:17]
	v_or_b32_e32 v12, 0x240, v0
	v_cmp_gt_u32_e64 s[16:17], s30, v12
                                        ; implicit-def: $vgpr12
	s_and_saveexec_b64 s[18:19], s[16:17]
	s_cbranch_execz .LBB169_23
; %bb.22:
	global_load_ubyte v12, v[2:3], off offset:576
.LBB169_23:
	s_or_b64 exec, exec, s[18:19]
	v_or_b32_e32 v13, 0x280, v0
	v_cmp_gt_u32_e64 s[18:19], s30, v13
                                        ; implicit-def: $vgpr13
	s_and_saveexec_b64 s[20:21], s[18:19]
	s_cbranch_execz .LBB169_25
; %bb.24:
	global_load_ubyte v13, v[2:3], off offset:640
.LBB169_25:
	s_or_b64 exec, exec, s[20:21]
	v_or_b32_e32 v14, 0x2c0, v0
	v_cmp_gt_u32_e64 s[20:21], s30, v14
                                        ; implicit-def: $vgpr14
	s_and_saveexec_b64 s[22:23], s[20:21]
	s_cbranch_execz .LBB169_27
; %bb.26:
	global_load_ubyte v14, v[2:3], off offset:704
.LBB169_27:
	s_or_b64 exec, exec, s[22:23]
	v_or_b32_e32 v15, 0x300, v0
	v_cmp_gt_u32_e64 s[22:23], s30, v15
                                        ; implicit-def: $vgpr15
	s_and_saveexec_b64 s[24:25], s[22:23]
	s_cbranch_execz .LBB169_29
; %bb.28:
	global_load_ubyte v15, v[2:3], off offset:768
.LBB169_29:
	s_or_b64 exec, exec, s[24:25]
	v_or_b32_e32 v16, 0x340, v0
	v_cmp_gt_u32_e64 s[24:25], s30, v16
                                        ; implicit-def: $vgpr16
	s_and_saveexec_b64 s[26:27], s[24:25]
	s_cbranch_execz .LBB169_31
; %bb.30:
	global_load_ubyte v16, v[2:3], off offset:832
.LBB169_31:
	s_or_b64 exec, exec, s[26:27]
	v_or_b32_e32 v17, 0x380, v0
	v_cmp_gt_u32_e64 s[26:27], s30, v17
                                        ; implicit-def: $vgpr17
	s_and_saveexec_b64 s[28:29], s[26:27]
	s_cbranch_execz .LBB169_33
; %bb.32:
	global_load_ubyte v17, v[2:3], off offset:896
.LBB169_33:
	s_or_b64 exec, exec, s[28:29]
	v_or_b32_e32 v18, 0x3c0, v0
	v_cmp_gt_u32_e64 s[28:29], s30, v18
                                        ; implicit-def: $vgpr18
	s_and_saveexec_b64 s[30:31], s[28:29]
	s_cbranch_execz .LBB169_35
; %bb.34:
	global_load_ubyte v18, v[2:3], off offset:960
.LBB169_35:
	s_or_b64 exec, exec, s[30:31]
	v_mov_b32_e32 v3, 1
	s_waitcnt vmcnt(0)
	v_and_b32_e32 v1, 1, v1
	v_and_b32_sdwa v4, v4, v3 dst_sel:BYTE_1 dst_unused:UNUSED_PAD src0_sel:DWORD src1_sel:DWORD
	v_and_b32_e32 v2, 0xffff, v1
	v_or_b32_e32 v1, v1, v4
	v_and_b32_e32 v1, 0xffff, v1
	v_cndmask_b32_e64 v1, v2, v1, s[0:1]
	v_and_b32_sdwa v2, v5, v3 dst_sel:WORD_1 dst_unused:UNUSED_PAD src0_sel:DWORD src1_sel:DWORD
	v_or_b32_e32 v2, v1, v2
	v_cndmask_b32_e64 v1, v1, v2, s[2:3]
	s_movk_i32 s31, 0xff
	v_and_b32_sdwa v2, v1, s31 dst_sel:DWORD dst_unused:UNUSED_PAD src0_sel:WORD_1 src1_sel:DWORD
	v_and_b32_sdwa v4, v6, v3 dst_sel:BYTE_1 dst_unused:UNUSED_PAD src0_sel:DWORD src1_sel:DWORD
	s_mov_b32 s30, 0xffff
	v_or_b32_sdwa v2, v2, v4 dst_sel:WORD_1 dst_unused:UNUSED_PAD src0_sel:DWORD src1_sel:DWORD
	v_and_or_b32 v2, v1, s30, v2
	v_cndmask_b32_e64 v6, v1, v2, s[4:5]
	v_and_b32_e32 v1, 1, v7
	v_and_b32_e32 v1, 0xffff, v1
	v_cndmask_b32_e64 v1, 0, v1, s[6:7]
	v_and_b32_sdwa v2, v8, v3 dst_sel:BYTE_1 dst_unused:UNUSED_PAD src0_sel:DWORD src1_sel:DWORD
	v_or_b32_sdwa v2, v1, v2 dst_sel:DWORD dst_unused:UNUSED_PAD src0_sel:BYTE_0 src1_sel:DWORD
	v_and_b32_e32 v2, 0xffff, v2
	s_movk_i32 s38, 0xff00
	v_cndmask_b32_e64 v1, v1, v2, s[8:9]
	v_and_b32_sdwa v2, v1, s38 dst_sel:DWORD dst_unused:UNUSED_PAD src0_sel:WORD_1 src1_sel:DWORD
	v_and_b32_e32 v4, 1, v9
	v_or_b32_sdwa v2, v4, v2 dst_sel:WORD_1 dst_unused:UNUSED_PAD src0_sel:DWORD src1_sel:DWORD
	v_and_or_b32 v2, v1, s30, v2
	v_cndmask_b32_e64 v1, v1, v2, s[10:11]
	v_and_b32_sdwa v2, v1, s31 dst_sel:DWORD dst_unused:UNUSED_PAD src0_sel:WORD_1 src1_sel:DWORD
	v_and_b32_sdwa v4, v10, v3 dst_sel:BYTE_1 dst_unused:UNUSED_PAD src0_sel:DWORD src1_sel:DWORD
	v_or_b32_sdwa v2, v2, v4 dst_sel:WORD_1 dst_unused:UNUSED_PAD src0_sel:DWORD src1_sel:DWORD
	v_and_or_b32 v2, v1, s30, v2
	v_cndmask_b32_e64 v5, v1, v2, s[12:13]
	v_and_b32_e32 v1, 1, v11
	v_and_b32_sdwa v4, v12, v3 dst_sel:BYTE_1 dst_unused:UNUSED_PAD src0_sel:DWORD src1_sel:DWORD
	v_and_b32_e32 v2, 0xffff, v1
	v_or_b32_e32 v1, v1, v4
	v_and_b32_e32 v1, 0xffff, v1
	v_cndmask_b32_e64 v1, v2, v1, s[16:17]
	v_and_b32_sdwa v2, v13, v3 dst_sel:WORD_1 dst_unused:UNUSED_PAD src0_sel:DWORD src1_sel:DWORD
	v_or_b32_e32 v2, v1, v2
	v_cndmask_b32_e64 v1, v1, v2, s[18:19]
	v_and_b32_sdwa v2, v1, s31 dst_sel:DWORD dst_unused:UNUSED_PAD src0_sel:WORD_1 src1_sel:DWORD
	v_and_b32_sdwa v4, v14, v3 dst_sel:BYTE_1 dst_unused:UNUSED_PAD src0_sel:DWORD src1_sel:DWORD
	v_or_b32_sdwa v2, v2, v4 dst_sel:WORD_1 dst_unused:UNUSED_PAD src0_sel:DWORD src1_sel:DWORD
	v_and_or_b32 v2, v1, s30, v2
	v_cndmask_b32_e64 v4, v1, v2, s[20:21]
	v_and_b32_e32 v1, 1, v15
	v_and_b32_e32 v1, 0xffff, v1
	v_cndmask_b32_e64 v1, 0, v1, s[22:23]
	v_and_b32_sdwa v2, v16, v3 dst_sel:BYTE_1 dst_unused:UNUSED_PAD src0_sel:DWORD src1_sel:DWORD
	v_or_b32_sdwa v2, v1, v2 dst_sel:DWORD dst_unused:UNUSED_PAD src0_sel:BYTE_0 src1_sel:DWORD
	v_and_b32_e32 v2, 0xffff, v2
	v_cndmask_b32_e64 v1, v1, v2, s[24:25]
	v_and_b32_sdwa v2, v1, s38 dst_sel:DWORD dst_unused:UNUSED_PAD src0_sel:WORD_1 src1_sel:DWORD
	v_and_b32_e32 v7, 1, v17
	v_or_b32_sdwa v2, v7, v2 dst_sel:WORD_1 dst_unused:UNUSED_PAD src0_sel:DWORD src1_sel:DWORD
	v_and_or_b32 v2, v1, s30, v2
	v_cndmask_b32_e64 v1, v1, v2, s[26:27]
	v_and_b32_sdwa v2, v1, s31 dst_sel:DWORD dst_unused:UNUSED_PAD src0_sel:WORD_1 src1_sel:DWORD
	v_and_b32_sdwa v3, v18, v3 dst_sel:BYTE_1 dst_unused:UNUSED_PAD src0_sel:DWORD src1_sel:DWORD
	v_or_b32_sdwa v2, v2, v3 dst_sel:WORD_1 dst_unused:UNUSED_PAD src0_sel:DWORD src1_sel:DWORD
	v_and_or_b32 v2, v1, s30, v2
	s_add_u32 s30, s34, s33
	s_addc_u32 s31, s35, 0
	v_cndmask_b32_e64 v1, v1, v2, s[28:29]
	v_mov_b32_e32 v3, s31
	v_add_co_u32_e64 v2, s[30:31], s30, v0
	v_addc_co_u32_e64 v3, s[30:31], 0, v3, s[30:31]
	s_and_saveexec_b64 s[30:31], vcc
	s_cbranch_execnz .LBB169_56
; %bb.36:
	s_or_b64 exec, exec, s[30:31]
	s_and_saveexec_b64 s[30:31], s[0:1]
	s_cbranch_execnz .LBB169_57
.LBB169_37:
	s_or_b64 exec, exec, s[30:31]
	s_and_saveexec_b64 s[0:1], s[2:3]
	s_cbranch_execnz .LBB169_58
.LBB169_38:
	s_or_b64 exec, exec, s[0:1]
	s_and_saveexec_b64 s[0:1], s[4:5]
	s_cbranch_execnz .LBB169_59
.LBB169_39:
	s_or_b64 exec, exec, s[0:1]
	s_and_saveexec_b64 s[0:1], s[6:7]
	s_cbranch_execnz .LBB169_60
.LBB169_40:
	s_or_b64 exec, exec, s[0:1]
	s_and_saveexec_b64 s[0:1], s[8:9]
	s_cbranch_execnz .LBB169_61
.LBB169_41:
	s_or_b64 exec, exec, s[0:1]
	s_and_saveexec_b64 s[0:1], s[10:11]
	s_cbranch_execnz .LBB169_62
.LBB169_42:
	s_or_b64 exec, exec, s[0:1]
	s_and_saveexec_b64 s[0:1], s[12:13]
	s_cbranch_execnz .LBB169_63
.LBB169_43:
	s_or_b64 exec, exec, s[0:1]
	s_and_saveexec_b64 s[0:1], s[14:15]
	s_cbranch_execnz .LBB169_64
.LBB169_44:
	s_or_b64 exec, exec, s[0:1]
	s_and_saveexec_b64 s[0:1], s[16:17]
	s_cbranch_execnz .LBB169_65
.LBB169_45:
	s_or_b64 exec, exec, s[0:1]
	s_and_saveexec_b64 s[0:1], s[18:19]
	s_cbranch_execnz .LBB169_66
.LBB169_46:
	s_or_b64 exec, exec, s[0:1]
	s_and_saveexec_b64 s[0:1], s[20:21]
	s_cbranch_execnz .LBB169_67
.LBB169_47:
	s_or_b64 exec, exec, s[0:1]
	s_and_saveexec_b64 s[0:1], s[22:23]
	s_cbranch_execnz .LBB169_68
.LBB169_48:
	s_or_b64 exec, exec, s[0:1]
	s_and_saveexec_b64 s[0:1], s[24:25]
	s_cbranch_execnz .LBB169_69
.LBB169_49:
	s_or_b64 exec, exec, s[0:1]
	s_and_saveexec_b64 s[0:1], s[26:27]
	s_cbranch_execnz .LBB169_70
.LBB169_50:
	s_or_b64 exec, exec, s[0:1]
                                        ; implicit-def: $vgpr4
	s_and_saveexec_b64 s[0:1], s[28:29]
.LBB169_51:
	v_lshrrev_b32_e32 v4, 24, v1
	s_or_b64 s[36:37], s[36:37], exec
.LBB169_52:
	s_or_b64 exec, exec, s[0:1]
.LBB169_53:
	s_and_saveexec_b64 s[0:1], s[36:37]
	s_cbranch_execnz .LBB169_55
; %bb.54:
	s_endpgm
.LBB169_55:
	s_add_u32 s0, s34, s33
	s_addc_u32 s1, s35, 0
	v_mov_b32_e32 v1, s1
	v_add_co_u32_e32 v0, vcc, s0, v0
	v_addc_co_u32_e32 v1, vcc, 0, v1, vcc
	s_waitcnt vmcnt(15)
	global_store_byte v[0:1], v4, off offset:960
	s_endpgm
.LBB169_56:
	global_store_byte v[2:3], v6, off
	s_or_b64 exec, exec, s[30:31]
	s_and_saveexec_b64 s[30:31], s[0:1]
	s_cbranch_execz .LBB169_37
.LBB169_57:
	v_lshrrev_b32_e32 v7, 8, v6
	global_store_byte v[2:3], v7, off offset:64
	s_or_b64 exec, exec, s[30:31]
	s_and_saveexec_b64 s[0:1], s[2:3]
	s_cbranch_execz .LBB169_38
.LBB169_58:
	global_store_byte_d16_hi v[2:3], v6, off offset:128
	s_or_b64 exec, exec, s[0:1]
	s_and_saveexec_b64 s[0:1], s[4:5]
	s_cbranch_execz .LBB169_39
.LBB169_59:
	v_lshrrev_b32_e32 v6, 24, v6
	global_store_byte v[2:3], v6, off offset:192
	s_or_b64 exec, exec, s[0:1]
	s_and_saveexec_b64 s[0:1], s[6:7]
	s_cbranch_execz .LBB169_40
.LBB169_60:
	global_store_byte v[2:3], v5, off offset:256
	s_or_b64 exec, exec, s[0:1]
	s_and_saveexec_b64 s[0:1], s[8:9]
	s_cbranch_execz .LBB169_41
.LBB169_61:
	v_lshrrev_b32_e32 v6, 8, v5
	global_store_byte v[2:3], v6, off offset:320
	s_or_b64 exec, exec, s[0:1]
	s_and_saveexec_b64 s[0:1], s[10:11]
	s_cbranch_execz .LBB169_42
.LBB169_62:
	global_store_byte_d16_hi v[2:3], v5, off offset:384
	s_or_b64 exec, exec, s[0:1]
	s_and_saveexec_b64 s[0:1], s[12:13]
	s_cbranch_execz .LBB169_43
.LBB169_63:
	v_lshrrev_b32_e32 v5, 24, v5
	global_store_byte v[2:3], v5, off offset:448
	s_or_b64 exec, exec, s[0:1]
	s_and_saveexec_b64 s[0:1], s[14:15]
	s_cbranch_execz .LBB169_44
.LBB169_64:
	global_store_byte v[2:3], v4, off offset:512
	s_or_b64 exec, exec, s[0:1]
	s_and_saveexec_b64 s[0:1], s[16:17]
	s_cbranch_execz .LBB169_45
.LBB169_65:
	v_lshrrev_b32_e32 v5, 8, v4
	global_store_byte v[2:3], v5, off offset:576
	s_or_b64 exec, exec, s[0:1]
	s_and_saveexec_b64 s[0:1], s[18:19]
	s_cbranch_execz .LBB169_46
.LBB169_66:
	global_store_byte_d16_hi v[2:3], v4, off offset:640
	s_or_b64 exec, exec, s[0:1]
	s_and_saveexec_b64 s[0:1], s[20:21]
	s_cbranch_execz .LBB169_47
.LBB169_67:
	v_lshrrev_b32_e32 v4, 24, v4
	global_store_byte v[2:3], v4, off offset:704
	s_or_b64 exec, exec, s[0:1]
	s_and_saveexec_b64 s[0:1], s[22:23]
	s_cbranch_execz .LBB169_48
.LBB169_68:
	global_store_byte v[2:3], v1, off offset:768
	s_or_b64 exec, exec, s[0:1]
	s_and_saveexec_b64 s[0:1], s[24:25]
	s_cbranch_execz .LBB169_49
.LBB169_69:
	v_lshrrev_b32_e32 v4, 8, v1
	global_store_byte v[2:3], v4, off offset:832
	s_or_b64 exec, exec, s[0:1]
	s_and_saveexec_b64 s[0:1], s[26:27]
	s_cbranch_execz .LBB169_50
.LBB169_70:
	global_store_byte_d16_hi v[2:3], v1, off offset:896
	s_or_b64 exec, exec, s[0:1]
                                        ; implicit-def: $vgpr4
	s_and_saveexec_b64 s[0:1], s[28:29]
	s_cbranch_execnz .LBB169_51
	s_branch .LBB169_52
	.section	.rodata,"a",@progbits
	.p2align	6, 0x0
	.amdhsa_kernel _ZN7rocprim17ROCPRIM_304000_NS6detail16transform_kernelINS1_24wrapped_transform_configINS0_14default_configEbEEbPKbPbNS0_8identityIbEEEEvT1_mT2_T3_
		.amdhsa_group_segment_fixed_size 0
		.amdhsa_private_segment_fixed_size 0
		.amdhsa_kernarg_size 288
		.amdhsa_user_sgpr_count 6
		.amdhsa_user_sgpr_private_segment_buffer 1
		.amdhsa_user_sgpr_dispatch_ptr 0
		.amdhsa_user_sgpr_queue_ptr 0
		.amdhsa_user_sgpr_kernarg_segment_ptr 1
		.amdhsa_user_sgpr_dispatch_id 0
		.amdhsa_user_sgpr_flat_scratch_init 0
		.amdhsa_user_sgpr_kernarg_preload_length 0
		.amdhsa_user_sgpr_kernarg_preload_offset 0
		.amdhsa_user_sgpr_private_segment_size 0
		.amdhsa_uses_dynamic_stack 0
		.amdhsa_system_sgpr_private_segment_wavefront_offset 0
		.amdhsa_system_sgpr_workgroup_id_x 1
		.amdhsa_system_sgpr_workgroup_id_y 0
		.amdhsa_system_sgpr_workgroup_id_z 0
		.amdhsa_system_sgpr_workgroup_info 0
		.amdhsa_system_vgpr_workitem_id 0
		.amdhsa_next_free_vgpr 21
		.amdhsa_next_free_sgpr 39
		.amdhsa_accum_offset 24
		.amdhsa_reserve_vcc 1
		.amdhsa_reserve_flat_scratch 0
		.amdhsa_float_round_mode_32 0
		.amdhsa_float_round_mode_16_64 0
		.amdhsa_float_denorm_mode_32 3
		.amdhsa_float_denorm_mode_16_64 3
		.amdhsa_dx10_clamp 1
		.amdhsa_ieee_mode 1
		.amdhsa_fp16_overflow 0
		.amdhsa_tg_split 0
		.amdhsa_exception_fp_ieee_invalid_op 0
		.amdhsa_exception_fp_denorm_src 0
		.amdhsa_exception_fp_ieee_div_zero 0
		.amdhsa_exception_fp_ieee_overflow 0
		.amdhsa_exception_fp_ieee_underflow 0
		.amdhsa_exception_fp_ieee_inexact 0
		.amdhsa_exception_int_div_zero 0
	.end_amdhsa_kernel
	.section	.text._ZN7rocprim17ROCPRIM_304000_NS6detail16transform_kernelINS1_24wrapped_transform_configINS0_14default_configEbEEbPKbPbNS0_8identityIbEEEEvT1_mT2_T3_,"axG",@progbits,_ZN7rocprim17ROCPRIM_304000_NS6detail16transform_kernelINS1_24wrapped_transform_configINS0_14default_configEbEEbPKbPbNS0_8identityIbEEEEvT1_mT2_T3_,comdat
.Lfunc_end169:
	.size	_ZN7rocprim17ROCPRIM_304000_NS6detail16transform_kernelINS1_24wrapped_transform_configINS0_14default_configEbEEbPKbPbNS0_8identityIbEEEEvT1_mT2_T3_, .Lfunc_end169-_ZN7rocprim17ROCPRIM_304000_NS6detail16transform_kernelINS1_24wrapped_transform_configINS0_14default_configEbEEbPKbPbNS0_8identityIbEEEEvT1_mT2_T3_
                                        ; -- End function
	.section	.AMDGPU.csdata,"",@progbits
; Kernel info:
; codeLenInByte = 2060
; NumSgprs: 43
; NumVgprs: 21
; NumAgprs: 0
; TotalNumVgprs: 21
; ScratchSize: 0
; MemoryBound: 0
; FloatMode: 240
; IeeeMode: 1
; LDSByteSize: 0 bytes/workgroup (compile time only)
; SGPRBlocks: 5
; VGPRBlocks: 2
; NumSGPRsForWavesPerEU: 43
; NumVGPRsForWavesPerEU: 21
; AccumOffset: 24
; Occupancy: 8
; WaveLimiterHint : 0
; COMPUTE_PGM_RSRC2:SCRATCH_EN: 0
; COMPUTE_PGM_RSRC2:USER_SGPR: 6
; COMPUTE_PGM_RSRC2:TRAP_HANDLER: 0
; COMPUTE_PGM_RSRC2:TGID_X_EN: 1
; COMPUTE_PGM_RSRC2:TGID_Y_EN: 0
; COMPUTE_PGM_RSRC2:TGID_Z_EN: 0
; COMPUTE_PGM_RSRC2:TIDIG_COMP_CNT: 0
; COMPUTE_PGM_RSRC3_GFX90A:ACCUM_OFFSET: 5
; COMPUTE_PGM_RSRC3_GFX90A:TG_SPLIT: 0
	.section	.text._ZN7rocprim17ROCPRIM_304000_NS6detail25onesweep_iteration_kernelINS1_34wrapped_radix_sort_onesweep_configINS0_14default_configEbN2at4cuda3cub6detail10OpaqueTypeILi8EEEEELb1EPKbPbPKSA_PSA_mNS0_19identity_decomposerEEEvT1_T2_T3_T4_jPT5_SO_PNS1_23onesweep_lookback_stateET6_jjj,"axG",@progbits,_ZN7rocprim17ROCPRIM_304000_NS6detail25onesweep_iteration_kernelINS1_34wrapped_radix_sort_onesweep_configINS0_14default_configEbN2at4cuda3cub6detail10OpaqueTypeILi8EEEEELb1EPKbPbPKSA_PSA_mNS0_19identity_decomposerEEEvT1_T2_T3_T4_jPT5_SO_PNS1_23onesweep_lookback_stateET6_jjj,comdat
	.protected	_ZN7rocprim17ROCPRIM_304000_NS6detail25onesweep_iteration_kernelINS1_34wrapped_radix_sort_onesweep_configINS0_14default_configEbN2at4cuda3cub6detail10OpaqueTypeILi8EEEEELb1EPKbPbPKSA_PSA_mNS0_19identity_decomposerEEEvT1_T2_T3_T4_jPT5_SO_PNS1_23onesweep_lookback_stateET6_jjj ; -- Begin function _ZN7rocprim17ROCPRIM_304000_NS6detail25onesweep_iteration_kernelINS1_34wrapped_radix_sort_onesweep_configINS0_14default_configEbN2at4cuda3cub6detail10OpaqueTypeILi8EEEEELb1EPKbPbPKSA_PSA_mNS0_19identity_decomposerEEEvT1_T2_T3_T4_jPT5_SO_PNS1_23onesweep_lookback_stateET6_jjj
	.globl	_ZN7rocprim17ROCPRIM_304000_NS6detail25onesweep_iteration_kernelINS1_34wrapped_radix_sort_onesweep_configINS0_14default_configEbN2at4cuda3cub6detail10OpaqueTypeILi8EEEEELb1EPKbPbPKSA_PSA_mNS0_19identity_decomposerEEEvT1_T2_T3_T4_jPT5_SO_PNS1_23onesweep_lookback_stateET6_jjj
	.p2align	8
	.type	_ZN7rocprim17ROCPRIM_304000_NS6detail25onesweep_iteration_kernelINS1_34wrapped_radix_sort_onesweep_configINS0_14default_configEbN2at4cuda3cub6detail10OpaqueTypeILi8EEEEELb1EPKbPbPKSA_PSA_mNS0_19identity_decomposerEEEvT1_T2_T3_T4_jPT5_SO_PNS1_23onesweep_lookback_stateET6_jjj,@function
_ZN7rocprim17ROCPRIM_304000_NS6detail25onesweep_iteration_kernelINS1_34wrapped_radix_sort_onesweep_configINS0_14default_configEbN2at4cuda3cub6detail10OpaqueTypeILi8EEEEELb1EPKbPbPKSA_PSA_mNS0_19identity_decomposerEEEvT1_T2_T3_T4_jPT5_SO_PNS1_23onesweep_lookback_stateET6_jjj: ; @_ZN7rocprim17ROCPRIM_304000_NS6detail25onesweep_iteration_kernelINS1_34wrapped_radix_sort_onesweep_configINS0_14default_configEbN2at4cuda3cub6detail10OpaqueTypeILi8EEEEELb1EPKbPbPKSA_PSA_mNS0_19identity_decomposerEEEvT1_T2_T3_T4_jPT5_SO_PNS1_23onesweep_lookback_stateET6_jjj
; %bb.0:
	s_load_dwordx4 s[48:51], s[4:5], 0x44
	s_load_dwordx8 s[36:43], s[4:5], 0x0
	s_load_dwordx4 s[44:47], s[4:5], 0x28
	s_load_dwordx2 s[34:35], s[4:5], 0x38
	s_mul_i32 s30, s6, 0xc00
	s_waitcnt lgkmcnt(0)
	s_cmp_ge_u32 s6, s50
	v_mbcnt_lo_u32_b32 v1, -1, 0
	s_cbranch_scc0 .LBB170_86
; %bb.1:
	s_load_dword s0, s[4:5], 0x20
	s_mul_i32 s33, s50, 0xfffff400
	v_and_b32_e32 v2, 0x3ff, v0
	v_mbcnt_hi_u32_b32 v6, -1, v1
	v_and_b32_e32 v3, 0x1c0, v2
	s_waitcnt lgkmcnt(0)
	s_add_i32 s33, s33, s0
	s_add_u32 s0, s36, s30
	s_addc_u32 s1, s37, 0
	v_mov_b32_e32 v5, s1
	v_add_co_u32_e32 v7, vcc, s0, v6
	v_mul_u32_u24_e32 v4, 6, v3
	v_addc_co_u32_e32 v5, vcc, 0, v5, vcc
	s_mov_b32 s31, 0
	v_add_co_u32_e32 v10, vcc, v7, v4
	v_addc_co_u32_e32 v11, vcc, 0, v5, vcc
	v_or_b32_e32 v5, v6, v4
	s_mov_b32 s0, s31
	s_mov_b32 s1, s31
	v_cmp_gt_u32_e32 vcc, s33, v5
	v_pk_mov_b32 v[8:9], s[0:1], s[0:1] op_sel:[0,1]
	s_and_saveexec_b64 s[0:1], vcc
	s_cbranch_execz .LBB170_3
; %bb.2:
	global_load_ubyte v7, v[10:11], off
	v_mov_b32_e32 v9, s31
	s_waitcnt vmcnt(0)
	v_and_b32_e32 v8, 0xffff, v7
.LBB170_3:
	s_or_b64 exec, exec, s[0:1]
	v_add_u32_e32 v7, 64, v5
	v_cmp_gt_u32_e64 s[0:1], s33, v7
	s_and_saveexec_b64 s[2:3], s[0:1]
	s_cbranch_execz .LBB170_5
; %bb.4:
	global_load_ubyte v7, v[10:11], off offset:64
	s_movk_i32 s7, 0xff
	v_lshrrev_b32_e32 v12, 24, v8
	v_mov_b32_e32 v13, 8
	v_lshlrev_b16_e32 v12, 8, v12
	v_and_b32_sdwa v14, v8, s7 dst_sel:DWORD dst_unused:UNUSED_PAD src0_sel:WORD_1 src1_sel:DWORD
	v_lshrrev_b32_sdwa v13, v13, v9 dst_sel:BYTE_1 dst_unused:UNUSED_PAD src0_sel:DWORD src1_sel:DWORD
	v_or_b32_sdwa v12, v14, v12 dst_sel:WORD_1 dst_unused:UNUSED_PAD src0_sel:DWORD src1_sel:DWORD
	v_or_b32_sdwa v9, v9, v13 dst_sel:DWORD dst_unused:UNUSED_PAD src0_sel:BYTE_0 src1_sel:DWORD
	v_and_b32_e32 v9, 0xffff, v9
	s_waitcnt vmcnt(0)
	v_lshlrev_b16_e32 v7, 8, v7
	v_or_b32_sdwa v7, v8, v7 dst_sel:DWORD dst_unused:UNUSED_PAD src0_sel:BYTE_0 src1_sel:DWORD
	v_or_b32_sdwa v8, v7, v12 dst_sel:DWORD dst_unused:UNUSED_PAD src0_sel:WORD_0 src1_sel:DWORD
.LBB170_5:
	s_or_b64 exec, exec, s[2:3]
	v_add_u32_e32 v7, 0x80, v5
	v_cmp_gt_u32_e64 s[2:3], s33, v7
	s_and_saveexec_b64 s[8:9], s[2:3]
	s_cbranch_execz .LBB170_7
; %bb.6:
	global_load_ubyte v7, v[10:11], off offset:128
	v_mov_b32_e32 v12, 8
	v_lshrrev_b32_sdwa v13, v12, v9 dst_sel:BYTE_1 dst_unused:UNUSED_PAD src0_sel:DWORD src1_sel:DWORD
	v_lshrrev_b32_sdwa v12, v12, v8 dst_sel:BYTE_1 dst_unused:UNUSED_PAD src0_sel:DWORD src1_sel:DWORD
	v_or_b32_sdwa v12, v8, v12 dst_sel:DWORD dst_unused:UNUSED_PAD src0_sel:BYTE_0 src1_sel:DWORD
	v_lshrrev_b32_e32 v8, 24, v8
	v_lshlrev_b16_e32 v8, 8, v8
	v_or_b32_sdwa v9, v9, v13 dst_sel:DWORD dst_unused:UNUSED_PAD src0_sel:BYTE_0 src1_sel:DWORD
	v_and_b32_e32 v9, 0xffff, v9
	s_waitcnt vmcnt(0)
	v_or_b32_sdwa v7, v7, v8 dst_sel:WORD_1 dst_unused:UNUSED_PAD src0_sel:DWORD src1_sel:DWORD
	v_or_b32_sdwa v8, v12, v7 dst_sel:DWORD dst_unused:UNUSED_PAD src0_sel:WORD_0 src1_sel:DWORD
.LBB170_7:
	s_or_b64 exec, exec, s[8:9]
	v_add_u32_e32 v7, 0xc0, v5
	v_cmp_gt_u32_e64 s[26:27], s33, v7
	s_and_saveexec_b64 s[8:9], s[26:27]
	s_cbranch_execz .LBB170_9
; %bb.8:
	global_load_ubyte v7, v[10:11], off offset:192
	s_movk_i32 s7, 0xff
	v_mov_b32_e32 v12, 8
	v_lshrrev_b32_sdwa v13, v12, v8 dst_sel:BYTE_1 dst_unused:UNUSED_PAD src0_sel:DWORD src1_sel:DWORD
	v_and_b32_sdwa v14, v8, s7 dst_sel:DWORD dst_unused:UNUSED_PAD src0_sel:WORD_1 src1_sel:DWORD
	v_lshrrev_b32_sdwa v12, v12, v9 dst_sel:BYTE_1 dst_unused:UNUSED_PAD src0_sel:DWORD src1_sel:DWORD
	v_or_b32_sdwa v8, v8, v13 dst_sel:DWORD dst_unused:UNUSED_PAD src0_sel:BYTE_0 src1_sel:DWORD
	v_or_b32_sdwa v9, v9, v12 dst_sel:DWORD dst_unused:UNUSED_PAD src0_sel:BYTE_0 src1_sel:DWORD
	v_and_b32_e32 v9, 0xffff, v9
	s_waitcnt vmcnt(0)
	v_lshlrev_b16_e32 v7, 8, v7
	v_or_b32_sdwa v7, v14, v7 dst_sel:WORD_1 dst_unused:UNUSED_PAD src0_sel:DWORD src1_sel:DWORD
	v_or_b32_sdwa v8, v8, v7 dst_sel:DWORD dst_unused:UNUSED_PAD src0_sel:WORD_0 src1_sel:DWORD
.LBB170_9:
	s_or_b64 exec, exec, s[8:9]
	v_add_u32_e32 v7, 0x100, v5
	v_cmp_gt_u32_e64 s[8:9], s33, v7
	s_and_saveexec_b64 s[10:11], s[8:9]
	s_cbranch_execz .LBB170_11
; %bb.10:
	global_load_ubyte v7, v[10:11], off offset:256
	v_mov_b32_e32 v12, 8
	v_lshrrev_b32_sdwa v9, v12, v9 dst_sel:BYTE_1 dst_unused:UNUSED_PAD src0_sel:DWORD src1_sel:DWORD
	s_mov_b32 s7, 0x3020104
	v_perm_b32 v8, v8, v8, s7
	s_waitcnt vmcnt(0)
	v_or_b32_e32 v7, v7, v9
	v_and_b32_e32 v9, 0xffff, v7
.LBB170_11:
	s_or_b64 exec, exec, s[10:11]
	v_add_u32_e32 v5, 0x140, v5
	v_cmp_gt_u32_e64 s[10:11], s33, v5
	s_and_saveexec_b64 s[12:13], s[10:11]
	s_cbranch_execz .LBB170_13
; %bb.12:
	global_load_ubyte v5, v[10:11], off offset:320
	s_mov_b32 s7, 0x3020104
	v_perm_b32 v8, v8, v8, s7
	s_waitcnt vmcnt(0)
	v_lshlrev_b16_e32 v5, 8, v5
	v_or_b32_sdwa v5, v9, v5 dst_sel:DWORD dst_unused:UNUSED_PAD src0_sel:BYTE_0 src1_sel:DWORD
	v_and_b32_e32 v9, 0xffff, v5
.LBB170_13:
	s_or_b64 exec, exec, s[12:13]
	s_load_dword s7, s[4:5], 0x50
	s_load_dword s14, s[4:5], 0x5c
	v_and_b32_e32 v5, 1, v8
	v_cmp_eq_u32_e64 s[12:13], 1, v5
	s_xor_b64 s[22:23], s[12:13], -1
	s_add_u32 s12, s4, 0x50
	s_addc_u32 s13, s5, 0
	s_waitcnt lgkmcnt(0)
	s_lshr_b32 s24, s14, 16
	s_cmp_lt_u32 s6, s7
	s_cselect_b32 s14, 12, 18
	s_add_u32 s12, s12, s14
	s_addc_u32 s13, s13, 0
	v_mov_b32_e32 v5, 0
	global_load_ushort v10, v5, s[12:13]
	v_and_b32_e32 v12, 0x1000000, v8
	v_mul_u32_u24_e32 v16, 5, v2
	v_mov_b32_e32 v7, 1
	v_cmp_ne_u32_e64 s[16:17], 0, v12
	v_lshlrev_b32_e32 v12, 2, v16
	v_and_b32_e32 v13, 0x10000, v8
	v_and_b32_sdwa v8, v7, v8 dst_sel:DWORD dst_unused:UNUSED_PAD src0_sel:DWORD src1_sel:BYTE_1
	v_and_b32_sdwa v7, v7, v9 dst_sel:DWORD dst_unused:UNUSED_PAD src0_sel:DWORD src1_sel:BYTE_1
	ds_write2_b32 v12, v5, v5 offset0:8 offset1:9
	ds_write2_b32 v12, v5, v5 offset0:10 offset1:11
	ds_write_b32 v12, v5 offset:48
	v_cndmask_b32_e64 v5, 0, 1, s[22:23]
	s_lshl_b32 s22, -1, s49
	v_cmp_eq_u32_e64 s[12:13], 1, v7
	v_lshrrev_b32_e32 v7, s48, v5
	s_not_b32 s52, s22
	v_and_b32_e32 v11, 1, v9
	v_bfe_u32 v14, v0, 10, 10
	v_bfe_u32 v15, v0, 20, 10
	v_and_b32_e32 v7, s52, v7
	v_cmp_eq_u32_e64 s[14:15], 1, v11
	v_cmp_ne_u32_e64 s[18:19], 0, v13
	v_mad_u32_u24 v11, v15, s24, v14
	v_mul_u32_u24_e32 v13, 9, v7
	v_cmp_ne_u32_e64 s[22:23], 0, v7
	v_add_co_u32_e64 v7, s[24:25], -1, v7
	v_cmp_eq_u32_e64 s[20:21], 1, v8
	v_addc_co_u32_e64 v8, s[24:25], 0, -1, s[24:25]
	v_xor_b32_e32 v8, s23, v8
	v_xor_b32_e32 v7, s22, v7
	v_and_b32_e32 v9, exec_hi, v8
	v_and_b32_e32 v8, exec_lo, v7
	v_mbcnt_lo_u32_b32 v7, v8, 0
	v_mbcnt_hi_u32_b32 v7, v9, v7
	v_cmp_ne_u64_e64 s[22:23], 0, v[8:9]
	v_cmp_eq_u32_e64 s[24:25], 0, v7
	s_and_b64 s[24:25], s[22:23], s[24:25]
	s_waitcnt lgkmcnt(0)
	s_barrier
	s_waitcnt lgkmcnt(0)
	; wave barrier
	s_waitcnt vmcnt(0)
	v_mad_u64_u32 v[10:11], s[28:29], v11, v10, v[2:3]
	v_lshrrev_b32_e32 v10, 6, v10
	v_add_lshl_u32 v17, v10, v13, 2
	s_and_saveexec_b64 s[22:23], s[24:25]
	s_cbranch_execz .LBB170_15
; %bb.14:
	v_bcnt_u32_b32 v8, v8, 0
	v_bcnt_u32_b32 v8, v9, v8
	ds_write_b32 v17, v8 offset:32
.LBB170_15:
	s_or_b64 exec, exec, s[22:23]
	s_xor_b64 s[20:21], s[20:21], -1
	v_cndmask_b32_e64 v13, 0, 1, s[20:21]
	v_lshrrev_b32_e32 v8, s48, v13
	v_and_b32_e32 v8, s52, v8
	v_mul_u32_u24_e32 v9, 9, v8
	v_cmp_ne_u32_e64 s[20:21], 0, v8
	v_add_co_u32_e64 v8, s[22:23], -1, v8
	v_add_lshl_u32 v19, v10, v9, 2
	v_addc_co_u32_e64 v9, s[22:23], 0, -1, s[22:23]
	v_xor_b32_e32 v8, s20, v8
	; wave barrier
	ds_read_b32 v14, v19 offset:32
	v_xor_b32_e32 v9, s21, v9
	v_and_b32_e32 v8, exec_lo, v8
	v_and_b32_e32 v9, exec_hi, v9
	v_mbcnt_lo_u32_b32 v11, v8, 0
	v_mbcnt_hi_u32_b32 v15, v9, v11
	v_cmp_eq_u32_e64 s[20:21], 0, v15
	v_cmp_ne_u64_e64 s[22:23], 0, v[8:9]
	s_and_b64 s[22:23], s[22:23], s[20:21]
	; wave barrier
	s_and_saveexec_b64 s[20:21], s[22:23]
	s_cbranch_execz .LBB170_17
; %bb.16:
	v_bcnt_u32_b32 v8, v8, 0
	v_bcnt_u32_b32 v8, v9, v8
	s_waitcnt lgkmcnt(0)
	v_add_u32_e32 v8, v14, v8
	ds_write_b32 v19, v8 offset:32
.LBB170_17:
	s_or_b64 exec, exec, s[20:21]
	s_xor_b64 s[18:19], s[18:19], -1
	v_cndmask_b32_e64 v16, 0, 1, s[18:19]
	v_lshrrev_b32_e32 v8, s48, v16
	v_and_b32_e32 v8, s52, v8
	v_mul_u32_u24_e32 v9, 9, v8
	v_cmp_ne_u32_e64 s[18:19], 0, v8
	v_add_co_u32_e64 v8, s[20:21], -1, v8
	v_add_lshl_u32 v20, v10, v9, 2
	v_addc_co_u32_e64 v9, s[20:21], 0, -1, s[20:21]
	v_xor_b32_e32 v8, s18, v8
	; wave barrier
	ds_read_b32 v18, v20 offset:32
	v_xor_b32_e32 v9, s19, v9
	v_and_b32_e32 v8, exec_lo, v8
	v_and_b32_e32 v9, exec_hi, v9
	v_mbcnt_lo_u32_b32 v11, v8, 0
	v_mbcnt_hi_u32_b32 v21, v9, v11
	v_cmp_eq_u32_e64 s[18:19], 0, v21
	v_cmp_ne_u64_e64 s[20:21], 0, v[8:9]
	s_and_b64 s[20:21], s[20:21], s[18:19]
	; wave barrier
	s_and_saveexec_b64 s[18:19], s[20:21]
	s_cbranch_execz .LBB170_19
; %bb.18:
	v_bcnt_u32_b32 v8, v8, 0
	v_bcnt_u32_b32 v8, v9, v8
	s_waitcnt lgkmcnt(0)
	v_add_u32_e32 v8, v18, v8
	ds_write_b32 v20, v8 offset:32
.LBB170_19:
	s_or_b64 exec, exec, s[18:19]
	s_xor_b64 s[16:17], s[16:17], -1
	v_cndmask_b32_e64 v26, 0, 1, s[16:17]
	v_lshrrev_b32_e32 v8, s48, v26
	v_and_b32_e32 v8, s52, v8
	v_mul_u32_u24_e32 v9, 9, v8
	v_cmp_ne_u32_e64 s[16:17], 0, v8
	v_add_co_u32_e64 v8, s[18:19], -1, v8
	v_add_lshl_u32 v23, v10, v9, 2
	v_addc_co_u32_e64 v9, s[18:19], 0, -1, s[18:19]
	v_xor_b32_e32 v8, s16, v8
	; wave barrier
	ds_read_b32 v22, v23 offset:32
	v_xor_b32_e32 v9, s17, v9
	v_and_b32_e32 v8, exec_lo, v8
	v_and_b32_e32 v9, exec_hi, v9
	v_mbcnt_lo_u32_b32 v11, v8, 0
	v_mbcnt_hi_u32_b32 v27, v9, v11
	v_cmp_eq_u32_e64 s[16:17], 0, v27
	v_cmp_ne_u64_e64 s[18:19], 0, v[8:9]
	s_and_b64 s[18:19], s[18:19], s[16:17]
	; wave barrier
	s_and_saveexec_b64 s[16:17], s[18:19]
	s_cbranch_execz .LBB170_21
; %bb.20:
	v_bcnt_u32_b32 v8, v8, 0
	v_bcnt_u32_b32 v8, v9, v8
	s_waitcnt lgkmcnt(0)
	v_add_u32_e32 v8, v22, v8
	ds_write_b32 v23, v8 offset:32
.LBB170_21:
	s_or_b64 exec, exec, s[16:17]
	s_xor_b64 s[14:15], s[14:15], -1
	v_cndmask_b32_e64 v28, 0, 1, s[14:15]
	v_lshrrev_b32_e32 v8, s48, v28
	v_and_b32_e32 v8, s52, v8
	v_mul_u32_u24_e32 v9, 9, v8
	v_cmp_ne_u32_e64 s[14:15], 0, v8
	v_add_co_u32_e64 v8, s[16:17], -1, v8
	v_add_lshl_u32 v24, v10, v9, 2
	v_addc_co_u32_e64 v9, s[16:17], 0, -1, s[16:17]
	v_xor_b32_e32 v8, s14, v8
	; wave barrier
	ds_read_b32 v29, v24 offset:32
	v_xor_b32_e32 v9, s15, v9
	v_and_b32_e32 v8, exec_lo, v8
	v_and_b32_e32 v9, exec_hi, v9
	v_mbcnt_lo_u32_b32 v11, v8, 0
	v_mbcnt_hi_u32_b32 v30, v9, v11
	v_cmp_eq_u32_e64 s[14:15], 0, v30
	v_cmp_ne_u64_e64 s[16:17], 0, v[8:9]
	s_and_b64 s[16:17], s[16:17], s[14:15]
	; wave barrier
	s_and_saveexec_b64 s[14:15], s[16:17]
	s_cbranch_execz .LBB170_23
; %bb.22:
	v_bcnt_u32_b32 v8, v8, 0
	v_bcnt_u32_b32 v8, v9, v8
	s_waitcnt lgkmcnt(0)
	v_add_u32_e32 v8, v29, v8
	ds_write_b32 v24, v8 offset:32
.LBB170_23:
	s_or_b64 exec, exec, s[14:15]
	s_xor_b64 s[12:13], s[12:13], -1
	v_cndmask_b32_e64 v31, 0, 1, s[12:13]
	v_lshrrev_b32_e32 v8, s48, v31
	v_and_b32_e32 v8, s52, v8
	v_mul_u32_u24_e32 v9, 9, v8
	v_cmp_ne_u32_e64 s[12:13], 0, v8
	v_add_co_u32_e64 v8, s[14:15], -1, v8
	v_add_lshl_u32 v34, v10, v9, 2
	v_addc_co_u32_e64 v9, s[14:15], 0, -1, s[14:15]
	v_xor_b32_e32 v8, s12, v8
	; wave barrier
	ds_read_b32 v32, v34 offset:32
	v_xor_b32_e32 v9, s13, v9
	v_and_b32_e32 v8, exec_lo, v8
	v_and_b32_e32 v9, exec_hi, v9
	v_mbcnt_lo_u32_b32 v10, v8, 0
	v_mbcnt_hi_u32_b32 v33, v9, v10
	v_cmp_eq_u32_e64 s[12:13], 0, v33
	v_cmp_ne_u64_e64 s[14:15], 0, v[8:9]
	v_add_u32_e32 v25, 32, v12
	s_and_b64 s[14:15], s[14:15], s[12:13]
	; wave barrier
	s_and_saveexec_b64 s[12:13], s[14:15]
	s_cbranch_execz .LBB170_25
; %bb.24:
	v_bcnt_u32_b32 v8, v8, 0
	v_bcnt_u32_b32 v8, v9, v8
	s_waitcnt lgkmcnt(0)
	v_add_u32_e32 v8, v32, v8
	ds_write_b32 v34, v8 offset:32
.LBB170_25:
	s_or_b64 exec, exec, s[12:13]
	; wave barrier
	s_waitcnt lgkmcnt(0)
	s_barrier
	ds_read2_b32 v[10:11], v12 offset0:8 offset1:9
	ds_read2_b32 v[8:9], v25 offset0:2 offset1:3
	ds_read_b32 v35, v25 offset:16
	v_min_u32_e32 v3, 0x1c0, v3
	v_or_b32_e32 v3, 63, v3
	s_waitcnt lgkmcnt(1)
	v_add3_u32 v36, v11, v10, v8
	s_waitcnt lgkmcnt(0)
	v_add3_u32 v35, v36, v9, v35
	v_and_b32_e32 v36, 15, v6
	v_cmp_ne_u32_e64 s[12:13], 0, v36
	v_mov_b32_dpp v37, v35 row_shr:1 row_mask:0xf bank_mask:0xf
	v_cndmask_b32_e64 v37, 0, v37, s[12:13]
	v_add_u32_e32 v35, v37, v35
	v_cmp_lt_u32_e64 s[12:13], 1, v36
	s_nop 0
	v_mov_b32_dpp v37, v35 row_shr:2 row_mask:0xf bank_mask:0xf
	v_cndmask_b32_e64 v37, 0, v37, s[12:13]
	v_add_u32_e32 v35, v35, v37
	v_cmp_lt_u32_e64 s[12:13], 3, v36
	s_nop 0
	;; [unrolled: 5-line block ×3, first 2 shown]
	v_mov_b32_dpp v37, v35 row_shr:8 row_mask:0xf bank_mask:0xf
	v_cndmask_b32_e64 v36, 0, v37, s[12:13]
	v_add_u32_e32 v35, v35, v36
	v_bfe_i32 v37, v6, 4, 1
	v_cmp_lt_u32_e64 s[12:13], 31, v6
	v_mov_b32_dpp v36, v35 row_bcast:15 row_mask:0xf bank_mask:0xf
	v_and_b32_e32 v36, v37, v36
	v_add_u32_e32 v35, v35, v36
	s_nop 1
	v_mov_b32_dpp v36, v35 row_bcast:31 row_mask:0xf bank_mask:0xf
	v_cndmask_b32_e64 v36, 0, v36, s[12:13]
	v_add_u32_e32 v35, v35, v36
	v_lshrrev_b32_e32 v36, 6, v2
	v_cmp_eq_u32_e64 s[12:13], v3, v2
	s_and_saveexec_b64 s[14:15], s[12:13]
	s_cbranch_execz .LBB170_27
; %bb.26:
	v_lshlrev_b32_e32 v3, 2, v36
	ds_write_b32 v3, v35
.LBB170_27:
	s_or_b64 exec, exec, s[14:15]
	v_cmp_gt_u32_e64 s[12:13], 8, v2
	s_waitcnt lgkmcnt(0)
	s_barrier
	s_and_saveexec_b64 s[14:15], s[12:13]
	s_cbranch_execz .LBB170_29
; %bb.28:
	v_lshlrev_b32_e32 v3, 2, v2
	ds_read_b32 v37, v3
	v_and_b32_e32 v38, 7, v6
	v_cmp_ne_u32_e64 s[12:13], 0, v38
	s_waitcnt lgkmcnt(0)
	v_mov_b32_dpp v39, v37 row_shr:1 row_mask:0xf bank_mask:0xf
	v_cndmask_b32_e64 v39, 0, v39, s[12:13]
	v_add_u32_e32 v37, v39, v37
	v_cmp_lt_u32_e64 s[12:13], 1, v38
	s_nop 0
	v_mov_b32_dpp v39, v37 row_shr:2 row_mask:0xf bank_mask:0xf
	v_cndmask_b32_e64 v39, 0, v39, s[12:13]
	v_add_u32_e32 v37, v37, v39
	v_cmp_lt_u32_e64 s[12:13], 3, v38
	s_nop 0
	v_mov_b32_dpp v39, v37 row_shr:4 row_mask:0xf bank_mask:0xf
	v_cndmask_b32_e64 v38, 0, v39, s[12:13]
	v_add_u32_e32 v37, v37, v38
	ds_write_b32 v3, v37
.LBB170_29:
	s_or_b64 exec, exec, s[14:15]
	v_cmp_lt_u32_e64 s[12:13], 63, v2
	v_mov_b32_e32 v3, 0
	s_waitcnt lgkmcnt(0)
	s_barrier
	s_and_saveexec_b64 s[14:15], s[12:13]
	s_cbranch_execz .LBB170_31
; %bb.30:
	v_lshl_add_u32 v3, v36, 2, -4
	ds_read_b32 v3, v3
.LBB170_31:
	s_or_b64 exec, exec, s[14:15]
	v_add_u32_e32 v36, -1, v6
	v_and_b32_e32 v37, 64, v6
	v_cmp_lt_i32_e64 s[12:13], v36, v37
	v_cndmask_b32_e64 v36, v36, v6, s[12:13]
	s_waitcnt lgkmcnt(0)
	v_add_u32_e32 v35, v3, v35
	v_lshlrev_b32_e32 v36, 2, v36
	ds_bpermute_b32 v35, v36, v35
	v_cmp_eq_u32_e64 s[12:13], 0, v6
	s_waitcnt lgkmcnt(0)
	v_cndmask_b32_e64 v3, v35, v3, s[12:13]
	v_cmp_ne_u32_e64 s[12:13], 0, v2
	v_cndmask_b32_e64 v3, 0, v3, s[12:13]
	v_add_u32_e32 v10, v3, v10
	v_add_u32_e32 v11, v10, v11
	;; [unrolled: 1-line block ×4, first 2 shown]
	ds_write2_b32 v12, v3, v10 offset0:8 offset1:9
	ds_write2_b32 v25, v11, v8 offset0:2 offset1:3
	ds_write_b32 v25, v9 offset:16
	s_waitcnt lgkmcnt(0)
	s_barrier
	ds_read_b32 v3, v17 offset:32
	ds_read_b32 v10, v19 offset:32
	;; [unrolled: 1-line block ×6, first 2 shown]
	s_movk_i32 s12, 0x100
	v_cmp_gt_u32_e64 s[12:13], s12, v2
	v_pk_mov_b32 v[8:9], 0, 0
                                        ; implicit-def: $vgpr20
	s_and_saveexec_b64 s[16:17], s[12:13]
	s_cbranch_execz .LBB170_35
; %bb.32:
	v_mul_u32_u24_e32 v8, 9, v2
	v_lshlrev_b32_e32 v20, 2, v8
	ds_read_b32 v8, v20 offset:32
	s_movk_i32 s14, 0xff
	v_cmp_ne_u32_e64 s[14:15], s14, v2
	v_mov_b32_e32 v9, 0xc00
	s_and_saveexec_b64 s[18:19], s[14:15]
	s_cbranch_execz .LBB170_34
; %bb.33:
	ds_read_b32 v9, v20 offset:68
.LBB170_34:
	s_or_b64 exec, exec, s[18:19]
	s_waitcnt lgkmcnt(0)
	v_sub_u32_e32 v20, v9, v8
	v_mov_b32_e32 v9, 0
.LBB170_35:
	s_or_b64 exec, exec, s[16:17]
	s_waitcnt lgkmcnt(5)
	v_add_u32_e32 v25, v3, v7
	s_waitcnt lgkmcnt(4)
	v_add3_u32 v24, v15, v14, v10
	s_waitcnt lgkmcnt(3)
	v_add3_u32 v23, v21, v18, v11
	;; [unrolled: 2-line block ×5, first 2 shown]
	s_barrier
	ds_write_b8 v25, v5 offset:2048
	ds_write_b8 v24, v13 offset:2048
	ds_write_b8 v23, v16 offset:2048
	ds_write_b8 v22, v26 offset:2048
	ds_write_b8 v21, v28 offset:2048
	ds_write_b8 v3, v31 offset:2048
	s_waitcnt lgkmcnt(0)
	s_barrier
	s_and_saveexec_b64 s[16:17], s[12:13]
	s_cbranch_execz .LBB170_45
; %bb.36:
	v_lshl_or_b32 v10, s6, 8, v2
	v_mov_b32_e32 v11, 0
	v_lshlrev_b64 v[12:13], 2, v[10:11]
	v_mov_b32_e32 v5, s35
	v_add_co_u32_e64 v12, s[14:15], s34, v12
	v_addc_co_u32_e64 v13, s[14:15], v5, v13, s[14:15]
	v_or_b32_e32 v7, 2.0, v20
	global_store_dword v[12:13], v7, off
	s_mov_b64 s[18:19], 0
	s_brev_b32 s24, 1
	s_mov_b32 s25, s6
	v_mov_b32_e32 v7, 0
                                        ; implicit-def: $sgpr14_sgpr15
	s_branch .LBB170_38
.LBB170_37:                             ;   in Loop: Header=BB170_38 Depth=1
	s_or_b64 exec, exec, s[20:21]
	v_and_b32_e32 v14, 0x3fffffff, v16
	v_add_u32_e32 v7, v14, v7
	v_cmp_eq_u32_e64 s[14:15], s24, v10
	s_and_b64 s[20:21], exec, s[14:15]
	s_or_b64 s[18:19], s[20:21], s[18:19]
	s_andn2_b64 exec, exec, s[18:19]
	s_cbranch_execz .LBB170_44
.LBB170_38:                             ; =>This Loop Header: Depth=1
                                        ;     Child Loop BB170_41 Depth 2
	s_or_b64 s[14:15], s[14:15], exec
	s_cmp_eq_u32 s25, 0
	s_cbranch_scc1 .LBB170_43
; %bb.39:                               ;   in Loop: Header=BB170_38 Depth=1
	s_add_i32 s25, s25, -1
	v_lshl_or_b32 v10, s25, 8, v2
	v_lshlrev_b64 v[14:15], 2, v[10:11]
	v_add_co_u32_e64 v14, s[14:15], s34, v14
	v_addc_co_u32_e64 v15, s[14:15], v5, v15, s[14:15]
	global_load_dword v16, v[14:15], off glc
	s_waitcnt vmcnt(0)
	v_and_b32_e32 v10, -2.0, v16
	v_cmp_eq_u32_e64 s[14:15], 0, v10
	s_and_saveexec_b64 s[20:21], s[14:15]
	s_cbranch_execz .LBB170_37
; %bb.40:                               ;   in Loop: Header=BB170_38 Depth=1
	s_mov_b64 s[22:23], 0
.LBB170_41:                             ;   Parent Loop BB170_38 Depth=1
                                        ; =>  This Inner Loop Header: Depth=2
	global_load_dword v16, v[14:15], off glc
	s_waitcnt vmcnt(0)
	v_and_b32_e32 v10, -2.0, v16
	v_cmp_ne_u32_e64 s[14:15], 0, v10
	s_or_b64 s[22:23], s[14:15], s[22:23]
	s_andn2_b64 exec, exec, s[22:23]
	s_cbranch_execnz .LBB170_41
; %bb.42:                               ;   in Loop: Header=BB170_38 Depth=1
	s_or_b64 exec, exec, s[22:23]
	s_branch .LBB170_37
.LBB170_43:                             ;   in Loop: Header=BB170_38 Depth=1
                                        ; implicit-def: $sgpr25
	s_and_b64 s[20:21], exec, s[14:15]
	s_or_b64 s[18:19], s[20:21], s[18:19]
	s_andn2_b64 exec, exec, s[18:19]
	s_cbranch_execnz .LBB170_38
.LBB170_44:
	s_or_b64 exec, exec, s[18:19]
	v_add_u32_e32 v5, v7, v20
	v_or_b32_e32 v5, 0x80000000, v5
	global_store_dword v[12:13], v5, off
	v_lshlrev_b32_e32 v5, 3, v2
	global_load_dwordx2 v[10:11], v5, s[44:45]
	v_sub_co_u32_e64 v7, s[14:15], v7, v8
	v_subb_co_u32_e64 v12, s[14:15], 0, v9, s[14:15]
	s_waitcnt vmcnt(0)
	v_add_co_u32_e64 v10, s[14:15], v7, v10
	v_addc_co_u32_e64 v11, s[14:15], v12, v11, s[14:15]
	ds_write_b64 v5, v[10:11]
.LBB170_45:
	s_or_b64 exec, exec, s[16:17]
	v_cmp_gt_u32_e64 s[14:15], s33, v2
	s_waitcnt lgkmcnt(0)
	s_barrier
	s_and_saveexec_b64 s[18:19], s[14:15]
	s_cbranch_execz .LBB170_47
; %bb.46:
	ds_read_u8 v5, v2 offset:2048
	s_waitcnt lgkmcnt(0)
	v_and_b32_e32 v7, 1, v5
	v_lshrrev_b32_e32 v7, s48, v7
	v_and_b32_e32 v7, s52, v7
	v_lshlrev_b32_e32 v7, 3, v7
	ds_read_b64 v[10:11], v7
	v_mov_b32_e32 v7, s39
	v_xor_b32_e32 v5, 1, v5
	s_waitcnt lgkmcnt(0)
	v_add_co_u32_e64 v10, s[16:17], s38, v10
	v_addc_co_u32_e64 v7, s[16:17], v7, v11, s[16:17]
	v_add_co_u32_e64 v10, s[16:17], v10, v2
	v_addc_co_u32_e64 v11, s[16:17], 0, v7, s[16:17]
	global_store_byte v[10:11], v5, off
.LBB170_47:
	s_or_b64 exec, exec, s[18:19]
	v_add_u32_e32 v26, 0x200, v2
	v_cmp_gt_u32_e64 s[16:17], s33, v26
	s_and_saveexec_b64 s[20:21], s[16:17]
	s_cbranch_execz .LBB170_49
; %bb.48:
	ds_read_u8 v5, v2 offset:2560
	s_waitcnt lgkmcnt(0)
	v_and_b32_e32 v7, 1, v5
	v_lshrrev_b32_e32 v7, s48, v7
	v_and_b32_e32 v7, s52, v7
	v_lshlrev_b32_e32 v7, 3, v7
	ds_read_b64 v[10:11], v7
	v_mov_b32_e32 v7, s39
	v_xor_b32_e32 v5, 1, v5
	s_waitcnt lgkmcnt(0)
	v_add_co_u32_e64 v10, s[18:19], s38, v10
	v_addc_co_u32_e64 v7, s[18:19], v7, v11, s[18:19]
	v_add_co_u32_e64 v10, s[18:19], v10, v2
	v_addc_co_u32_e64 v11, s[18:19], 0, v7, s[18:19]
	global_store_byte v[10:11], v5, off offset:512
.LBB170_49:
	s_or_b64 exec, exec, s[20:21]
	v_or_b32_e32 v27, 0x400, v2
	v_cmp_gt_u32_e64 s[18:19], s33, v27
	s_and_saveexec_b64 s[22:23], s[18:19]
	s_cbranch_execz .LBB170_51
; %bb.50:
	ds_read_u8 v5, v2 offset:3072
	s_waitcnt lgkmcnt(0)
	v_and_b32_e32 v7, 1, v5
	v_lshrrev_b32_e32 v7, s48, v7
	v_and_b32_e32 v7, s52, v7
	v_lshlrev_b32_e32 v7, 3, v7
	ds_read_b64 v[10:11], v7
	v_mov_b32_e32 v7, s39
	v_xor_b32_e32 v5, 1, v5
	s_waitcnt lgkmcnt(0)
	v_add_co_u32_e64 v10, s[20:21], s38, v10
	v_addc_co_u32_e64 v7, s[20:21], v7, v11, s[20:21]
	v_add_co_u32_e64 v10, s[20:21], v10, v2
	v_addc_co_u32_e64 v11, s[20:21], 0, v7, s[20:21]
	global_store_byte v[10:11], v5, off offset:1024
.LBB170_51:
	s_or_b64 exec, exec, s[22:23]
	v_add_u32_e32 v28, 0x600, v2
	v_cmp_gt_u32_e64 s[20:21], s33, v28
	s_and_saveexec_b64 s[24:25], s[20:21]
	s_cbranch_execz .LBB170_53
; %bb.52:
	ds_read_u8 v5, v2 offset:3584
	s_waitcnt lgkmcnt(0)
	v_and_b32_e32 v7, 1, v5
	v_lshrrev_b32_e32 v7, s48, v7
	v_and_b32_e32 v7, s52, v7
	v_lshlrev_b32_e32 v7, 3, v7
	ds_read_b64 v[10:11], v7
	v_mov_b32_e32 v7, s39
	v_xor_b32_e32 v5, 1, v5
	s_waitcnt lgkmcnt(0)
	v_add_co_u32_e64 v10, s[22:23], s38, v10
	v_addc_co_u32_e64 v7, s[22:23], v7, v11, s[22:23]
	v_add_co_u32_e64 v10, s[22:23], v10, v2
	v_addc_co_u32_e64 v11, s[22:23], 0, v7, s[22:23]
	global_store_byte v[10:11], v5, off offset:1536
.LBB170_53:
	s_or_b64 exec, exec, s[24:25]
	v_or_b32_e32 v29, 0x800, v2
	v_cmp_gt_u32_e64 s[22:23], s33, v29
	s_and_saveexec_b64 s[28:29], s[22:23]
	s_cbranch_execz .LBB170_55
; %bb.54:
	ds_read_u8 v5, v2 offset:4096
	s_waitcnt lgkmcnt(0)
	v_and_b32_e32 v7, 1, v5
	v_lshrrev_b32_e32 v7, s48, v7
	v_and_b32_e32 v7, s52, v7
	v_lshlrev_b32_e32 v7, 3, v7
	ds_read_b64 v[10:11], v7
	v_mov_b32_e32 v7, s39
	v_xor_b32_e32 v5, 1, v5
	s_waitcnt lgkmcnt(0)
	v_add_co_u32_e64 v10, s[24:25], s38, v10
	v_addc_co_u32_e64 v7, s[24:25], v7, v11, s[24:25]
	v_add_co_u32_e64 v10, s[24:25], v10, v2
	v_addc_co_u32_e64 v11, s[24:25], 0, v7, s[24:25]
	global_store_byte v[10:11], v5, off offset:2048
.LBB170_55:
	s_or_b64 exec, exec, s[28:29]
	v_add_u32_e32 v30, 0xa00, v2
	v_cmp_gt_u32_e64 s[24:25], s33, v30
	s_and_saveexec_b64 s[50:51], s[24:25]
	s_cbranch_execz .LBB170_57
; %bb.56:
	ds_read_u8 v5, v2 offset:4608
	s_waitcnt lgkmcnt(0)
	v_and_b32_e32 v7, 1, v5
	v_lshrrev_b32_e32 v7, s48, v7
	v_and_b32_e32 v7, s52, v7
	v_lshlrev_b32_e32 v7, 3, v7
	ds_read_b64 v[10:11], v7
	v_mov_b32_e32 v7, s39
	v_xor_b32_e32 v5, 1, v5
	s_waitcnt lgkmcnt(0)
	v_add_co_u32_e64 v10, s[28:29], s38, v10
	v_addc_co_u32_e64 v7, s[28:29], v7, v11, s[28:29]
	v_add_co_u32_e64 v10, s[28:29], v10, v2
	v_addc_co_u32_e64 v11, s[28:29], 0, v7, s[28:29]
	global_store_byte v[10:11], v5, off offset:2560
.LBB170_57:
	s_or_b64 exec, exec, s[50:51]
	s_lshl_b64 s[28:29], s[30:31], 3
	s_add_u32 s28, s40, s28
	s_addc_u32 s29, s41, s29
	v_lshlrev_b32_e32 v5, 3, v6
	v_mov_b32_e32 v6, s29
	v_add_co_u32_e64 v5, s[28:29], s28, v5
	v_addc_co_u32_e64 v6, s[28:29], 0, v6, s[28:29]
	v_lshlrev_b32_e32 v4, 3, v4
	v_add_co_u32_e64 v18, s[28:29], v5, v4
	v_addc_co_u32_e64 v19, s[28:29], 0, v6, s[28:29]
                                        ; implicit-def: $vgpr4_vgpr5
	s_and_saveexec_b64 s[28:29], vcc
	s_xor_b64 s[28:29], exec, s[28:29]
	s_cbranch_execnz .LBB170_127
; %bb.58:
	s_or_b64 exec, exec, s[28:29]
                                        ; implicit-def: $vgpr6_vgpr7
	s_and_saveexec_b64 s[28:29], s[0:1]
	s_cbranch_execnz .LBB170_128
.LBB170_59:
	s_or_b64 exec, exec, s[28:29]
                                        ; implicit-def: $vgpr10_vgpr11
	s_and_saveexec_b64 s[0:1], s[2:3]
	s_cbranch_execnz .LBB170_129
.LBB170_60:
	s_or_b64 exec, exec, s[0:1]
                                        ; implicit-def: $vgpr12_vgpr13
	s_and_saveexec_b64 s[0:1], s[26:27]
	s_cbranch_execnz .LBB170_130
.LBB170_61:
	s_or_b64 exec, exec, s[0:1]
                                        ; implicit-def: $vgpr14_vgpr15
	s_and_saveexec_b64 s[0:1], s[8:9]
	s_cbranch_execnz .LBB170_131
.LBB170_62:
	s_or_b64 exec, exec, s[0:1]
                                        ; implicit-def: $vgpr16_vgpr17
	s_and_saveexec_b64 s[0:1], s[10:11]
	s_cbranch_execz .LBB170_64
.LBB170_63:
	global_load_dwordx2 v[16:17], v[18:19], off offset:2560
.LBB170_64:
	s_or_b64 exec, exec, s[0:1]
	v_mov_b32_e32 v32, 0
	v_mov_b32_e32 v34, 0
	s_and_saveexec_b64 s[0:1], s[14:15]
	s_cbranch_execz .LBB170_66
; %bb.65:
	ds_read_u8 v18, v2 offset:2048
	s_waitcnt lgkmcnt(0)
	v_lshrrev_b32_e32 v18, s48, v18
	v_and_b32_e32 v34, s52, v18
.LBB170_66:
	s_or_b64 exec, exec, s[0:1]
	s_and_saveexec_b64 s[0:1], s[16:17]
	s_cbranch_execz .LBB170_68
; %bb.67:
	ds_read_u8 v18, v2 offset:2560
	s_waitcnt lgkmcnt(0)
	v_lshrrev_b32_e32 v18, s48, v18
	v_and_b32_e32 v32, s52, v18
.LBB170_68:
	s_or_b64 exec, exec, s[0:1]
	v_mov_b32_e32 v19, 0
	v_mov_b32_e32 v33, 0
	s_and_saveexec_b64 s[0:1], s[18:19]
	s_cbranch_execz .LBB170_70
; %bb.69:
	ds_read_u8 v18, v2 offset:3072
	s_waitcnt lgkmcnt(0)
	v_lshrrev_b32_e32 v18, s48, v18
	v_and_b32_e32 v33, s52, v18
.LBB170_70:
	s_or_b64 exec, exec, s[0:1]
	s_and_saveexec_b64 s[0:1], s[20:21]
	s_cbranch_execz .LBB170_72
; %bb.71:
	ds_read_u8 v18, v2 offset:3584
	s_waitcnt lgkmcnt(0)
	v_lshrrev_b32_e32 v18, s48, v18
	v_and_b32_e32 v19, s52, v18
.LBB170_72:
	;; [unrolled: 20-line block ×3, first 2 shown]
	s_or_b64 exec, exec, s[0:1]
	v_lshlrev_b32_e32 v25, 3, v25
	s_barrier
	s_waitcnt vmcnt(0)
	ds_write_b64 v25, v[4:5] offset:2048
	v_lshlrev_b32_e32 v4, 3, v24
	ds_write_b64 v4, v[6:7] offset:2048
	v_lshlrev_b32_e32 v4, 3, v23
	;; [unrolled: 2-line block ×4, first 2 shown]
	v_lshlrev_b32_e32 v3, 3, v3
	ds_write_b64 v4, v[14:15] offset:2048
	ds_write_b64 v3, v[16:17] offset:2048
	v_lshlrev_b32_e32 v3, 3, v2
	s_waitcnt lgkmcnt(0)
	s_barrier
	s_and_saveexec_b64 s[0:1], s[14:15]
	s_cbranch_execnz .LBB170_132
; %bb.77:
	s_or_b64 exec, exec, s[0:1]
	s_and_saveexec_b64 s[0:1], s[16:17]
	s_cbranch_execnz .LBB170_133
.LBB170_78:
	s_or_b64 exec, exec, s[0:1]
	s_and_saveexec_b64 s[0:1], s[18:19]
	s_cbranch_execnz .LBB170_134
.LBB170_79:
	s_or_b64 exec, exec, s[0:1]
	s_and_saveexec_b64 s[0:1], s[20:21]
	s_cbranch_execnz .LBB170_135
.LBB170_80:
	s_or_b64 exec, exec, s[0:1]
	s_and_saveexec_b64 s[0:1], s[22:23]
	s_cbranch_execnz .LBB170_136
.LBB170_81:
	s_or_b64 exec, exec, s[0:1]
	s_and_saveexec_b64 s[0:1], s[24:25]
	s_cbranch_execz .LBB170_83
.LBB170_82:
	v_lshlrev_b32_e32 v4, 3, v18
	ds_read_b64 v[4:5], v4
	ds_read_b64 v[6:7], v3 offset:22528
	v_mov_b32_e32 v3, s43
	s_waitcnt lgkmcnt(1)
	v_lshlrev_b64 v[4:5], 3, v[4:5]
	v_add_co_u32_e32 v4, vcc, s42, v4
	v_addc_co_u32_e32 v3, vcc, v3, v5, vcc
	v_lshlrev_b32_e32 v5, 3, v30
	v_add_co_u32_e32 v4, vcc, v4, v5
	v_addc_co_u32_e32 v5, vcc, 0, v3, vcc
	s_waitcnt lgkmcnt(0)
	global_store_dwordx2 v[4:5], v[6:7], off
.LBB170_83:
	s_or_b64 exec, exec, s[0:1]
	s_add_i32 s7, s7, -1
	s_cmp_eq_u32 s6, s7
	s_cselect_b64 s[0:1], -1, 0
	s_and_b64 s[2:3], s[12:13], s[0:1]
	s_mov_b64 s[0:1], 0
	s_mov_b64 s[8:9], 0
                                        ; implicit-def: $vgpr4_vgpr5
	s_and_saveexec_b64 s[10:11], s[2:3]
	s_xor_b64 s[2:3], exec, s[10:11]
; %bb.84:
	v_add_co_u32_e32 v4, vcc, v8, v20
	s_mov_b64 s[8:9], exec
	v_mov_b32_e32 v3, 0
	v_addc_co_u32_e32 v5, vcc, 0, v9, vcc
; %bb.85:
	s_or_b64 exec, exec, s[2:3]
	s_and_b64 vcc, exec, s[0:1]
	s_cbranch_vccnz .LBB170_87
	s_branch .LBB170_124
.LBB170_86:
	s_mov_b64 s[8:9], 0
                                        ; implicit-def: $vgpr4_vgpr5
                                        ; implicit-def: $vgpr2_vgpr3
	s_cbranch_execz .LBB170_124
.LBB170_87:
	s_add_u32 s0, s36, s30
	v_and_b32_e32 v2, 0x3ff, v0
	s_addc_u32 s1, s37, 0
	v_mbcnt_hi_u32_b32 v6, -1, v1
	v_and_b32_e32 v12, 0x1c0, v2
	v_mov_b32_e32 v1, s1
	v_add_co_u32_e32 v3, vcc, s0, v6
	v_mul_u32_u24_e32 v4, 6, v12
	v_addc_co_u32_e32 v1, vcc, 0, v1, vcc
	v_add_co_u32_e32 v16, vcc, v3, v4
	v_addc_co_u32_e32 v17, vcc, 0, v1, vcc
	global_load_ubyte v1, v[16:17], off
	s_load_dword s7, s[4:5], 0x50
	s_load_dword s2, s[4:5], 0x5c
	v_mov_b32_e32 v3, 0
	global_load_ubyte v10, v[16:17], off offset:64
	global_load_ubyte v15, v[16:17], off offset:128
	;; [unrolled: 1-line block ×5, first 2 shown]
	v_mul_u32_u24_e32 v5, 5, v2
	v_lshlrev_b32_e32 v7, 2, v5
	s_mov_b32 s31, 0
	s_waitcnt vmcnt(5)
	v_and_b32_e32 v1, 1, v1
	v_cmp_eq_u32_e32 vcc, 1, v1
	s_xor_b64 s[0:1], vcc, -1
	s_add_u32 s3, s4, 0x50
	s_addc_u32 s4, s5, 0
	s_waitcnt lgkmcnt(0)
	s_lshr_b32 s5, s2, 16
	s_cmp_lt_u32 s6, s7
	s_cselect_b32 s2, 12, 18
	s_add_u32 s2, s3, s2
	s_addc_u32 s3, s4, 0
	global_load_ushort v11, v3, s[2:3]
	ds_write2_b32 v7, v3, v3 offset0:8 offset1:9
	ds_write2_b32 v7, v3, v3 offset0:10 offset1:11
	ds_write_b32 v7, v3 offset:48
	v_cndmask_b32_e64 v3, 0, 1, s[0:1]
	s_lshl_b32 s0, -1, s49
	v_bfe_u32 v1, v0, 10, 10
	v_bfe_u32 v0, v0, 20, 10
	v_lshrrev_b32_e32 v5, s48, v3
	s_not_b32 s14, s0
	v_mad_u32_u24 v13, v0, s5, v1
	v_and_b32_e32 v0, s14, v5
	v_mul_u32_u24_e32 v14, 9, v0
	v_cmp_ne_u32_e32 vcc, 0, v0
	v_add_co_u32_e64 v0, s[0:1], -1, v0
	v_addc_co_u32_e64 v1, s[0:1], 0, -1, s[0:1]
	v_xor_b32_e32 v0, vcc_lo, v0
	v_xor_b32_e32 v1, vcc_hi, v1
	v_and_b32_e32 v0, exec_lo, v0
	v_and_b32_e32 v1, exec_hi, v1
	v_mbcnt_lo_u32_b32 v5, v0, 0
	v_mbcnt_hi_u32_b32 v5, v1, v5
	v_cmp_ne_u64_e32 vcc, 0, v[0:1]
	v_cmp_eq_u32_e64 s[0:1], 0, v5
	s_waitcnt lgkmcnt(0)
	s_barrier
	s_waitcnt lgkmcnt(0)
	; wave barrier
	s_waitcnt vmcnt(0)
	v_mad_u64_u32 v[16:17], s[2:3], v13, v11, v[2:3]
	v_lshrrev_b32_e32 v28, 6, v16
	v_add_lshl_u32 v14, v28, v14, 2
	s_and_b64 s[2:3], vcc, s[0:1]
	s_and_saveexec_b64 s[0:1], s[2:3]
	s_cbranch_execz .LBB170_89
; %bb.88:
	v_bcnt_u32_b32 v0, v0, 0
	v_bcnt_u32_b32 v0, v1, v0
	ds_write_b32 v14, v0 offset:32
.LBB170_89:
	s_or_b64 exec, exec, s[0:1]
	v_and_b32_e32 v0, 1, v10
	v_cmp_eq_u32_e32 vcc, 1, v0
	s_xor_b64 s[0:1], vcc, -1
	v_cndmask_b32_e64 v10, 0, 1, s[0:1]
	v_lshrrev_b32_e32 v0, s48, v10
	v_and_b32_e32 v0, s14, v0
	v_mul_u32_u24_e32 v1, 9, v0
	v_cmp_ne_u32_e32 vcc, 0, v0
	v_add_co_u32_e64 v0, s[0:1], -1, v0
	v_add_lshl_u32 v16, v28, v1, 2
	v_addc_co_u32_e64 v1, s[0:1], 0, -1, s[0:1]
	v_xor_b32_e32 v0, vcc_lo, v0
	; wave barrier
	ds_read_b32 v11, v16 offset:32
	v_xor_b32_e32 v1, vcc_hi, v1
	v_and_b32_e32 v0, exec_lo, v0
	v_and_b32_e32 v1, exec_hi, v1
	v_mbcnt_lo_u32_b32 v13, v0, 0
	v_mbcnt_hi_u32_b32 v13, v1, v13
	v_cmp_eq_u32_e32 vcc, 0, v13
	v_cmp_ne_u64_e64 s[0:1], 0, v[0:1]
	s_and_b64 s[2:3], s[0:1], vcc
	; wave barrier
	s_and_saveexec_b64 s[0:1], s[2:3]
	s_cbranch_execz .LBB170_91
; %bb.90:
	v_bcnt_u32_b32 v0, v0, 0
	v_bcnt_u32_b32 v0, v1, v0
	s_waitcnt lgkmcnt(0)
	v_add_u32_e32 v0, v11, v0
	ds_write_b32 v16, v0 offset:32
.LBB170_91:
	s_or_b64 exec, exec, s[0:1]
	v_and_b32_e32 v0, 1, v15
	v_cmp_eq_u32_e32 vcc, 1, v0
	s_xor_b64 s[0:1], vcc, -1
	v_cndmask_b32_e64 v19, 0, 1, s[0:1]
	v_lshrrev_b32_e32 v0, s48, v19
	v_and_b32_e32 v0, s14, v0
	v_mul_u32_u24_e32 v1, 9, v0
	v_cmp_ne_u32_e32 vcc, 0, v0
	v_add_co_u32_e64 v0, s[0:1], -1, v0
	v_add_lshl_u32 v17, v28, v1, 2
	v_addc_co_u32_e64 v1, s[0:1], 0, -1, s[0:1]
	v_xor_b32_e32 v0, vcc_lo, v0
	; wave barrier
	ds_read_b32 v15, v17 offset:32
	v_xor_b32_e32 v1, vcc_hi, v1
	v_and_b32_e32 v0, exec_lo, v0
	v_and_b32_e32 v1, exec_hi, v1
	v_mbcnt_lo_u32_b32 v20, v0, 0
	v_mbcnt_hi_u32_b32 v20, v1, v20
	v_cmp_eq_u32_e32 vcc, 0, v20
	v_cmp_ne_u64_e64 s[0:1], 0, v[0:1]
	s_and_b64 s[2:3], s[0:1], vcc
	; wave barrier
	s_and_saveexec_b64 s[0:1], s[2:3]
	s_cbranch_execz .LBB170_93
; %bb.92:
	v_bcnt_u32_b32 v0, v0, 0
	v_bcnt_u32_b32 v0, v1, v0
	s_waitcnt lgkmcnt(0)
	v_add_u32_e32 v0, v15, v0
	ds_write_b32 v17, v0 offset:32
.LBB170_93:
	s_or_b64 exec, exec, s[0:1]
	v_and_b32_e32 v0, 1, v18
	v_cmp_eq_u32_e32 vcc, 1, v0
	s_xor_b64 s[0:1], vcc, -1
	v_cndmask_b32_e64 v21, 0, 1, s[0:1]
	v_lshrrev_b32_e32 v0, s48, v21
	v_and_b32_e32 v0, s14, v0
	v_mul_u32_u24_e32 v1, 9, v0
	v_cmp_ne_u32_e32 vcc, 0, v0
	v_add_co_u32_e64 v0, s[0:1], -1, v0
	v_add_lshl_u32 v18, v28, v1, 2
	v_addc_co_u32_e64 v1, s[0:1], 0, -1, s[0:1]
	v_xor_b32_e32 v0, vcc_lo, v0
	; wave barrier
	ds_read_b32 v22, v18 offset:32
	v_xor_b32_e32 v1, vcc_hi, v1
	v_and_b32_e32 v0, exec_lo, v0
	v_and_b32_e32 v1, exec_hi, v1
	v_mbcnt_lo_u32_b32 v23, v0, 0
	v_mbcnt_hi_u32_b32 v23, v1, v23
	v_cmp_eq_u32_e32 vcc, 0, v23
	v_cmp_ne_u64_e64 s[0:1], 0, v[0:1]
	s_and_b64 s[2:3], s[0:1], vcc
	; wave barrier
	s_and_saveexec_b64 s[0:1], s[2:3]
	s_cbranch_execz .LBB170_95
; %bb.94:
	v_bcnt_u32_b32 v0, v0, 0
	v_bcnt_u32_b32 v0, v1, v0
	s_waitcnt lgkmcnt(0)
	v_add_u32_e32 v0, v22, v0
	ds_write_b32 v18, v0 offset:32
.LBB170_95:
	s_or_b64 exec, exec, s[0:1]
	v_and_b32_e32 v0, 1, v9
	v_cmp_eq_u32_e32 vcc, 1, v0
	s_xor_b64 s[0:1], vcc, -1
	v_cndmask_b32_e64 v24, 0, 1, s[0:1]
	v_lshrrev_b32_e32 v0, s48, v24
	v_and_b32_e32 v0, s14, v0
	v_mul_u32_u24_e32 v1, 9, v0
	v_cmp_ne_u32_e32 vcc, 0, v0
	v_add_co_u32_e64 v0, s[0:1], -1, v0
	v_add_lshl_u32 v29, v28, v1, 2
	v_addc_co_u32_e64 v1, s[0:1], 0, -1, s[0:1]
	v_xor_b32_e32 v0, vcc_lo, v0
	; wave barrier
	ds_read_b32 v25, v29 offset:32
	v_xor_b32_e32 v1, vcc_hi, v1
	v_and_b32_e32 v0, exec_lo, v0
	v_and_b32_e32 v1, exec_hi, v1
	v_mbcnt_lo_u32_b32 v9, v0, 0
	v_mbcnt_hi_u32_b32 v26, v1, v9
	v_cmp_eq_u32_e32 vcc, 0, v26
	v_cmp_ne_u64_e64 s[0:1], 0, v[0:1]
	s_and_b64 s[2:3], s[0:1], vcc
	; wave barrier
	s_and_saveexec_b64 s[0:1], s[2:3]
	s_cbranch_execz .LBB170_97
; %bb.96:
	v_bcnt_u32_b32 v0, v0, 0
	v_bcnt_u32_b32 v0, v1, v0
	s_waitcnt lgkmcnt(0)
	v_add_u32_e32 v0, v25, v0
	ds_write_b32 v29, v0 offset:32
.LBB170_97:
	s_or_b64 exec, exec, s[0:1]
	v_and_b32_e32 v0, 1, v8
	v_cmp_eq_u32_e32 vcc, 1, v0
	s_xor_b64 s[0:1], vcc, -1
	v_cndmask_b32_e64 v27, 0, 1, s[0:1]
	v_lshrrev_b32_e32 v0, s48, v27
	v_and_b32_e32 v0, s14, v0
	v_mul_u32_u24_e32 v1, 9, v0
	v_cmp_ne_u32_e32 vcc, 0, v0
	v_add_co_u32_e64 v0, s[0:1], -1, v0
	v_add_lshl_u32 v32, v28, v1, 2
	v_addc_co_u32_e64 v1, s[0:1], 0, -1, s[0:1]
	v_xor_b32_e32 v0, vcc_lo, v0
	; wave barrier
	ds_read_b32 v28, v32 offset:32
	v_xor_b32_e32 v1, vcc_hi, v1
	v_and_b32_e32 v0, exec_lo, v0
	v_and_b32_e32 v1, exec_hi, v1
	v_mbcnt_lo_u32_b32 v8, v0, 0
	v_mbcnt_hi_u32_b32 v30, v1, v8
	v_cmp_eq_u32_e32 vcc, 0, v30
	v_cmp_ne_u64_e64 s[0:1], 0, v[0:1]
	v_add_u32_e32 v31, 32, v7
	s_and_b64 s[2:3], s[0:1], vcc
	; wave barrier
	s_and_saveexec_b64 s[0:1], s[2:3]
	s_cbranch_execz .LBB170_99
; %bb.98:
	v_bcnt_u32_b32 v0, v0, 0
	v_bcnt_u32_b32 v0, v1, v0
	s_waitcnt lgkmcnt(0)
	v_add_u32_e32 v0, v28, v0
	ds_write_b32 v32, v0 offset:32
.LBB170_99:
	s_or_b64 exec, exec, s[0:1]
	; wave barrier
	s_waitcnt lgkmcnt(0)
	s_barrier
	ds_read2_b32 v[8:9], v7 offset0:8 offset1:9
	ds_read2_b32 v[0:1], v31 offset0:2 offset1:3
	ds_read_b32 v33, v31 offset:16
	v_min_u32_e32 v12, 0x1c0, v12
	v_or_b32_e32 v12, 63, v12
	s_waitcnt lgkmcnt(1)
	v_add3_u32 v34, v9, v8, v0
	s_waitcnt lgkmcnt(0)
	v_add3_u32 v33, v34, v1, v33
	v_and_b32_e32 v34, 15, v6
	v_cmp_ne_u32_e32 vcc, 0, v34
	v_mov_b32_dpp v35, v33 row_shr:1 row_mask:0xf bank_mask:0xf
	v_cndmask_b32_e32 v35, 0, v35, vcc
	v_add_u32_e32 v33, v35, v33
	v_cmp_lt_u32_e32 vcc, 1, v34
	s_nop 0
	v_mov_b32_dpp v35, v33 row_shr:2 row_mask:0xf bank_mask:0xf
	v_cndmask_b32_e32 v35, 0, v35, vcc
	v_add_u32_e32 v33, v33, v35
	v_cmp_lt_u32_e32 vcc, 3, v34
	s_nop 0
	;; [unrolled: 5-line block ×3, first 2 shown]
	v_mov_b32_dpp v35, v33 row_shr:8 row_mask:0xf bank_mask:0xf
	v_cndmask_b32_e32 v34, 0, v35, vcc
	v_add_u32_e32 v33, v33, v34
	v_bfe_i32 v35, v6, 4, 1
	v_cmp_lt_u32_e32 vcc, 31, v6
	v_mov_b32_dpp v34, v33 row_bcast:15 row_mask:0xf bank_mask:0xf
	v_and_b32_e32 v34, v35, v34
	v_add_u32_e32 v33, v33, v34
	s_nop 1
	v_mov_b32_dpp v34, v33 row_bcast:31 row_mask:0xf bank_mask:0xf
	v_cndmask_b32_e32 v34, 0, v34, vcc
	v_add_u32_e32 v33, v33, v34
	v_lshrrev_b32_e32 v34, 6, v2
	v_cmp_eq_u32_e32 vcc, v12, v2
	s_and_saveexec_b64 s[0:1], vcc
	s_cbranch_execz .LBB170_101
; %bb.100:
	v_lshlrev_b32_e32 v12, 2, v34
	ds_write_b32 v12, v33
.LBB170_101:
	s_or_b64 exec, exec, s[0:1]
	v_cmp_gt_u32_e32 vcc, 8, v2
	s_waitcnt lgkmcnt(0)
	s_barrier
	s_and_saveexec_b64 s[0:1], vcc
	s_cbranch_execz .LBB170_103
; %bb.102:
	v_lshlrev_b32_e32 v12, 2, v2
	ds_read_b32 v35, v12
	v_and_b32_e32 v36, 7, v6
	v_cmp_ne_u32_e32 vcc, 0, v36
	s_waitcnt lgkmcnt(0)
	v_mov_b32_dpp v37, v35 row_shr:1 row_mask:0xf bank_mask:0xf
	v_cndmask_b32_e32 v37, 0, v37, vcc
	v_add_u32_e32 v35, v37, v35
	v_cmp_lt_u32_e32 vcc, 1, v36
	s_nop 0
	v_mov_b32_dpp v37, v35 row_shr:2 row_mask:0xf bank_mask:0xf
	v_cndmask_b32_e32 v37, 0, v37, vcc
	v_add_u32_e32 v35, v35, v37
	v_cmp_lt_u32_e32 vcc, 3, v36
	s_nop 0
	v_mov_b32_dpp v37, v35 row_shr:4 row_mask:0xf bank_mask:0xf
	v_cndmask_b32_e32 v36, 0, v37, vcc
	v_add_u32_e32 v35, v35, v36
	ds_write_b32 v12, v35
.LBB170_103:
	s_or_b64 exec, exec, s[0:1]
	v_cmp_lt_u32_e32 vcc, 63, v2
	v_mov_b32_e32 v12, 0
	s_waitcnt lgkmcnt(0)
	s_barrier
	s_and_saveexec_b64 s[0:1], vcc
	s_cbranch_execz .LBB170_105
; %bb.104:
	v_lshl_add_u32 v12, v34, 2, -4
	ds_read_b32 v12, v12
.LBB170_105:
	s_or_b64 exec, exec, s[0:1]
	v_add_u32_e32 v34, -1, v6
	v_and_b32_e32 v35, 64, v6
	v_cmp_lt_i32_e32 vcc, v34, v35
	v_cndmask_b32_e32 v34, v34, v6, vcc
	s_waitcnt lgkmcnt(0)
	v_add_u32_e32 v33, v12, v33
	v_lshlrev_b32_e32 v34, 2, v34
	ds_bpermute_b32 v33, v34, v33
	v_cmp_eq_u32_e32 vcc, 0, v6
	s_movk_i32 s2, 0xff
	s_movk_i32 s3, 0x100
	v_cmp_lt_u32_e64 s[0:1], s2, v2
	s_waitcnt lgkmcnt(0)
	v_cndmask_b32_e32 v12, v33, v12, vcc
	v_cmp_ne_u32_e32 vcc, 0, v2
	v_cndmask_b32_e32 v12, 0, v12, vcc
	v_add_u32_e32 v8, v12, v8
	v_add_u32_e32 v9, v8, v9
	;; [unrolled: 1-line block ×4, first 2 shown]
	ds_write2_b32 v7, v12, v8 offset0:8 offset1:9
	ds_write2_b32 v31, v9, v0 offset0:2 offset1:3
	ds_write_b32 v31, v1 offset:16
	s_waitcnt lgkmcnt(0)
	s_barrier
	ds_read_b32 v8, v14 offset:32
	ds_read_b32 v9, v16 offset:32
	;; [unrolled: 1-line block ×6, first 2 shown]
	v_cmp_gt_u32_e32 vcc, s3, v2
	v_pk_mov_b32 v[0:1], 0, 0
                                        ; implicit-def: $vgpr7
	s_and_saveexec_b64 s[4:5], vcc
	s_cbranch_execz .LBB170_109
; %bb.106:
	v_mul_u32_u24_e32 v0, 9, v2
	v_lshlrev_b32_e32 v7, 2, v0
	ds_read_b32 v0, v7 offset:32
	v_cmp_ne_u32_e64 s[2:3], s2, v2
	v_mov_b32_e32 v1, 0xc00
	s_and_saveexec_b64 s[10:11], s[2:3]
	s_cbranch_execz .LBB170_108
; %bb.107:
	ds_read_b32 v1, v7 offset:68
.LBB170_108:
	s_or_b64 exec, exec, s[10:11]
	s_waitcnt lgkmcnt(0)
	v_sub_u32_e32 v7, v1, v0
	v_mov_b32_e32 v1, 0
.LBB170_109:
	s_or_b64 exec, exec, s[4:5]
	s_waitcnt lgkmcnt(5)
	v_add_u32_e32 v18, v8, v5
	s_waitcnt lgkmcnt(4)
	v_add3_u32 v17, v13, v11, v9
	s_waitcnt lgkmcnt(3)
	v_add3_u32 v16, v20, v15, v12
	;; [unrolled: 2-line block ×5, first 2 shown]
	s_barrier
	ds_write_b8 v18, v3 offset:2048
	ds_write_b8 v17, v10 offset:2048
	ds_write_b8 v16, v19 offset:2048
	ds_write_b8 v15, v21 offset:2048
	ds_write_b8 v14, v24 offset:2048
	ds_write_b8 v5, v27 offset:2048
	s_waitcnt lgkmcnt(0)
	s_barrier
	s_and_saveexec_b64 s[2:3], s[0:1]
	s_xor_b64 s[0:1], exec, s[2:3]
; %bb.110:
	v_mov_b32_e32 v3, 0
; %bb.111:
	s_andn2_saveexec_b64 s[2:3], s[0:1]
	s_cbranch_execz .LBB170_121
; %bb.112:
	v_lshl_or_b32 v8, s6, 8, v2
	v_mov_b32_e32 v9, 0
	v_lshlrev_b64 v[10:11], 2, v[8:9]
	v_mov_b32_e32 v3, s35
	v_add_co_u32_e64 v10, s[0:1], s34, v10
	v_addc_co_u32_e64 v11, s[0:1], v3, v11, s[0:1]
	v_or_b32_e32 v8, 2.0, v7
	s_mov_b64 s[4:5], 0
	s_brev_b32 s15, 1
	s_mov_b32 s16, s6
	v_mov_b32_e32 v19, 0
	global_store_dword v[10:11], v8, off
                                        ; implicit-def: $sgpr0_sgpr1
	s_branch .LBB170_115
.LBB170_113:                            ;   in Loop: Header=BB170_115 Depth=1
	s_or_b64 exec, exec, s[12:13]
.LBB170_114:                            ;   in Loop: Header=BB170_115 Depth=1
	s_or_b64 exec, exec, s[10:11]
	v_and_b32_e32 v12, 0x3fffffff, v20
	v_add_u32_e32 v19, v12, v19
	v_cmp_eq_u32_e64 s[0:1], s15, v8
	s_and_b64 s[10:11], exec, s[0:1]
	s_or_b64 s[4:5], s[10:11], s[4:5]
	s_andn2_b64 exec, exec, s[4:5]
	s_cbranch_execz .LBB170_120
.LBB170_115:                            ; =>This Loop Header: Depth=1
                                        ;     Child Loop BB170_118 Depth 2
	s_or_b64 s[0:1], s[0:1], exec
	s_cmp_eq_u32 s16, 0
	s_cbranch_scc1 .LBB170_119
; %bb.116:                              ;   in Loop: Header=BB170_115 Depth=1
	s_add_i32 s16, s16, -1
	v_lshl_or_b32 v8, s16, 8, v2
	v_lshlrev_b64 v[12:13], 2, v[8:9]
	v_add_co_u32_e64 v12, s[0:1], s34, v12
	v_addc_co_u32_e64 v13, s[0:1], v3, v13, s[0:1]
	global_load_dword v20, v[12:13], off glc
	s_waitcnt vmcnt(0)
	v_and_b32_e32 v8, -2.0, v20
	v_cmp_eq_u32_e64 s[0:1], 0, v8
	s_and_saveexec_b64 s[10:11], s[0:1]
	s_cbranch_execz .LBB170_114
; %bb.117:                              ;   in Loop: Header=BB170_115 Depth=1
	s_mov_b64 s[12:13], 0
.LBB170_118:                            ;   Parent Loop BB170_115 Depth=1
                                        ; =>  This Inner Loop Header: Depth=2
	global_load_dword v20, v[12:13], off glc
	s_waitcnt vmcnt(0)
	v_and_b32_e32 v8, -2.0, v20
	v_cmp_ne_u32_e64 s[0:1], 0, v8
	s_or_b64 s[12:13], s[0:1], s[12:13]
	s_andn2_b64 exec, exec, s[12:13]
	s_cbranch_execnz .LBB170_118
	s_branch .LBB170_113
.LBB170_119:                            ;   in Loop: Header=BB170_115 Depth=1
                                        ; implicit-def: $sgpr16
	s_and_b64 s[10:11], exec, s[0:1]
	s_or_b64 s[4:5], s[10:11], s[4:5]
	s_andn2_b64 exec, exec, s[4:5]
	s_cbranch_execnz .LBB170_115
.LBB170_120:
	s_or_b64 exec, exec, s[4:5]
	v_add_u32_e32 v3, v19, v7
	v_or_b32_e32 v3, 0x80000000, v3
	global_store_dword v[10:11], v3, off
	v_lshlrev_b32_e32 v10, 3, v2
	global_load_dwordx2 v[8:9], v10, s[44:45]
	v_sub_co_u32_e64 v11, s[0:1], v19, v0
	v_subb_co_u32_e64 v12, s[0:1], 0, v1, s[0:1]
	v_mov_b32_e32 v3, 0
	s_waitcnt vmcnt(0)
	v_add_co_u32_e64 v8, s[0:1], v11, v8
	v_addc_co_u32_e64 v9, s[0:1], v12, v9, s[0:1]
	ds_write_b64 v10, v[8:9]
.LBB170_121:
	s_or_b64 exec, exec, s[2:3]
	s_waitcnt lgkmcnt(0)
	s_barrier
	ds_read_u8 v8, v2 offset:2048
	ds_read_u8 v19, v2 offset:2560
	;; [unrolled: 1-line block ×6, first 2 shown]
	s_waitcnt lgkmcnt(5)
	v_and_b32_e32 v9, 1, v8
	v_xor_b32_e32 v30, 1, v8
	s_waitcnt lgkmcnt(4)
	v_and_b32_e32 v8, 1, v19
	v_lshrrev_b32_e32 v8, s48, v8
	v_and_b32_e32 v8, s14, v8
	v_lshlrev_b32_e32 v37, 3, v8
	s_waitcnt lgkmcnt(3)
	v_and_b32_e32 v8, 1, v32
	v_lshrrev_b32_e32 v8, s48, v8
	v_and_b32_e32 v8, s14, v8
	v_lshrrev_b32_e32 v9, s48, v9
	v_lshlrev_b32_e32 v38, 3, v8
	s_waitcnt lgkmcnt(2)
	v_and_b32_e32 v8, 1, v33
	v_and_b32_e32 v9, s14, v9
	v_lshrrev_b32_e32 v8, s48, v8
	v_lshlrev_b32_e32 v36, 3, v9
	v_and_b32_e32 v8, s14, v8
	v_lshlrev_b32_e32 v39, 3, v8
	ds_read_b64 v[8:9], v36
	ds_read_b64 v[10:11], v37
	;; [unrolled: 1-line block ×4, first 2 shown]
	v_mov_b32_e32 v22, s39
	s_waitcnt lgkmcnt(3)
	v_add_co_u32_e64 v26, s[0:1], s38, v8
	v_addc_co_u32_e64 v27, s[0:1], v22, v9, s[0:1]
	s_lshl_b64 s[0:1], s[30:31], 3
	s_add_u32 s0, s40, s0
	s_addc_u32 s1, s41, s1
	v_lshlrev_b32_e32 v6, 3, v6
	v_mov_b32_e32 v8, s1
	v_add_co_u32_e64 v6, s[0:1], s0, v6
	v_addc_co_u32_e64 v9, s[0:1], 0, v8, s[0:1]
	v_lshlrev_b32_e32 v4, 3, v4
	v_add_co_u32_e64 v8, s[0:1], v6, v4
	v_addc_co_u32_e64 v9, s[0:1], 0, v9, s[0:1]
	global_load_dwordx2 v[22:23], v[8:9], off
	global_load_dwordx2 v[24:25], v[8:9], off offset:512
	v_add_co_u32_e64 v26, s[0:1], v26, v2
	v_addc_co_u32_e64 v27, s[0:1], v27, v3, s[0:1]
	global_load_dwordx2 v[28:29], v[8:9], off offset:1024
	v_xor_b32_e32 v4, 1, v19
	global_store_byte v[26:27], v30, off
	global_load_dwordx2 v[26:27], v[8:9], off offset:1536
	v_mov_b32_e32 v19, s39
	global_load_dwordx2 v[30:31], v[8:9], off offset:2048
	s_waitcnt lgkmcnt(2)
	v_add_co_u32_e64 v10, s[0:1], s38, v10
	global_load_dwordx2 v[8:9], v[8:9], off offset:2560
	v_addc_co_u32_e64 v11, s[0:1], v19, v11, s[0:1]
	v_add_co_u32_e64 v10, s[0:1], v10, v2
	v_addc_co_u32_e64 v11, s[0:1], v11, v3, s[0:1]
	global_store_byte v[10:11], v4, off offset:512
	v_mov_b32_e32 v10, s39
	s_waitcnt lgkmcnt(1)
	v_add_co_u32_e64 v11, s[0:1], s38, v12
	v_addc_co_u32_e64 v12, s[0:1], v10, v13, s[0:1]
	v_add_co_u32_e64 v10, s[0:1], v11, v2
	v_xor_b32_e32 v4, 1, v32
	v_addc_co_u32_e64 v11, s[0:1], v12, v3, s[0:1]
	global_store_byte v[10:11], v4, off offset:1024
	v_mov_b32_e32 v10, s39
	s_waitcnt lgkmcnt(0)
	v_add_co_u32_e64 v11, s[0:1], s38, v20
	v_addc_co_u32_e64 v12, s[0:1], v10, v21, s[0:1]
	v_add_co_u32_e64 v10, s[0:1], v11, v2
	v_xor_b32_e32 v4, 1, v33
	v_addc_co_u32_e64 v11, s[0:1], v12, v3, s[0:1]
	global_store_byte v[10:11], v4, off offset:1536
	v_and_b32_e32 v4, 1, v34
	v_lshrrev_b32_e32 v4, s48, v4
	v_and_b32_e32 v4, s14, v4
	v_lshlrev_b32_e32 v20, 3, v4
	v_and_b32_e32 v10, 1, v35
	v_lshrrev_b32_e32 v12, s48, v10
	ds_read_b64 v[10:11], v20
	v_and_b32_e32 v12, s14, v12
	v_lshlrev_b32_e32 v32, 3, v12
	ds_read_b64 v[12:13], v32
	v_mov_b32_e32 v4, s39
	s_waitcnt lgkmcnt(1)
	v_add_co_u32_e64 v10, s[0:1], s38, v10
	v_addc_co_u32_e64 v4, s[0:1], v4, v11, s[0:1]
	v_add_co_u32_e64 v10, s[0:1], v10, v2
	v_xor_b32_e32 v19, 1, v34
	v_addc_co_u32_e64 v11, s[0:1], v4, v3, s[0:1]
	global_store_byte v[10:11], v19, off offset:2048
	v_mov_b32_e32 v10, s39
	s_waitcnt lgkmcnt(0)
	v_add_co_u32_e64 v11, s[0:1], s38, v12
	v_addc_co_u32_e64 v12, s[0:1], v10, v13, s[0:1]
	v_add_co_u32_e64 v10, s[0:1], v11, v2
	v_xor_b32_e32 v4, 1, v35
	v_addc_co_u32_e64 v11, s[0:1], v12, v3, s[0:1]
	global_store_byte v[10:11], v4, off offset:2560
	v_lshlrev_b32_e32 v4, 3, v18
	s_barrier
	s_waitcnt vmcnt(11)
	ds_write_b64 v4, v[22:23] offset:2048
	v_lshlrev_b32_e32 v4, 3, v17
	s_waitcnt vmcnt(10)
	ds_write_b64 v4, v[24:25] offset:2048
	v_lshlrev_b32_e32 v4, 3, v16
	v_or_b32_e32 v6, 0x800, v2
	v_mad_u32_u24 v6, v2, 7, v6
	s_waitcnt vmcnt(9)
	ds_write_b64 v4, v[28:29] offset:2048
	v_lshlrev_b32_e32 v4, 3, v15
	v_lshlrev_b32_e32 v33, 3, v2
	s_waitcnt vmcnt(7)
	ds_write_b64 v4, v[26:27] offset:2048
	v_lshlrev_b32_e32 v4, 3, v14
	s_waitcnt vmcnt(6)
	ds_write_b64 v4, v[30:31] offset:2048
	v_lshlrev_b32_e32 v4, 3, v5
	s_add_i32 s7, s7, -1
	s_waitcnt vmcnt(5)
	ds_write_b64 v4, v[8:9] offset:2048
	s_waitcnt lgkmcnt(0)
	s_barrier
	ds_read_b64 v[4:5], v36
	v_mov_b32_e32 v9, s43
	v_lshlrev_b32_e32 v8, 3, v2
	ds_read_b64 v[12:13], v37
	ds_read_b64 v[14:15], v38
	;; [unrolled: 1-line block ×3, first 2 shown]
	s_cmp_eq_u32 s6, s7
	s_waitcnt lgkmcnt(3)
	v_lshlrev_b64 v[4:5], 3, v[4:5]
	v_add_co_u32_e64 v10, s[0:1], s42, v4
	v_addc_co_u32_e64 v9, s[0:1], v9, v5, s[0:1]
	v_lshlrev_b64 v[4:5], 3, v[2:3]
	v_add_co_u32_e64 v4, s[0:1], v10, v4
	v_addc_co_u32_e64 v5, s[0:1], v9, v5, s[0:1]
	ds_read_b64 v[8:9], v8 offset:2048
	ds_read_b64 v[18:19], v20
	ds_read_b64 v[20:21], v6 offset:20480
	ds_read_b64 v[22:23], v32
	s_waitcnt lgkmcnt(3)
	global_store_dwordx2 v[4:5], v[8:9], off
	ds_read2st64_b64 v[8:11], v6 offset0:8 offset1:16
	v_lshlrev_b64 v[4:5], 3, v[12:13]
	v_mov_b32_e32 v12, s43
	v_add_co_u32_e64 v4, s[0:1], s42, v4
	v_addc_co_u32_e64 v5, s[0:1], v12, v5, s[0:1]
	v_add_u32_e32 v12, 0x1000, v33
	v_add_co_u32_e64 v4, s[0:1], v4, v12
	v_addc_co_u32_e64 v5, s[0:1], 0, v5, s[0:1]
	s_waitcnt lgkmcnt(0)
	global_store_dwordx2 v[4:5], v[8:9], off
	v_lshlrev_b64 v[4:5], 3, v[14:15]
	v_mov_b32_e32 v8, s43
	v_add_co_u32_e64 v4, s[0:1], s42, v4
	v_addc_co_u32_e64 v5, s[0:1], v8, v5, s[0:1]
	v_or_b32_e32 v8, 0x2000, v33
	v_add_co_u32_e64 v4, s[0:1], v4, v8
	v_addc_co_u32_e64 v5, s[0:1], 0, v5, s[0:1]
	global_store_dwordx2 v[4:5], v[10:11], off
	ds_read2st64_b64 v[8:11], v6 offset0:24 offset1:32
	v_lshlrev_b64 v[4:5], 3, v[16:17]
	v_mov_b32_e32 v6, s43
	v_add_co_u32_e64 v4, s[0:1], s42, v4
	v_addc_co_u32_e64 v5, s[0:1], v6, v5, s[0:1]
	v_add_u32_e32 v6, 0x3000, v33
	v_add_co_u32_e64 v4, s[0:1], v4, v6
	v_addc_co_u32_e64 v5, s[0:1], 0, v5, s[0:1]
	s_waitcnt lgkmcnt(0)
	global_store_dwordx2 v[4:5], v[8:9], off
	v_lshlrev_b64 v[4:5], 3, v[18:19]
	v_mov_b32_e32 v6, s43
	v_add_co_u32_e64 v4, s[0:1], s42, v4
	v_addc_co_u32_e64 v5, s[0:1], v6, v5, s[0:1]
	v_or_b32_e32 v6, 0x4000, v33
	v_add_co_u32_e64 v4, s[0:1], v4, v6
	v_addc_co_u32_e64 v5, s[0:1], 0, v5, s[0:1]
	global_store_dwordx2 v[4:5], v[10:11], off
	v_lshlrev_b64 v[4:5], 3, v[22:23]
	v_mov_b32_e32 v6, s43
	v_add_co_u32_e64 v4, s[0:1], s42, v4
	v_addc_co_u32_e64 v5, s[0:1], v6, v5, s[0:1]
	v_add_u32_e32 v6, 0x5000, v33
	v_add_co_u32_e64 v4, s[0:1], v4, v6
	v_addc_co_u32_e64 v5, s[0:1], 0, v5, s[0:1]
	s_cselect_b64 s[0:1], -1, 0
	s_and_b64 s[2:3], vcc, s[0:1]
	global_store_dwordx2 v[4:5], v[20:21], off
                                        ; implicit-def: $vgpr4_vgpr5
	s_and_saveexec_b64 s[0:1], s[2:3]
; %bb.122:
	v_add_co_u32_e32 v4, vcc, v0, v7
	v_addc_co_u32_e32 v5, vcc, 0, v1, vcc
	s_or_b64 s[8:9], s[8:9], exec
; %bb.123:
	s_or_b64 exec, exec, s[0:1]
.LBB170_124:
	s_and_saveexec_b64 s[0:1], s[8:9]
	s_cbranch_execnz .LBB170_126
; %bb.125:
	s_endpgm
.LBB170_126:
	v_lshlrev_b32_e32 v6, 3, v2
	v_lshlrev_b64 v[0:1], 3, v[2:3]
	ds_read_b64 v[2:3], v6
	v_mov_b32_e32 v7, s47
	v_add_co_u32_e32 v0, vcc, s46, v0
	v_addc_co_u32_e32 v1, vcc, v7, v1, vcc
	s_waitcnt lgkmcnt(0)
	v_add_co_u32_e32 v2, vcc, v2, v4
	v_addc_co_u32_e32 v3, vcc, v3, v5, vcc
	global_store_dwordx2 v[0:1], v[2:3], off
	s_endpgm
.LBB170_127:
	global_load_dwordx2 v[4:5], v[18:19], off
	s_or_b64 exec, exec, s[28:29]
                                        ; implicit-def: $vgpr6_vgpr7
	s_and_saveexec_b64 s[28:29], s[0:1]
	s_cbranch_execz .LBB170_59
.LBB170_128:
	global_load_dwordx2 v[6:7], v[18:19], off offset:512
	s_or_b64 exec, exec, s[28:29]
                                        ; implicit-def: $vgpr10_vgpr11
	s_and_saveexec_b64 s[0:1], s[2:3]
	s_cbranch_execz .LBB170_60
.LBB170_129:
	global_load_dwordx2 v[10:11], v[18:19], off offset:1024
	s_or_b64 exec, exec, s[0:1]
                                        ; implicit-def: $vgpr12_vgpr13
	s_and_saveexec_b64 s[0:1], s[26:27]
	s_cbranch_execz .LBB170_61
.LBB170_130:
	global_load_dwordx2 v[12:13], v[18:19], off offset:1536
	s_or_b64 exec, exec, s[0:1]
                                        ; implicit-def: $vgpr14_vgpr15
	s_and_saveexec_b64 s[0:1], s[8:9]
	s_cbranch_execz .LBB170_62
.LBB170_131:
	global_load_dwordx2 v[14:15], v[18:19], off offset:2048
	s_or_b64 exec, exec, s[0:1]
                                        ; implicit-def: $vgpr16_vgpr17
	s_and_saveexec_b64 s[0:1], s[10:11]
	s_cbranch_execnz .LBB170_63
	s_branch .LBB170_64
.LBB170_132:
	v_lshlrev_b32_e32 v4, 3, v34
	ds_read_b64 v[4:5], v4
	ds_read_b64 v[6:7], v3 offset:2048
	v_mov_b32_e32 v10, s43
	s_waitcnt lgkmcnt(1)
	v_lshlrev_b64 v[4:5], 3, v[4:5]
	v_add_co_u32_e32 v4, vcc, s42, v4
	v_addc_co_u32_e32 v5, vcc, v10, v5, vcc
	v_add_co_u32_e32 v4, vcc, v4, v3
	v_addc_co_u32_e32 v5, vcc, 0, v5, vcc
	s_waitcnt lgkmcnt(0)
	global_store_dwordx2 v[4:5], v[6:7], off
	s_or_b64 exec, exec, s[0:1]
	s_and_saveexec_b64 s[0:1], s[16:17]
	s_cbranch_execz .LBB170_78
.LBB170_133:
	v_lshlrev_b32_e32 v4, 3, v32
	ds_read_b64 v[4:5], v4
	ds_read_b64 v[6:7], v3 offset:6144
	v_mov_b32_e32 v10, s43
	s_waitcnt lgkmcnt(1)
	v_lshlrev_b64 v[4:5], 3, v[4:5]
	v_add_co_u32_e32 v4, vcc, s42, v4
	v_addc_co_u32_e32 v5, vcc, v10, v5, vcc
	v_lshlrev_b32_e32 v10, 3, v26
	v_add_co_u32_e32 v4, vcc, v4, v10
	v_addc_co_u32_e32 v5, vcc, 0, v5, vcc
	s_waitcnt lgkmcnt(0)
	global_store_dwordx2 v[4:5], v[6:7], off
	s_or_b64 exec, exec, s[0:1]
	s_and_saveexec_b64 s[0:1], s[18:19]
	s_cbranch_execz .LBB170_79
.LBB170_134:
	v_lshlrev_b32_e32 v4, 3, v33
	ds_read_b64 v[4:5], v4
	ds_read_b64 v[6:7], v3 offset:10240
	v_mov_b32_e32 v10, s43
	s_waitcnt lgkmcnt(1)
	v_lshlrev_b64 v[4:5], 3, v[4:5]
	v_add_co_u32_e32 v4, vcc, s42, v4
	v_addc_co_u32_e32 v5, vcc, v10, v5, vcc
	v_lshlrev_b32_e32 v10, 3, v27
	v_add_co_u32_e32 v4, vcc, v4, v10
	v_addc_co_u32_e32 v5, vcc, 0, v5, vcc
	s_waitcnt lgkmcnt(0)
	global_store_dwordx2 v[4:5], v[6:7], off
	s_or_b64 exec, exec, s[0:1]
	s_and_saveexec_b64 s[0:1], s[20:21]
	s_cbranch_execz .LBB170_80
.LBB170_135:
	v_lshlrev_b32_e32 v4, 3, v19
	ds_read_b64 v[4:5], v4
	ds_read_b64 v[6:7], v3 offset:14336
	v_mov_b32_e32 v10, s43
	s_waitcnt lgkmcnt(1)
	v_lshlrev_b64 v[4:5], 3, v[4:5]
	v_add_co_u32_e32 v4, vcc, s42, v4
	v_addc_co_u32_e32 v5, vcc, v10, v5, vcc
	v_lshlrev_b32_e32 v10, 3, v28
	v_add_co_u32_e32 v4, vcc, v4, v10
	v_addc_co_u32_e32 v5, vcc, 0, v5, vcc
	s_waitcnt lgkmcnt(0)
	global_store_dwordx2 v[4:5], v[6:7], off
	s_or_b64 exec, exec, s[0:1]
	s_and_saveexec_b64 s[0:1], s[22:23]
	s_cbranch_execz .LBB170_81
.LBB170_136:
	v_lshlrev_b32_e32 v4, 3, v31
	ds_read_b64 v[4:5], v4
	ds_read_b64 v[6:7], v3 offset:18432
	v_mov_b32_e32 v10, s43
	s_waitcnt lgkmcnt(1)
	v_lshlrev_b64 v[4:5], 3, v[4:5]
	v_add_co_u32_e32 v4, vcc, s42, v4
	v_addc_co_u32_e32 v5, vcc, v10, v5, vcc
	v_lshlrev_b32_e32 v10, 3, v29
	v_add_co_u32_e32 v4, vcc, v4, v10
	v_addc_co_u32_e32 v5, vcc, 0, v5, vcc
	s_waitcnt lgkmcnt(0)
	global_store_dwordx2 v[4:5], v[6:7], off
	s_or_b64 exec, exec, s[0:1]
	s_and_saveexec_b64 s[0:1], s[24:25]
	s_cbranch_execnz .LBB170_82
	s_branch .LBB170_83
	.section	.rodata,"a",@progbits
	.p2align	6, 0x0
	.amdhsa_kernel _ZN7rocprim17ROCPRIM_304000_NS6detail25onesweep_iteration_kernelINS1_34wrapped_radix_sort_onesweep_configINS0_14default_configEbN2at4cuda3cub6detail10OpaqueTypeILi8EEEEELb1EPKbPbPKSA_PSA_mNS0_19identity_decomposerEEEvT1_T2_T3_T4_jPT5_SO_PNS1_23onesweep_lookback_stateET6_jjj
		.amdhsa_group_segment_fixed_size 26624
		.amdhsa_private_segment_fixed_size 0
		.amdhsa_kernarg_size 336
		.amdhsa_user_sgpr_count 6
		.amdhsa_user_sgpr_private_segment_buffer 1
		.amdhsa_user_sgpr_dispatch_ptr 0
		.amdhsa_user_sgpr_queue_ptr 0
		.amdhsa_user_sgpr_kernarg_segment_ptr 1
		.amdhsa_user_sgpr_dispatch_id 0
		.amdhsa_user_sgpr_flat_scratch_init 0
		.amdhsa_user_sgpr_kernarg_preload_length 0
		.amdhsa_user_sgpr_kernarg_preload_offset 0
		.amdhsa_user_sgpr_private_segment_size 0
		.amdhsa_uses_dynamic_stack 0
		.amdhsa_system_sgpr_private_segment_wavefront_offset 0
		.amdhsa_system_sgpr_workgroup_id_x 1
		.amdhsa_system_sgpr_workgroup_id_y 0
		.amdhsa_system_sgpr_workgroup_id_z 0
		.amdhsa_system_sgpr_workgroup_info 0
		.amdhsa_system_vgpr_workitem_id 2
		.amdhsa_next_free_vgpr 40
		.amdhsa_next_free_sgpr 53
		.amdhsa_accum_offset 40
		.amdhsa_reserve_vcc 1
		.amdhsa_reserve_flat_scratch 0
		.amdhsa_float_round_mode_32 0
		.amdhsa_float_round_mode_16_64 0
		.amdhsa_float_denorm_mode_32 3
		.amdhsa_float_denorm_mode_16_64 3
		.amdhsa_dx10_clamp 1
		.amdhsa_ieee_mode 1
		.amdhsa_fp16_overflow 0
		.amdhsa_tg_split 0
		.amdhsa_exception_fp_ieee_invalid_op 0
		.amdhsa_exception_fp_denorm_src 0
		.amdhsa_exception_fp_ieee_div_zero 0
		.amdhsa_exception_fp_ieee_overflow 0
		.amdhsa_exception_fp_ieee_underflow 0
		.amdhsa_exception_fp_ieee_inexact 0
		.amdhsa_exception_int_div_zero 0
	.end_amdhsa_kernel
	.section	.text._ZN7rocprim17ROCPRIM_304000_NS6detail25onesweep_iteration_kernelINS1_34wrapped_radix_sort_onesweep_configINS0_14default_configEbN2at4cuda3cub6detail10OpaqueTypeILi8EEEEELb1EPKbPbPKSA_PSA_mNS0_19identity_decomposerEEEvT1_T2_T3_T4_jPT5_SO_PNS1_23onesweep_lookback_stateET6_jjj,"axG",@progbits,_ZN7rocprim17ROCPRIM_304000_NS6detail25onesweep_iteration_kernelINS1_34wrapped_radix_sort_onesweep_configINS0_14default_configEbN2at4cuda3cub6detail10OpaqueTypeILi8EEEEELb1EPKbPbPKSA_PSA_mNS0_19identity_decomposerEEEvT1_T2_T3_T4_jPT5_SO_PNS1_23onesweep_lookback_stateET6_jjj,comdat
.Lfunc_end170:
	.size	_ZN7rocprim17ROCPRIM_304000_NS6detail25onesweep_iteration_kernelINS1_34wrapped_radix_sort_onesweep_configINS0_14default_configEbN2at4cuda3cub6detail10OpaqueTypeILi8EEEEELb1EPKbPbPKSA_PSA_mNS0_19identity_decomposerEEEvT1_T2_T3_T4_jPT5_SO_PNS1_23onesweep_lookback_stateET6_jjj, .Lfunc_end170-_ZN7rocprim17ROCPRIM_304000_NS6detail25onesweep_iteration_kernelINS1_34wrapped_radix_sort_onesweep_configINS0_14default_configEbN2at4cuda3cub6detail10OpaqueTypeILi8EEEEELb1EPKbPbPKSA_PSA_mNS0_19identity_decomposerEEEvT1_T2_T3_T4_jPT5_SO_PNS1_23onesweep_lookback_stateET6_jjj
                                        ; -- End function
	.section	.AMDGPU.csdata,"",@progbits
; Kernel info:
; codeLenInByte = 8684
; NumSgprs: 57
; NumVgprs: 40
; NumAgprs: 0
; TotalNumVgprs: 40
; ScratchSize: 0
; MemoryBound: 0
; FloatMode: 240
; IeeeMode: 1
; LDSByteSize: 26624 bytes/workgroup (compile time only)
; SGPRBlocks: 7
; VGPRBlocks: 4
; NumSGPRsForWavesPerEU: 57
; NumVGPRsForWavesPerEU: 40
; AccumOffset: 40
; Occupancy: 4
; WaveLimiterHint : 1
; COMPUTE_PGM_RSRC2:SCRATCH_EN: 0
; COMPUTE_PGM_RSRC2:USER_SGPR: 6
; COMPUTE_PGM_RSRC2:TRAP_HANDLER: 0
; COMPUTE_PGM_RSRC2:TGID_X_EN: 1
; COMPUTE_PGM_RSRC2:TGID_Y_EN: 0
; COMPUTE_PGM_RSRC2:TGID_Z_EN: 0
; COMPUTE_PGM_RSRC2:TIDIG_COMP_CNT: 2
; COMPUTE_PGM_RSRC3_GFX90A:ACCUM_OFFSET: 9
; COMPUTE_PGM_RSRC3_GFX90A:TG_SPLIT: 0
	.section	.text._ZN7rocprim17ROCPRIM_304000_NS6detail25onesweep_iteration_kernelINS1_34wrapped_radix_sort_onesweep_configINS0_14default_configEbN2at4cuda3cub6detail10OpaqueTypeILi8EEEEELb1EPbSC_PSA_SD_mNS0_19identity_decomposerEEEvT1_T2_T3_T4_jPT5_SK_PNS1_23onesweep_lookback_stateET6_jjj,"axG",@progbits,_ZN7rocprim17ROCPRIM_304000_NS6detail25onesweep_iteration_kernelINS1_34wrapped_radix_sort_onesweep_configINS0_14default_configEbN2at4cuda3cub6detail10OpaqueTypeILi8EEEEELb1EPbSC_PSA_SD_mNS0_19identity_decomposerEEEvT1_T2_T3_T4_jPT5_SK_PNS1_23onesweep_lookback_stateET6_jjj,comdat
	.protected	_ZN7rocprim17ROCPRIM_304000_NS6detail25onesweep_iteration_kernelINS1_34wrapped_radix_sort_onesweep_configINS0_14default_configEbN2at4cuda3cub6detail10OpaqueTypeILi8EEEEELb1EPbSC_PSA_SD_mNS0_19identity_decomposerEEEvT1_T2_T3_T4_jPT5_SK_PNS1_23onesweep_lookback_stateET6_jjj ; -- Begin function _ZN7rocprim17ROCPRIM_304000_NS6detail25onesweep_iteration_kernelINS1_34wrapped_radix_sort_onesweep_configINS0_14default_configEbN2at4cuda3cub6detail10OpaqueTypeILi8EEEEELb1EPbSC_PSA_SD_mNS0_19identity_decomposerEEEvT1_T2_T3_T4_jPT5_SK_PNS1_23onesweep_lookback_stateET6_jjj
	.globl	_ZN7rocprim17ROCPRIM_304000_NS6detail25onesweep_iteration_kernelINS1_34wrapped_radix_sort_onesweep_configINS0_14default_configEbN2at4cuda3cub6detail10OpaqueTypeILi8EEEEELb1EPbSC_PSA_SD_mNS0_19identity_decomposerEEEvT1_T2_T3_T4_jPT5_SK_PNS1_23onesweep_lookback_stateET6_jjj
	.p2align	8
	.type	_ZN7rocprim17ROCPRIM_304000_NS6detail25onesweep_iteration_kernelINS1_34wrapped_radix_sort_onesweep_configINS0_14default_configEbN2at4cuda3cub6detail10OpaqueTypeILi8EEEEELb1EPbSC_PSA_SD_mNS0_19identity_decomposerEEEvT1_T2_T3_T4_jPT5_SK_PNS1_23onesweep_lookback_stateET6_jjj,@function
_ZN7rocprim17ROCPRIM_304000_NS6detail25onesweep_iteration_kernelINS1_34wrapped_radix_sort_onesweep_configINS0_14default_configEbN2at4cuda3cub6detail10OpaqueTypeILi8EEEEELb1EPbSC_PSA_SD_mNS0_19identity_decomposerEEEvT1_T2_T3_T4_jPT5_SK_PNS1_23onesweep_lookback_stateET6_jjj: ; @_ZN7rocprim17ROCPRIM_304000_NS6detail25onesweep_iteration_kernelINS1_34wrapped_radix_sort_onesweep_configINS0_14default_configEbN2at4cuda3cub6detail10OpaqueTypeILi8EEEEELb1EPbSC_PSA_SD_mNS0_19identity_decomposerEEEvT1_T2_T3_T4_jPT5_SK_PNS1_23onesweep_lookback_stateET6_jjj
; %bb.0:
	s_load_dwordx4 s[48:51], s[4:5], 0x44
	s_load_dwordx8 s[36:43], s[4:5], 0x0
	s_load_dwordx4 s[44:47], s[4:5], 0x28
	s_load_dwordx2 s[34:35], s[4:5], 0x38
	s_mul_i32 s30, s6, 0xc00
	s_waitcnt lgkmcnt(0)
	s_cmp_ge_u32 s6, s50
	v_mbcnt_lo_u32_b32 v1, -1, 0
	s_cbranch_scc0 .LBB171_86
; %bb.1:
	s_load_dword s0, s[4:5], 0x20
	s_mul_i32 s33, s50, 0xfffff400
	v_and_b32_e32 v2, 0x3ff, v0
	v_mbcnt_hi_u32_b32 v6, -1, v1
	v_and_b32_e32 v3, 0x1c0, v2
	s_waitcnt lgkmcnt(0)
	s_add_i32 s33, s33, s0
	s_add_u32 s0, s36, s30
	s_addc_u32 s1, s37, 0
	v_mov_b32_e32 v5, s1
	v_add_co_u32_e32 v7, vcc, s0, v6
	v_mul_u32_u24_e32 v4, 6, v3
	v_addc_co_u32_e32 v5, vcc, 0, v5, vcc
	s_mov_b32 s31, 0
	v_add_co_u32_e32 v10, vcc, v7, v4
	v_addc_co_u32_e32 v11, vcc, 0, v5, vcc
	v_or_b32_e32 v5, v6, v4
	s_mov_b32 s0, s31
	s_mov_b32 s1, s31
	v_cmp_gt_u32_e32 vcc, s33, v5
	v_pk_mov_b32 v[8:9], s[0:1], s[0:1] op_sel:[0,1]
	s_and_saveexec_b64 s[0:1], vcc
	s_cbranch_execz .LBB171_3
; %bb.2:
	global_load_ubyte v7, v[10:11], off
	v_mov_b32_e32 v9, s31
	s_waitcnt vmcnt(0)
	v_and_b32_e32 v8, 0xffff, v7
.LBB171_3:
	s_or_b64 exec, exec, s[0:1]
	v_add_u32_e32 v7, 64, v5
	v_cmp_gt_u32_e64 s[0:1], s33, v7
	s_and_saveexec_b64 s[2:3], s[0:1]
	s_cbranch_execz .LBB171_5
; %bb.4:
	global_load_ubyte v7, v[10:11], off offset:64
	s_movk_i32 s7, 0xff
	v_lshrrev_b32_e32 v12, 24, v8
	v_mov_b32_e32 v13, 8
	v_lshlrev_b16_e32 v12, 8, v12
	v_and_b32_sdwa v14, v8, s7 dst_sel:DWORD dst_unused:UNUSED_PAD src0_sel:WORD_1 src1_sel:DWORD
	v_lshrrev_b32_sdwa v13, v13, v9 dst_sel:BYTE_1 dst_unused:UNUSED_PAD src0_sel:DWORD src1_sel:DWORD
	v_or_b32_sdwa v12, v14, v12 dst_sel:WORD_1 dst_unused:UNUSED_PAD src0_sel:DWORD src1_sel:DWORD
	v_or_b32_sdwa v9, v9, v13 dst_sel:DWORD dst_unused:UNUSED_PAD src0_sel:BYTE_0 src1_sel:DWORD
	v_and_b32_e32 v9, 0xffff, v9
	s_waitcnt vmcnt(0)
	v_lshlrev_b16_e32 v7, 8, v7
	v_or_b32_sdwa v7, v8, v7 dst_sel:DWORD dst_unused:UNUSED_PAD src0_sel:BYTE_0 src1_sel:DWORD
	v_or_b32_sdwa v8, v7, v12 dst_sel:DWORD dst_unused:UNUSED_PAD src0_sel:WORD_0 src1_sel:DWORD
.LBB171_5:
	s_or_b64 exec, exec, s[2:3]
	v_add_u32_e32 v7, 0x80, v5
	v_cmp_gt_u32_e64 s[2:3], s33, v7
	s_and_saveexec_b64 s[8:9], s[2:3]
	s_cbranch_execz .LBB171_7
; %bb.6:
	global_load_ubyte v7, v[10:11], off offset:128
	v_mov_b32_e32 v12, 8
	v_lshrrev_b32_sdwa v13, v12, v9 dst_sel:BYTE_1 dst_unused:UNUSED_PAD src0_sel:DWORD src1_sel:DWORD
	v_lshrrev_b32_sdwa v12, v12, v8 dst_sel:BYTE_1 dst_unused:UNUSED_PAD src0_sel:DWORD src1_sel:DWORD
	v_or_b32_sdwa v12, v8, v12 dst_sel:DWORD dst_unused:UNUSED_PAD src0_sel:BYTE_0 src1_sel:DWORD
	v_lshrrev_b32_e32 v8, 24, v8
	v_lshlrev_b16_e32 v8, 8, v8
	v_or_b32_sdwa v9, v9, v13 dst_sel:DWORD dst_unused:UNUSED_PAD src0_sel:BYTE_0 src1_sel:DWORD
	v_and_b32_e32 v9, 0xffff, v9
	s_waitcnt vmcnt(0)
	v_or_b32_sdwa v7, v7, v8 dst_sel:WORD_1 dst_unused:UNUSED_PAD src0_sel:DWORD src1_sel:DWORD
	v_or_b32_sdwa v8, v12, v7 dst_sel:DWORD dst_unused:UNUSED_PAD src0_sel:WORD_0 src1_sel:DWORD
.LBB171_7:
	s_or_b64 exec, exec, s[8:9]
	v_add_u32_e32 v7, 0xc0, v5
	v_cmp_gt_u32_e64 s[26:27], s33, v7
	s_and_saveexec_b64 s[8:9], s[26:27]
	s_cbranch_execz .LBB171_9
; %bb.8:
	global_load_ubyte v7, v[10:11], off offset:192
	s_movk_i32 s7, 0xff
	v_mov_b32_e32 v12, 8
	v_lshrrev_b32_sdwa v13, v12, v8 dst_sel:BYTE_1 dst_unused:UNUSED_PAD src0_sel:DWORD src1_sel:DWORD
	v_and_b32_sdwa v14, v8, s7 dst_sel:DWORD dst_unused:UNUSED_PAD src0_sel:WORD_1 src1_sel:DWORD
	v_lshrrev_b32_sdwa v12, v12, v9 dst_sel:BYTE_1 dst_unused:UNUSED_PAD src0_sel:DWORD src1_sel:DWORD
	v_or_b32_sdwa v8, v8, v13 dst_sel:DWORD dst_unused:UNUSED_PAD src0_sel:BYTE_0 src1_sel:DWORD
	v_or_b32_sdwa v9, v9, v12 dst_sel:DWORD dst_unused:UNUSED_PAD src0_sel:BYTE_0 src1_sel:DWORD
	v_and_b32_e32 v9, 0xffff, v9
	s_waitcnt vmcnt(0)
	v_lshlrev_b16_e32 v7, 8, v7
	v_or_b32_sdwa v7, v14, v7 dst_sel:WORD_1 dst_unused:UNUSED_PAD src0_sel:DWORD src1_sel:DWORD
	v_or_b32_sdwa v8, v8, v7 dst_sel:DWORD dst_unused:UNUSED_PAD src0_sel:WORD_0 src1_sel:DWORD
.LBB171_9:
	s_or_b64 exec, exec, s[8:9]
	v_add_u32_e32 v7, 0x100, v5
	v_cmp_gt_u32_e64 s[8:9], s33, v7
	s_and_saveexec_b64 s[10:11], s[8:9]
	s_cbranch_execz .LBB171_11
; %bb.10:
	global_load_ubyte v7, v[10:11], off offset:256
	v_mov_b32_e32 v12, 8
	v_lshrrev_b32_sdwa v9, v12, v9 dst_sel:BYTE_1 dst_unused:UNUSED_PAD src0_sel:DWORD src1_sel:DWORD
	s_mov_b32 s7, 0x3020104
	v_perm_b32 v8, v8, v8, s7
	s_waitcnt vmcnt(0)
	v_or_b32_e32 v7, v7, v9
	v_and_b32_e32 v9, 0xffff, v7
.LBB171_11:
	s_or_b64 exec, exec, s[10:11]
	v_add_u32_e32 v5, 0x140, v5
	v_cmp_gt_u32_e64 s[10:11], s33, v5
	s_and_saveexec_b64 s[12:13], s[10:11]
	s_cbranch_execz .LBB171_13
; %bb.12:
	global_load_ubyte v5, v[10:11], off offset:320
	s_mov_b32 s7, 0x3020104
	v_perm_b32 v8, v8, v8, s7
	s_waitcnt vmcnt(0)
	v_lshlrev_b16_e32 v5, 8, v5
	v_or_b32_sdwa v5, v9, v5 dst_sel:DWORD dst_unused:UNUSED_PAD src0_sel:BYTE_0 src1_sel:DWORD
	v_and_b32_e32 v9, 0xffff, v5
.LBB171_13:
	s_or_b64 exec, exec, s[12:13]
	s_load_dword s7, s[4:5], 0x50
	s_load_dword s14, s[4:5], 0x5c
	v_and_b32_e32 v5, 1, v8
	v_cmp_eq_u32_e64 s[12:13], 1, v5
	s_xor_b64 s[22:23], s[12:13], -1
	s_add_u32 s12, s4, 0x50
	s_addc_u32 s13, s5, 0
	s_waitcnt lgkmcnt(0)
	s_lshr_b32 s24, s14, 16
	s_cmp_lt_u32 s6, s7
	s_cselect_b32 s14, 12, 18
	s_add_u32 s12, s12, s14
	s_addc_u32 s13, s13, 0
	v_mov_b32_e32 v5, 0
	global_load_ushort v10, v5, s[12:13]
	v_and_b32_e32 v12, 0x1000000, v8
	v_mul_u32_u24_e32 v16, 5, v2
	v_mov_b32_e32 v7, 1
	v_cmp_ne_u32_e64 s[16:17], 0, v12
	v_lshlrev_b32_e32 v12, 2, v16
	v_and_b32_e32 v13, 0x10000, v8
	v_and_b32_sdwa v8, v7, v8 dst_sel:DWORD dst_unused:UNUSED_PAD src0_sel:DWORD src1_sel:BYTE_1
	v_and_b32_sdwa v7, v7, v9 dst_sel:DWORD dst_unused:UNUSED_PAD src0_sel:DWORD src1_sel:BYTE_1
	ds_write2_b32 v12, v5, v5 offset0:8 offset1:9
	ds_write2_b32 v12, v5, v5 offset0:10 offset1:11
	ds_write_b32 v12, v5 offset:48
	v_cndmask_b32_e64 v5, 0, 1, s[22:23]
	s_lshl_b32 s22, -1, s49
	v_cmp_eq_u32_e64 s[12:13], 1, v7
	v_lshrrev_b32_e32 v7, s48, v5
	s_not_b32 s52, s22
	v_and_b32_e32 v11, 1, v9
	v_bfe_u32 v14, v0, 10, 10
	v_bfe_u32 v15, v0, 20, 10
	v_and_b32_e32 v7, s52, v7
	v_cmp_eq_u32_e64 s[14:15], 1, v11
	v_cmp_ne_u32_e64 s[18:19], 0, v13
	v_mad_u32_u24 v11, v15, s24, v14
	v_mul_u32_u24_e32 v13, 9, v7
	v_cmp_ne_u32_e64 s[22:23], 0, v7
	v_add_co_u32_e64 v7, s[24:25], -1, v7
	v_cmp_eq_u32_e64 s[20:21], 1, v8
	v_addc_co_u32_e64 v8, s[24:25], 0, -1, s[24:25]
	v_xor_b32_e32 v8, s23, v8
	v_xor_b32_e32 v7, s22, v7
	v_and_b32_e32 v9, exec_hi, v8
	v_and_b32_e32 v8, exec_lo, v7
	v_mbcnt_lo_u32_b32 v7, v8, 0
	v_mbcnt_hi_u32_b32 v7, v9, v7
	v_cmp_ne_u64_e64 s[22:23], 0, v[8:9]
	v_cmp_eq_u32_e64 s[24:25], 0, v7
	s_and_b64 s[24:25], s[22:23], s[24:25]
	s_waitcnt lgkmcnt(0)
	s_barrier
	s_waitcnt lgkmcnt(0)
	; wave barrier
	s_waitcnt vmcnt(0)
	v_mad_u64_u32 v[10:11], s[28:29], v11, v10, v[2:3]
	v_lshrrev_b32_e32 v10, 6, v10
	v_add_lshl_u32 v17, v10, v13, 2
	s_and_saveexec_b64 s[22:23], s[24:25]
	s_cbranch_execz .LBB171_15
; %bb.14:
	v_bcnt_u32_b32 v8, v8, 0
	v_bcnt_u32_b32 v8, v9, v8
	ds_write_b32 v17, v8 offset:32
.LBB171_15:
	s_or_b64 exec, exec, s[22:23]
	s_xor_b64 s[20:21], s[20:21], -1
	v_cndmask_b32_e64 v13, 0, 1, s[20:21]
	v_lshrrev_b32_e32 v8, s48, v13
	v_and_b32_e32 v8, s52, v8
	v_mul_u32_u24_e32 v9, 9, v8
	v_cmp_ne_u32_e64 s[20:21], 0, v8
	v_add_co_u32_e64 v8, s[22:23], -1, v8
	v_add_lshl_u32 v19, v10, v9, 2
	v_addc_co_u32_e64 v9, s[22:23], 0, -1, s[22:23]
	v_xor_b32_e32 v8, s20, v8
	; wave barrier
	ds_read_b32 v14, v19 offset:32
	v_xor_b32_e32 v9, s21, v9
	v_and_b32_e32 v8, exec_lo, v8
	v_and_b32_e32 v9, exec_hi, v9
	v_mbcnt_lo_u32_b32 v11, v8, 0
	v_mbcnt_hi_u32_b32 v15, v9, v11
	v_cmp_eq_u32_e64 s[20:21], 0, v15
	v_cmp_ne_u64_e64 s[22:23], 0, v[8:9]
	s_and_b64 s[22:23], s[22:23], s[20:21]
	; wave barrier
	s_and_saveexec_b64 s[20:21], s[22:23]
	s_cbranch_execz .LBB171_17
; %bb.16:
	v_bcnt_u32_b32 v8, v8, 0
	v_bcnt_u32_b32 v8, v9, v8
	s_waitcnt lgkmcnt(0)
	v_add_u32_e32 v8, v14, v8
	ds_write_b32 v19, v8 offset:32
.LBB171_17:
	s_or_b64 exec, exec, s[20:21]
	s_xor_b64 s[18:19], s[18:19], -1
	v_cndmask_b32_e64 v16, 0, 1, s[18:19]
	v_lshrrev_b32_e32 v8, s48, v16
	v_and_b32_e32 v8, s52, v8
	v_mul_u32_u24_e32 v9, 9, v8
	v_cmp_ne_u32_e64 s[18:19], 0, v8
	v_add_co_u32_e64 v8, s[20:21], -1, v8
	v_add_lshl_u32 v20, v10, v9, 2
	v_addc_co_u32_e64 v9, s[20:21], 0, -1, s[20:21]
	v_xor_b32_e32 v8, s18, v8
	; wave barrier
	ds_read_b32 v18, v20 offset:32
	v_xor_b32_e32 v9, s19, v9
	v_and_b32_e32 v8, exec_lo, v8
	v_and_b32_e32 v9, exec_hi, v9
	v_mbcnt_lo_u32_b32 v11, v8, 0
	v_mbcnt_hi_u32_b32 v21, v9, v11
	v_cmp_eq_u32_e64 s[18:19], 0, v21
	v_cmp_ne_u64_e64 s[20:21], 0, v[8:9]
	s_and_b64 s[20:21], s[20:21], s[18:19]
	; wave barrier
	s_and_saveexec_b64 s[18:19], s[20:21]
	s_cbranch_execz .LBB171_19
; %bb.18:
	v_bcnt_u32_b32 v8, v8, 0
	v_bcnt_u32_b32 v8, v9, v8
	s_waitcnt lgkmcnt(0)
	v_add_u32_e32 v8, v18, v8
	ds_write_b32 v20, v8 offset:32
.LBB171_19:
	;; [unrolled: 31-line block ×4, first 2 shown]
	s_or_b64 exec, exec, s[14:15]
	s_xor_b64 s[12:13], s[12:13], -1
	v_cndmask_b32_e64 v31, 0, 1, s[12:13]
	v_lshrrev_b32_e32 v8, s48, v31
	v_and_b32_e32 v8, s52, v8
	v_mul_u32_u24_e32 v9, 9, v8
	v_cmp_ne_u32_e64 s[12:13], 0, v8
	v_add_co_u32_e64 v8, s[14:15], -1, v8
	v_add_lshl_u32 v34, v10, v9, 2
	v_addc_co_u32_e64 v9, s[14:15], 0, -1, s[14:15]
	v_xor_b32_e32 v8, s12, v8
	; wave barrier
	ds_read_b32 v32, v34 offset:32
	v_xor_b32_e32 v9, s13, v9
	v_and_b32_e32 v8, exec_lo, v8
	v_and_b32_e32 v9, exec_hi, v9
	v_mbcnt_lo_u32_b32 v10, v8, 0
	v_mbcnt_hi_u32_b32 v33, v9, v10
	v_cmp_eq_u32_e64 s[12:13], 0, v33
	v_cmp_ne_u64_e64 s[14:15], 0, v[8:9]
	v_add_u32_e32 v25, 32, v12
	s_and_b64 s[14:15], s[14:15], s[12:13]
	; wave barrier
	s_and_saveexec_b64 s[12:13], s[14:15]
	s_cbranch_execz .LBB171_25
; %bb.24:
	v_bcnt_u32_b32 v8, v8, 0
	v_bcnt_u32_b32 v8, v9, v8
	s_waitcnt lgkmcnt(0)
	v_add_u32_e32 v8, v32, v8
	ds_write_b32 v34, v8 offset:32
.LBB171_25:
	s_or_b64 exec, exec, s[12:13]
	; wave barrier
	s_waitcnt lgkmcnt(0)
	s_barrier
	ds_read2_b32 v[10:11], v12 offset0:8 offset1:9
	ds_read2_b32 v[8:9], v25 offset0:2 offset1:3
	ds_read_b32 v35, v25 offset:16
	v_min_u32_e32 v3, 0x1c0, v3
	v_or_b32_e32 v3, 63, v3
	s_waitcnt lgkmcnt(1)
	v_add3_u32 v36, v11, v10, v8
	s_waitcnt lgkmcnt(0)
	v_add3_u32 v35, v36, v9, v35
	v_and_b32_e32 v36, 15, v6
	v_cmp_ne_u32_e64 s[12:13], 0, v36
	v_mov_b32_dpp v37, v35 row_shr:1 row_mask:0xf bank_mask:0xf
	v_cndmask_b32_e64 v37, 0, v37, s[12:13]
	v_add_u32_e32 v35, v37, v35
	v_cmp_lt_u32_e64 s[12:13], 1, v36
	s_nop 0
	v_mov_b32_dpp v37, v35 row_shr:2 row_mask:0xf bank_mask:0xf
	v_cndmask_b32_e64 v37, 0, v37, s[12:13]
	v_add_u32_e32 v35, v35, v37
	v_cmp_lt_u32_e64 s[12:13], 3, v36
	s_nop 0
	;; [unrolled: 5-line block ×3, first 2 shown]
	v_mov_b32_dpp v37, v35 row_shr:8 row_mask:0xf bank_mask:0xf
	v_cndmask_b32_e64 v36, 0, v37, s[12:13]
	v_add_u32_e32 v35, v35, v36
	v_bfe_i32 v37, v6, 4, 1
	v_cmp_lt_u32_e64 s[12:13], 31, v6
	v_mov_b32_dpp v36, v35 row_bcast:15 row_mask:0xf bank_mask:0xf
	v_and_b32_e32 v36, v37, v36
	v_add_u32_e32 v35, v35, v36
	s_nop 1
	v_mov_b32_dpp v36, v35 row_bcast:31 row_mask:0xf bank_mask:0xf
	v_cndmask_b32_e64 v36, 0, v36, s[12:13]
	v_add_u32_e32 v35, v35, v36
	v_lshrrev_b32_e32 v36, 6, v2
	v_cmp_eq_u32_e64 s[12:13], v3, v2
	s_and_saveexec_b64 s[14:15], s[12:13]
	s_cbranch_execz .LBB171_27
; %bb.26:
	v_lshlrev_b32_e32 v3, 2, v36
	ds_write_b32 v3, v35
.LBB171_27:
	s_or_b64 exec, exec, s[14:15]
	v_cmp_gt_u32_e64 s[12:13], 8, v2
	s_waitcnt lgkmcnt(0)
	s_barrier
	s_and_saveexec_b64 s[14:15], s[12:13]
	s_cbranch_execz .LBB171_29
; %bb.28:
	v_lshlrev_b32_e32 v3, 2, v2
	ds_read_b32 v37, v3
	v_and_b32_e32 v38, 7, v6
	v_cmp_ne_u32_e64 s[12:13], 0, v38
	s_waitcnt lgkmcnt(0)
	v_mov_b32_dpp v39, v37 row_shr:1 row_mask:0xf bank_mask:0xf
	v_cndmask_b32_e64 v39, 0, v39, s[12:13]
	v_add_u32_e32 v37, v39, v37
	v_cmp_lt_u32_e64 s[12:13], 1, v38
	s_nop 0
	v_mov_b32_dpp v39, v37 row_shr:2 row_mask:0xf bank_mask:0xf
	v_cndmask_b32_e64 v39, 0, v39, s[12:13]
	v_add_u32_e32 v37, v37, v39
	v_cmp_lt_u32_e64 s[12:13], 3, v38
	s_nop 0
	v_mov_b32_dpp v39, v37 row_shr:4 row_mask:0xf bank_mask:0xf
	v_cndmask_b32_e64 v38, 0, v39, s[12:13]
	v_add_u32_e32 v37, v37, v38
	ds_write_b32 v3, v37
.LBB171_29:
	s_or_b64 exec, exec, s[14:15]
	v_cmp_lt_u32_e64 s[12:13], 63, v2
	v_mov_b32_e32 v3, 0
	s_waitcnt lgkmcnt(0)
	s_barrier
	s_and_saveexec_b64 s[14:15], s[12:13]
	s_cbranch_execz .LBB171_31
; %bb.30:
	v_lshl_add_u32 v3, v36, 2, -4
	ds_read_b32 v3, v3
.LBB171_31:
	s_or_b64 exec, exec, s[14:15]
	v_add_u32_e32 v36, -1, v6
	v_and_b32_e32 v37, 64, v6
	v_cmp_lt_i32_e64 s[12:13], v36, v37
	v_cndmask_b32_e64 v36, v36, v6, s[12:13]
	s_waitcnt lgkmcnt(0)
	v_add_u32_e32 v35, v3, v35
	v_lshlrev_b32_e32 v36, 2, v36
	ds_bpermute_b32 v35, v36, v35
	v_cmp_eq_u32_e64 s[12:13], 0, v6
	s_waitcnt lgkmcnt(0)
	v_cndmask_b32_e64 v3, v35, v3, s[12:13]
	v_cmp_ne_u32_e64 s[12:13], 0, v2
	v_cndmask_b32_e64 v3, 0, v3, s[12:13]
	v_add_u32_e32 v10, v3, v10
	v_add_u32_e32 v11, v10, v11
	;; [unrolled: 1-line block ×4, first 2 shown]
	ds_write2_b32 v12, v3, v10 offset0:8 offset1:9
	ds_write2_b32 v25, v11, v8 offset0:2 offset1:3
	ds_write_b32 v25, v9 offset:16
	s_waitcnt lgkmcnt(0)
	s_barrier
	ds_read_b32 v3, v17 offset:32
	ds_read_b32 v10, v19 offset:32
	;; [unrolled: 1-line block ×6, first 2 shown]
	s_movk_i32 s12, 0x100
	v_cmp_gt_u32_e64 s[12:13], s12, v2
	v_pk_mov_b32 v[8:9], 0, 0
                                        ; implicit-def: $vgpr20
	s_and_saveexec_b64 s[16:17], s[12:13]
	s_cbranch_execz .LBB171_35
; %bb.32:
	v_mul_u32_u24_e32 v8, 9, v2
	v_lshlrev_b32_e32 v20, 2, v8
	ds_read_b32 v8, v20 offset:32
	s_movk_i32 s14, 0xff
	v_cmp_ne_u32_e64 s[14:15], s14, v2
	v_mov_b32_e32 v9, 0xc00
	s_and_saveexec_b64 s[18:19], s[14:15]
	s_cbranch_execz .LBB171_34
; %bb.33:
	ds_read_b32 v9, v20 offset:68
.LBB171_34:
	s_or_b64 exec, exec, s[18:19]
	s_waitcnt lgkmcnt(0)
	v_sub_u32_e32 v20, v9, v8
	v_mov_b32_e32 v9, 0
.LBB171_35:
	s_or_b64 exec, exec, s[16:17]
	s_waitcnt lgkmcnt(5)
	v_add_u32_e32 v25, v3, v7
	s_waitcnt lgkmcnt(4)
	v_add3_u32 v24, v15, v14, v10
	s_waitcnt lgkmcnt(3)
	v_add3_u32 v23, v21, v18, v11
	;; [unrolled: 2-line block ×5, first 2 shown]
	s_barrier
	ds_write_b8 v25, v5 offset:2048
	ds_write_b8 v24, v13 offset:2048
	;; [unrolled: 1-line block ×6, first 2 shown]
	s_waitcnt lgkmcnt(0)
	s_barrier
	s_and_saveexec_b64 s[16:17], s[12:13]
	s_cbranch_execz .LBB171_45
; %bb.36:
	v_lshl_or_b32 v10, s6, 8, v2
	v_mov_b32_e32 v11, 0
	v_lshlrev_b64 v[12:13], 2, v[10:11]
	v_mov_b32_e32 v5, s35
	v_add_co_u32_e64 v12, s[14:15], s34, v12
	v_addc_co_u32_e64 v13, s[14:15], v5, v13, s[14:15]
	v_or_b32_e32 v7, 2.0, v20
	global_store_dword v[12:13], v7, off
	s_mov_b64 s[18:19], 0
	s_brev_b32 s24, 1
	s_mov_b32 s25, s6
	v_mov_b32_e32 v7, 0
                                        ; implicit-def: $sgpr14_sgpr15
	s_branch .LBB171_38
.LBB171_37:                             ;   in Loop: Header=BB171_38 Depth=1
	s_or_b64 exec, exec, s[20:21]
	v_and_b32_e32 v14, 0x3fffffff, v16
	v_add_u32_e32 v7, v14, v7
	v_cmp_eq_u32_e64 s[14:15], s24, v10
	s_and_b64 s[20:21], exec, s[14:15]
	s_or_b64 s[18:19], s[20:21], s[18:19]
	s_andn2_b64 exec, exec, s[18:19]
	s_cbranch_execz .LBB171_44
.LBB171_38:                             ; =>This Loop Header: Depth=1
                                        ;     Child Loop BB171_41 Depth 2
	s_or_b64 s[14:15], s[14:15], exec
	s_cmp_eq_u32 s25, 0
	s_cbranch_scc1 .LBB171_43
; %bb.39:                               ;   in Loop: Header=BB171_38 Depth=1
	s_add_i32 s25, s25, -1
	v_lshl_or_b32 v10, s25, 8, v2
	v_lshlrev_b64 v[14:15], 2, v[10:11]
	v_add_co_u32_e64 v14, s[14:15], s34, v14
	v_addc_co_u32_e64 v15, s[14:15], v5, v15, s[14:15]
	global_load_dword v16, v[14:15], off glc
	s_waitcnt vmcnt(0)
	v_and_b32_e32 v10, -2.0, v16
	v_cmp_eq_u32_e64 s[14:15], 0, v10
	s_and_saveexec_b64 s[20:21], s[14:15]
	s_cbranch_execz .LBB171_37
; %bb.40:                               ;   in Loop: Header=BB171_38 Depth=1
	s_mov_b64 s[22:23], 0
.LBB171_41:                             ;   Parent Loop BB171_38 Depth=1
                                        ; =>  This Inner Loop Header: Depth=2
	global_load_dword v16, v[14:15], off glc
	s_waitcnt vmcnt(0)
	v_and_b32_e32 v10, -2.0, v16
	v_cmp_ne_u32_e64 s[14:15], 0, v10
	s_or_b64 s[22:23], s[14:15], s[22:23]
	s_andn2_b64 exec, exec, s[22:23]
	s_cbranch_execnz .LBB171_41
; %bb.42:                               ;   in Loop: Header=BB171_38 Depth=1
	s_or_b64 exec, exec, s[22:23]
	s_branch .LBB171_37
.LBB171_43:                             ;   in Loop: Header=BB171_38 Depth=1
                                        ; implicit-def: $sgpr25
	s_and_b64 s[20:21], exec, s[14:15]
	s_or_b64 s[18:19], s[20:21], s[18:19]
	s_andn2_b64 exec, exec, s[18:19]
	s_cbranch_execnz .LBB171_38
.LBB171_44:
	s_or_b64 exec, exec, s[18:19]
	v_add_u32_e32 v5, v7, v20
	v_or_b32_e32 v5, 0x80000000, v5
	global_store_dword v[12:13], v5, off
	v_lshlrev_b32_e32 v5, 3, v2
	global_load_dwordx2 v[10:11], v5, s[44:45]
	v_sub_co_u32_e64 v7, s[14:15], v7, v8
	v_subb_co_u32_e64 v12, s[14:15], 0, v9, s[14:15]
	s_waitcnt vmcnt(0)
	v_add_co_u32_e64 v10, s[14:15], v7, v10
	v_addc_co_u32_e64 v11, s[14:15], v12, v11, s[14:15]
	ds_write_b64 v5, v[10:11]
.LBB171_45:
	s_or_b64 exec, exec, s[16:17]
	v_cmp_gt_u32_e64 s[14:15], s33, v2
	s_waitcnt lgkmcnt(0)
	s_barrier
	s_and_saveexec_b64 s[18:19], s[14:15]
	s_cbranch_execz .LBB171_47
; %bb.46:
	ds_read_u8 v5, v2 offset:2048
	s_waitcnt lgkmcnt(0)
	v_and_b32_e32 v7, 1, v5
	v_lshrrev_b32_e32 v7, s48, v7
	v_and_b32_e32 v7, s52, v7
	v_lshlrev_b32_e32 v7, 3, v7
	ds_read_b64 v[10:11], v7
	v_mov_b32_e32 v7, s39
	v_xor_b32_e32 v5, 1, v5
	s_waitcnt lgkmcnt(0)
	v_add_co_u32_e64 v10, s[16:17], s38, v10
	v_addc_co_u32_e64 v7, s[16:17], v7, v11, s[16:17]
	v_add_co_u32_e64 v10, s[16:17], v10, v2
	v_addc_co_u32_e64 v11, s[16:17], 0, v7, s[16:17]
	global_store_byte v[10:11], v5, off
.LBB171_47:
	s_or_b64 exec, exec, s[18:19]
	v_add_u32_e32 v26, 0x200, v2
	v_cmp_gt_u32_e64 s[16:17], s33, v26
	s_and_saveexec_b64 s[20:21], s[16:17]
	s_cbranch_execz .LBB171_49
; %bb.48:
	ds_read_u8 v5, v2 offset:2560
	s_waitcnt lgkmcnt(0)
	v_and_b32_e32 v7, 1, v5
	v_lshrrev_b32_e32 v7, s48, v7
	v_and_b32_e32 v7, s52, v7
	v_lshlrev_b32_e32 v7, 3, v7
	ds_read_b64 v[10:11], v7
	v_mov_b32_e32 v7, s39
	v_xor_b32_e32 v5, 1, v5
	s_waitcnt lgkmcnt(0)
	v_add_co_u32_e64 v10, s[18:19], s38, v10
	v_addc_co_u32_e64 v7, s[18:19], v7, v11, s[18:19]
	v_add_co_u32_e64 v10, s[18:19], v10, v2
	v_addc_co_u32_e64 v11, s[18:19], 0, v7, s[18:19]
	global_store_byte v[10:11], v5, off offset:512
.LBB171_49:
	s_or_b64 exec, exec, s[20:21]
	v_or_b32_e32 v27, 0x400, v2
	v_cmp_gt_u32_e64 s[18:19], s33, v27
	s_and_saveexec_b64 s[22:23], s[18:19]
	s_cbranch_execz .LBB171_51
; %bb.50:
	ds_read_u8 v5, v2 offset:3072
	s_waitcnt lgkmcnt(0)
	v_and_b32_e32 v7, 1, v5
	v_lshrrev_b32_e32 v7, s48, v7
	v_and_b32_e32 v7, s52, v7
	v_lshlrev_b32_e32 v7, 3, v7
	ds_read_b64 v[10:11], v7
	v_mov_b32_e32 v7, s39
	v_xor_b32_e32 v5, 1, v5
	s_waitcnt lgkmcnt(0)
	v_add_co_u32_e64 v10, s[20:21], s38, v10
	v_addc_co_u32_e64 v7, s[20:21], v7, v11, s[20:21]
	v_add_co_u32_e64 v10, s[20:21], v10, v2
	v_addc_co_u32_e64 v11, s[20:21], 0, v7, s[20:21]
	global_store_byte v[10:11], v5, off offset:1024
.LBB171_51:
	s_or_b64 exec, exec, s[22:23]
	v_add_u32_e32 v28, 0x600, v2
	v_cmp_gt_u32_e64 s[20:21], s33, v28
	s_and_saveexec_b64 s[24:25], s[20:21]
	s_cbranch_execz .LBB171_53
; %bb.52:
	ds_read_u8 v5, v2 offset:3584
	s_waitcnt lgkmcnt(0)
	v_and_b32_e32 v7, 1, v5
	v_lshrrev_b32_e32 v7, s48, v7
	v_and_b32_e32 v7, s52, v7
	v_lshlrev_b32_e32 v7, 3, v7
	ds_read_b64 v[10:11], v7
	v_mov_b32_e32 v7, s39
	v_xor_b32_e32 v5, 1, v5
	s_waitcnt lgkmcnt(0)
	v_add_co_u32_e64 v10, s[22:23], s38, v10
	v_addc_co_u32_e64 v7, s[22:23], v7, v11, s[22:23]
	v_add_co_u32_e64 v10, s[22:23], v10, v2
	v_addc_co_u32_e64 v11, s[22:23], 0, v7, s[22:23]
	global_store_byte v[10:11], v5, off offset:1536
.LBB171_53:
	s_or_b64 exec, exec, s[24:25]
	v_or_b32_e32 v29, 0x800, v2
	v_cmp_gt_u32_e64 s[22:23], s33, v29
	s_and_saveexec_b64 s[28:29], s[22:23]
	s_cbranch_execz .LBB171_55
; %bb.54:
	ds_read_u8 v5, v2 offset:4096
	s_waitcnt lgkmcnt(0)
	v_and_b32_e32 v7, 1, v5
	v_lshrrev_b32_e32 v7, s48, v7
	v_and_b32_e32 v7, s52, v7
	v_lshlrev_b32_e32 v7, 3, v7
	ds_read_b64 v[10:11], v7
	v_mov_b32_e32 v7, s39
	v_xor_b32_e32 v5, 1, v5
	s_waitcnt lgkmcnt(0)
	v_add_co_u32_e64 v10, s[24:25], s38, v10
	v_addc_co_u32_e64 v7, s[24:25], v7, v11, s[24:25]
	v_add_co_u32_e64 v10, s[24:25], v10, v2
	v_addc_co_u32_e64 v11, s[24:25], 0, v7, s[24:25]
	global_store_byte v[10:11], v5, off offset:2048
.LBB171_55:
	s_or_b64 exec, exec, s[28:29]
	v_add_u32_e32 v30, 0xa00, v2
	v_cmp_gt_u32_e64 s[24:25], s33, v30
	s_and_saveexec_b64 s[50:51], s[24:25]
	s_cbranch_execz .LBB171_57
; %bb.56:
	ds_read_u8 v5, v2 offset:4608
	s_waitcnt lgkmcnt(0)
	v_and_b32_e32 v7, 1, v5
	v_lshrrev_b32_e32 v7, s48, v7
	v_and_b32_e32 v7, s52, v7
	v_lshlrev_b32_e32 v7, 3, v7
	ds_read_b64 v[10:11], v7
	v_mov_b32_e32 v7, s39
	v_xor_b32_e32 v5, 1, v5
	s_waitcnt lgkmcnt(0)
	v_add_co_u32_e64 v10, s[28:29], s38, v10
	v_addc_co_u32_e64 v7, s[28:29], v7, v11, s[28:29]
	v_add_co_u32_e64 v10, s[28:29], v10, v2
	v_addc_co_u32_e64 v11, s[28:29], 0, v7, s[28:29]
	global_store_byte v[10:11], v5, off offset:2560
.LBB171_57:
	s_or_b64 exec, exec, s[50:51]
	s_lshl_b64 s[28:29], s[30:31], 3
	s_add_u32 s28, s40, s28
	s_addc_u32 s29, s41, s29
	v_lshlrev_b32_e32 v5, 3, v6
	v_mov_b32_e32 v6, s29
	v_add_co_u32_e64 v5, s[28:29], s28, v5
	v_addc_co_u32_e64 v6, s[28:29], 0, v6, s[28:29]
	v_lshlrev_b32_e32 v4, 3, v4
	v_add_co_u32_e64 v18, s[28:29], v5, v4
	v_addc_co_u32_e64 v19, s[28:29], 0, v6, s[28:29]
                                        ; implicit-def: $vgpr4_vgpr5
	s_and_saveexec_b64 s[28:29], vcc
	s_xor_b64 s[28:29], exec, s[28:29]
	s_cbranch_execnz .LBB171_127
; %bb.58:
	s_or_b64 exec, exec, s[28:29]
                                        ; implicit-def: $vgpr6_vgpr7
	s_and_saveexec_b64 s[28:29], s[0:1]
	s_cbranch_execnz .LBB171_128
.LBB171_59:
	s_or_b64 exec, exec, s[28:29]
                                        ; implicit-def: $vgpr10_vgpr11
	s_and_saveexec_b64 s[0:1], s[2:3]
	s_cbranch_execnz .LBB171_129
.LBB171_60:
	s_or_b64 exec, exec, s[0:1]
                                        ; implicit-def: $vgpr12_vgpr13
	s_and_saveexec_b64 s[0:1], s[26:27]
	s_cbranch_execnz .LBB171_130
.LBB171_61:
	s_or_b64 exec, exec, s[0:1]
                                        ; implicit-def: $vgpr14_vgpr15
	s_and_saveexec_b64 s[0:1], s[8:9]
	s_cbranch_execnz .LBB171_131
.LBB171_62:
	s_or_b64 exec, exec, s[0:1]
                                        ; implicit-def: $vgpr16_vgpr17
	s_and_saveexec_b64 s[0:1], s[10:11]
	s_cbranch_execz .LBB171_64
.LBB171_63:
	global_load_dwordx2 v[16:17], v[18:19], off offset:2560
.LBB171_64:
	s_or_b64 exec, exec, s[0:1]
	v_mov_b32_e32 v32, 0
	v_mov_b32_e32 v34, 0
	s_and_saveexec_b64 s[0:1], s[14:15]
	s_cbranch_execz .LBB171_66
; %bb.65:
	ds_read_u8 v18, v2 offset:2048
	s_waitcnt lgkmcnt(0)
	v_lshrrev_b32_e32 v18, s48, v18
	v_and_b32_e32 v34, s52, v18
.LBB171_66:
	s_or_b64 exec, exec, s[0:1]
	s_and_saveexec_b64 s[0:1], s[16:17]
	s_cbranch_execz .LBB171_68
; %bb.67:
	ds_read_u8 v18, v2 offset:2560
	s_waitcnt lgkmcnt(0)
	v_lshrrev_b32_e32 v18, s48, v18
	v_and_b32_e32 v32, s52, v18
.LBB171_68:
	s_or_b64 exec, exec, s[0:1]
	v_mov_b32_e32 v19, 0
	v_mov_b32_e32 v33, 0
	s_and_saveexec_b64 s[0:1], s[18:19]
	s_cbranch_execz .LBB171_70
; %bb.69:
	ds_read_u8 v18, v2 offset:3072
	s_waitcnt lgkmcnt(0)
	v_lshrrev_b32_e32 v18, s48, v18
	v_and_b32_e32 v33, s52, v18
.LBB171_70:
	s_or_b64 exec, exec, s[0:1]
	s_and_saveexec_b64 s[0:1], s[20:21]
	s_cbranch_execz .LBB171_72
; %bb.71:
	ds_read_u8 v18, v2 offset:3584
	s_waitcnt lgkmcnt(0)
	v_lshrrev_b32_e32 v18, s48, v18
	v_and_b32_e32 v19, s52, v18
.LBB171_72:
	;; [unrolled: 20-line block ×3, first 2 shown]
	s_or_b64 exec, exec, s[0:1]
	v_lshlrev_b32_e32 v25, 3, v25
	s_barrier
	s_waitcnt vmcnt(0)
	ds_write_b64 v25, v[4:5] offset:2048
	v_lshlrev_b32_e32 v4, 3, v24
	ds_write_b64 v4, v[6:7] offset:2048
	v_lshlrev_b32_e32 v4, 3, v23
	;; [unrolled: 2-line block ×4, first 2 shown]
	v_lshlrev_b32_e32 v3, 3, v3
	ds_write_b64 v4, v[14:15] offset:2048
	ds_write_b64 v3, v[16:17] offset:2048
	v_lshlrev_b32_e32 v3, 3, v2
	s_waitcnt lgkmcnt(0)
	s_barrier
	s_and_saveexec_b64 s[0:1], s[14:15]
	s_cbranch_execnz .LBB171_132
; %bb.77:
	s_or_b64 exec, exec, s[0:1]
	s_and_saveexec_b64 s[0:1], s[16:17]
	s_cbranch_execnz .LBB171_133
.LBB171_78:
	s_or_b64 exec, exec, s[0:1]
	s_and_saveexec_b64 s[0:1], s[18:19]
	s_cbranch_execnz .LBB171_134
.LBB171_79:
	s_or_b64 exec, exec, s[0:1]
	s_and_saveexec_b64 s[0:1], s[20:21]
	s_cbranch_execnz .LBB171_135
.LBB171_80:
	s_or_b64 exec, exec, s[0:1]
	s_and_saveexec_b64 s[0:1], s[22:23]
	s_cbranch_execnz .LBB171_136
.LBB171_81:
	s_or_b64 exec, exec, s[0:1]
	s_and_saveexec_b64 s[0:1], s[24:25]
	s_cbranch_execz .LBB171_83
.LBB171_82:
	v_lshlrev_b32_e32 v4, 3, v18
	ds_read_b64 v[4:5], v4
	ds_read_b64 v[6:7], v3 offset:22528
	v_mov_b32_e32 v3, s43
	s_waitcnt lgkmcnt(1)
	v_lshlrev_b64 v[4:5], 3, v[4:5]
	v_add_co_u32_e32 v4, vcc, s42, v4
	v_addc_co_u32_e32 v3, vcc, v3, v5, vcc
	v_lshlrev_b32_e32 v5, 3, v30
	v_add_co_u32_e32 v4, vcc, v4, v5
	v_addc_co_u32_e32 v5, vcc, 0, v3, vcc
	s_waitcnt lgkmcnt(0)
	global_store_dwordx2 v[4:5], v[6:7], off
.LBB171_83:
	s_or_b64 exec, exec, s[0:1]
	s_add_i32 s7, s7, -1
	s_cmp_eq_u32 s6, s7
	s_cselect_b64 s[0:1], -1, 0
	s_and_b64 s[2:3], s[12:13], s[0:1]
	s_mov_b64 s[0:1], 0
	s_mov_b64 s[8:9], 0
                                        ; implicit-def: $vgpr4_vgpr5
	s_and_saveexec_b64 s[10:11], s[2:3]
	s_xor_b64 s[2:3], exec, s[10:11]
; %bb.84:
	v_add_co_u32_e32 v4, vcc, v8, v20
	s_mov_b64 s[8:9], exec
	v_mov_b32_e32 v3, 0
	v_addc_co_u32_e32 v5, vcc, 0, v9, vcc
; %bb.85:
	s_or_b64 exec, exec, s[2:3]
	s_and_b64 vcc, exec, s[0:1]
	s_cbranch_vccnz .LBB171_87
	s_branch .LBB171_124
.LBB171_86:
	s_mov_b64 s[8:9], 0
                                        ; implicit-def: $vgpr4_vgpr5
                                        ; implicit-def: $vgpr2_vgpr3
	s_cbranch_execz .LBB171_124
.LBB171_87:
	s_add_u32 s0, s36, s30
	v_and_b32_e32 v2, 0x3ff, v0
	s_addc_u32 s1, s37, 0
	v_mbcnt_hi_u32_b32 v6, -1, v1
	v_and_b32_e32 v12, 0x1c0, v2
	v_mov_b32_e32 v1, s1
	v_add_co_u32_e32 v3, vcc, s0, v6
	v_mul_u32_u24_e32 v4, 6, v12
	v_addc_co_u32_e32 v1, vcc, 0, v1, vcc
	v_add_co_u32_e32 v16, vcc, v3, v4
	v_addc_co_u32_e32 v17, vcc, 0, v1, vcc
	global_load_ubyte v1, v[16:17], off
	s_load_dword s7, s[4:5], 0x50
	s_load_dword s2, s[4:5], 0x5c
	v_mov_b32_e32 v3, 0
	global_load_ubyte v10, v[16:17], off offset:64
	global_load_ubyte v15, v[16:17], off offset:128
	;; [unrolled: 1-line block ×5, first 2 shown]
	v_mul_u32_u24_e32 v5, 5, v2
	v_lshlrev_b32_e32 v7, 2, v5
	s_mov_b32 s31, 0
	s_waitcnt vmcnt(5)
	v_and_b32_e32 v1, 1, v1
	v_cmp_eq_u32_e32 vcc, 1, v1
	s_xor_b64 s[0:1], vcc, -1
	s_add_u32 s3, s4, 0x50
	s_addc_u32 s4, s5, 0
	s_waitcnt lgkmcnt(0)
	s_lshr_b32 s5, s2, 16
	s_cmp_lt_u32 s6, s7
	s_cselect_b32 s2, 12, 18
	s_add_u32 s2, s3, s2
	s_addc_u32 s3, s4, 0
	global_load_ushort v11, v3, s[2:3]
	ds_write2_b32 v7, v3, v3 offset0:8 offset1:9
	ds_write2_b32 v7, v3, v3 offset0:10 offset1:11
	ds_write_b32 v7, v3 offset:48
	v_cndmask_b32_e64 v3, 0, 1, s[0:1]
	s_lshl_b32 s0, -1, s49
	v_bfe_u32 v1, v0, 10, 10
	v_bfe_u32 v0, v0, 20, 10
	v_lshrrev_b32_e32 v5, s48, v3
	s_not_b32 s14, s0
	v_mad_u32_u24 v13, v0, s5, v1
	v_and_b32_e32 v0, s14, v5
	v_mul_u32_u24_e32 v14, 9, v0
	v_cmp_ne_u32_e32 vcc, 0, v0
	v_add_co_u32_e64 v0, s[0:1], -1, v0
	v_addc_co_u32_e64 v1, s[0:1], 0, -1, s[0:1]
	v_xor_b32_e32 v0, vcc_lo, v0
	v_xor_b32_e32 v1, vcc_hi, v1
	v_and_b32_e32 v0, exec_lo, v0
	v_and_b32_e32 v1, exec_hi, v1
	v_mbcnt_lo_u32_b32 v5, v0, 0
	v_mbcnt_hi_u32_b32 v5, v1, v5
	v_cmp_ne_u64_e32 vcc, 0, v[0:1]
	v_cmp_eq_u32_e64 s[0:1], 0, v5
	s_waitcnt lgkmcnt(0)
	s_barrier
	s_waitcnt lgkmcnt(0)
	; wave barrier
	s_waitcnt vmcnt(0)
	v_mad_u64_u32 v[16:17], s[2:3], v13, v11, v[2:3]
	v_lshrrev_b32_e32 v28, 6, v16
	v_add_lshl_u32 v14, v28, v14, 2
	s_and_b64 s[2:3], vcc, s[0:1]
	s_and_saveexec_b64 s[0:1], s[2:3]
	s_cbranch_execz .LBB171_89
; %bb.88:
	v_bcnt_u32_b32 v0, v0, 0
	v_bcnt_u32_b32 v0, v1, v0
	ds_write_b32 v14, v0 offset:32
.LBB171_89:
	s_or_b64 exec, exec, s[0:1]
	v_and_b32_e32 v0, 1, v10
	v_cmp_eq_u32_e32 vcc, 1, v0
	s_xor_b64 s[0:1], vcc, -1
	v_cndmask_b32_e64 v10, 0, 1, s[0:1]
	v_lshrrev_b32_e32 v0, s48, v10
	v_and_b32_e32 v0, s14, v0
	v_mul_u32_u24_e32 v1, 9, v0
	v_cmp_ne_u32_e32 vcc, 0, v0
	v_add_co_u32_e64 v0, s[0:1], -1, v0
	v_add_lshl_u32 v16, v28, v1, 2
	v_addc_co_u32_e64 v1, s[0:1], 0, -1, s[0:1]
	v_xor_b32_e32 v0, vcc_lo, v0
	; wave barrier
	ds_read_b32 v11, v16 offset:32
	v_xor_b32_e32 v1, vcc_hi, v1
	v_and_b32_e32 v0, exec_lo, v0
	v_and_b32_e32 v1, exec_hi, v1
	v_mbcnt_lo_u32_b32 v13, v0, 0
	v_mbcnt_hi_u32_b32 v13, v1, v13
	v_cmp_eq_u32_e32 vcc, 0, v13
	v_cmp_ne_u64_e64 s[0:1], 0, v[0:1]
	s_and_b64 s[2:3], s[0:1], vcc
	; wave barrier
	s_and_saveexec_b64 s[0:1], s[2:3]
	s_cbranch_execz .LBB171_91
; %bb.90:
	v_bcnt_u32_b32 v0, v0, 0
	v_bcnt_u32_b32 v0, v1, v0
	s_waitcnt lgkmcnt(0)
	v_add_u32_e32 v0, v11, v0
	ds_write_b32 v16, v0 offset:32
.LBB171_91:
	s_or_b64 exec, exec, s[0:1]
	v_and_b32_e32 v0, 1, v15
	v_cmp_eq_u32_e32 vcc, 1, v0
	s_xor_b64 s[0:1], vcc, -1
	v_cndmask_b32_e64 v19, 0, 1, s[0:1]
	v_lshrrev_b32_e32 v0, s48, v19
	v_and_b32_e32 v0, s14, v0
	v_mul_u32_u24_e32 v1, 9, v0
	v_cmp_ne_u32_e32 vcc, 0, v0
	v_add_co_u32_e64 v0, s[0:1], -1, v0
	v_add_lshl_u32 v17, v28, v1, 2
	v_addc_co_u32_e64 v1, s[0:1], 0, -1, s[0:1]
	v_xor_b32_e32 v0, vcc_lo, v0
	; wave barrier
	ds_read_b32 v15, v17 offset:32
	v_xor_b32_e32 v1, vcc_hi, v1
	v_and_b32_e32 v0, exec_lo, v0
	v_and_b32_e32 v1, exec_hi, v1
	v_mbcnt_lo_u32_b32 v20, v0, 0
	v_mbcnt_hi_u32_b32 v20, v1, v20
	v_cmp_eq_u32_e32 vcc, 0, v20
	v_cmp_ne_u64_e64 s[0:1], 0, v[0:1]
	s_and_b64 s[2:3], s[0:1], vcc
	; wave barrier
	s_and_saveexec_b64 s[0:1], s[2:3]
	s_cbranch_execz .LBB171_93
; %bb.92:
	v_bcnt_u32_b32 v0, v0, 0
	v_bcnt_u32_b32 v0, v1, v0
	s_waitcnt lgkmcnt(0)
	v_add_u32_e32 v0, v15, v0
	ds_write_b32 v17, v0 offset:32
.LBB171_93:
	;; [unrolled: 33-line block ×4, first 2 shown]
	s_or_b64 exec, exec, s[0:1]
	v_and_b32_e32 v0, 1, v8
	v_cmp_eq_u32_e32 vcc, 1, v0
	s_xor_b64 s[0:1], vcc, -1
	v_cndmask_b32_e64 v27, 0, 1, s[0:1]
	v_lshrrev_b32_e32 v0, s48, v27
	v_and_b32_e32 v0, s14, v0
	v_mul_u32_u24_e32 v1, 9, v0
	v_cmp_ne_u32_e32 vcc, 0, v0
	v_add_co_u32_e64 v0, s[0:1], -1, v0
	v_add_lshl_u32 v32, v28, v1, 2
	v_addc_co_u32_e64 v1, s[0:1], 0, -1, s[0:1]
	v_xor_b32_e32 v0, vcc_lo, v0
	; wave barrier
	ds_read_b32 v28, v32 offset:32
	v_xor_b32_e32 v1, vcc_hi, v1
	v_and_b32_e32 v0, exec_lo, v0
	v_and_b32_e32 v1, exec_hi, v1
	v_mbcnt_lo_u32_b32 v8, v0, 0
	v_mbcnt_hi_u32_b32 v30, v1, v8
	v_cmp_eq_u32_e32 vcc, 0, v30
	v_cmp_ne_u64_e64 s[0:1], 0, v[0:1]
	v_add_u32_e32 v31, 32, v7
	s_and_b64 s[2:3], s[0:1], vcc
	; wave barrier
	s_and_saveexec_b64 s[0:1], s[2:3]
	s_cbranch_execz .LBB171_99
; %bb.98:
	v_bcnt_u32_b32 v0, v0, 0
	v_bcnt_u32_b32 v0, v1, v0
	s_waitcnt lgkmcnt(0)
	v_add_u32_e32 v0, v28, v0
	ds_write_b32 v32, v0 offset:32
.LBB171_99:
	s_or_b64 exec, exec, s[0:1]
	; wave barrier
	s_waitcnt lgkmcnt(0)
	s_barrier
	ds_read2_b32 v[8:9], v7 offset0:8 offset1:9
	ds_read2_b32 v[0:1], v31 offset0:2 offset1:3
	ds_read_b32 v33, v31 offset:16
	v_min_u32_e32 v12, 0x1c0, v12
	v_or_b32_e32 v12, 63, v12
	s_waitcnt lgkmcnt(1)
	v_add3_u32 v34, v9, v8, v0
	s_waitcnt lgkmcnt(0)
	v_add3_u32 v33, v34, v1, v33
	v_and_b32_e32 v34, 15, v6
	v_cmp_ne_u32_e32 vcc, 0, v34
	v_mov_b32_dpp v35, v33 row_shr:1 row_mask:0xf bank_mask:0xf
	v_cndmask_b32_e32 v35, 0, v35, vcc
	v_add_u32_e32 v33, v35, v33
	v_cmp_lt_u32_e32 vcc, 1, v34
	s_nop 0
	v_mov_b32_dpp v35, v33 row_shr:2 row_mask:0xf bank_mask:0xf
	v_cndmask_b32_e32 v35, 0, v35, vcc
	v_add_u32_e32 v33, v33, v35
	v_cmp_lt_u32_e32 vcc, 3, v34
	s_nop 0
	;; [unrolled: 5-line block ×3, first 2 shown]
	v_mov_b32_dpp v35, v33 row_shr:8 row_mask:0xf bank_mask:0xf
	v_cndmask_b32_e32 v34, 0, v35, vcc
	v_add_u32_e32 v33, v33, v34
	v_bfe_i32 v35, v6, 4, 1
	v_cmp_lt_u32_e32 vcc, 31, v6
	v_mov_b32_dpp v34, v33 row_bcast:15 row_mask:0xf bank_mask:0xf
	v_and_b32_e32 v34, v35, v34
	v_add_u32_e32 v33, v33, v34
	s_nop 1
	v_mov_b32_dpp v34, v33 row_bcast:31 row_mask:0xf bank_mask:0xf
	v_cndmask_b32_e32 v34, 0, v34, vcc
	v_add_u32_e32 v33, v33, v34
	v_lshrrev_b32_e32 v34, 6, v2
	v_cmp_eq_u32_e32 vcc, v12, v2
	s_and_saveexec_b64 s[0:1], vcc
	s_cbranch_execz .LBB171_101
; %bb.100:
	v_lshlrev_b32_e32 v12, 2, v34
	ds_write_b32 v12, v33
.LBB171_101:
	s_or_b64 exec, exec, s[0:1]
	v_cmp_gt_u32_e32 vcc, 8, v2
	s_waitcnt lgkmcnt(0)
	s_barrier
	s_and_saveexec_b64 s[0:1], vcc
	s_cbranch_execz .LBB171_103
; %bb.102:
	v_lshlrev_b32_e32 v12, 2, v2
	ds_read_b32 v35, v12
	v_and_b32_e32 v36, 7, v6
	v_cmp_ne_u32_e32 vcc, 0, v36
	s_waitcnt lgkmcnt(0)
	v_mov_b32_dpp v37, v35 row_shr:1 row_mask:0xf bank_mask:0xf
	v_cndmask_b32_e32 v37, 0, v37, vcc
	v_add_u32_e32 v35, v37, v35
	v_cmp_lt_u32_e32 vcc, 1, v36
	s_nop 0
	v_mov_b32_dpp v37, v35 row_shr:2 row_mask:0xf bank_mask:0xf
	v_cndmask_b32_e32 v37, 0, v37, vcc
	v_add_u32_e32 v35, v35, v37
	v_cmp_lt_u32_e32 vcc, 3, v36
	s_nop 0
	v_mov_b32_dpp v37, v35 row_shr:4 row_mask:0xf bank_mask:0xf
	v_cndmask_b32_e32 v36, 0, v37, vcc
	v_add_u32_e32 v35, v35, v36
	ds_write_b32 v12, v35
.LBB171_103:
	s_or_b64 exec, exec, s[0:1]
	v_cmp_lt_u32_e32 vcc, 63, v2
	v_mov_b32_e32 v12, 0
	s_waitcnt lgkmcnt(0)
	s_barrier
	s_and_saveexec_b64 s[0:1], vcc
	s_cbranch_execz .LBB171_105
; %bb.104:
	v_lshl_add_u32 v12, v34, 2, -4
	ds_read_b32 v12, v12
.LBB171_105:
	s_or_b64 exec, exec, s[0:1]
	v_add_u32_e32 v34, -1, v6
	v_and_b32_e32 v35, 64, v6
	v_cmp_lt_i32_e32 vcc, v34, v35
	v_cndmask_b32_e32 v34, v34, v6, vcc
	s_waitcnt lgkmcnt(0)
	v_add_u32_e32 v33, v12, v33
	v_lshlrev_b32_e32 v34, 2, v34
	ds_bpermute_b32 v33, v34, v33
	v_cmp_eq_u32_e32 vcc, 0, v6
	s_movk_i32 s2, 0xff
	s_movk_i32 s3, 0x100
	v_cmp_lt_u32_e64 s[0:1], s2, v2
	s_waitcnt lgkmcnt(0)
	v_cndmask_b32_e32 v12, v33, v12, vcc
	v_cmp_ne_u32_e32 vcc, 0, v2
	v_cndmask_b32_e32 v12, 0, v12, vcc
	v_add_u32_e32 v8, v12, v8
	v_add_u32_e32 v9, v8, v9
	;; [unrolled: 1-line block ×4, first 2 shown]
	ds_write2_b32 v7, v12, v8 offset0:8 offset1:9
	ds_write2_b32 v31, v9, v0 offset0:2 offset1:3
	ds_write_b32 v31, v1 offset:16
	s_waitcnt lgkmcnt(0)
	s_barrier
	ds_read_b32 v8, v14 offset:32
	ds_read_b32 v9, v16 offset:32
	;; [unrolled: 1-line block ×6, first 2 shown]
	v_cmp_gt_u32_e32 vcc, s3, v2
	v_pk_mov_b32 v[0:1], 0, 0
                                        ; implicit-def: $vgpr7
	s_and_saveexec_b64 s[4:5], vcc
	s_cbranch_execz .LBB171_109
; %bb.106:
	v_mul_u32_u24_e32 v0, 9, v2
	v_lshlrev_b32_e32 v7, 2, v0
	ds_read_b32 v0, v7 offset:32
	v_cmp_ne_u32_e64 s[2:3], s2, v2
	v_mov_b32_e32 v1, 0xc00
	s_and_saveexec_b64 s[10:11], s[2:3]
	s_cbranch_execz .LBB171_108
; %bb.107:
	ds_read_b32 v1, v7 offset:68
.LBB171_108:
	s_or_b64 exec, exec, s[10:11]
	s_waitcnt lgkmcnt(0)
	v_sub_u32_e32 v7, v1, v0
	v_mov_b32_e32 v1, 0
.LBB171_109:
	s_or_b64 exec, exec, s[4:5]
	s_waitcnt lgkmcnt(5)
	v_add_u32_e32 v18, v8, v5
	s_waitcnt lgkmcnt(4)
	v_add3_u32 v17, v13, v11, v9
	s_waitcnt lgkmcnt(3)
	v_add3_u32 v16, v20, v15, v12
	;; [unrolled: 2-line block ×5, first 2 shown]
	s_barrier
	ds_write_b8 v18, v3 offset:2048
	ds_write_b8 v17, v10 offset:2048
	;; [unrolled: 1-line block ×6, first 2 shown]
	s_waitcnt lgkmcnt(0)
	s_barrier
	s_and_saveexec_b64 s[2:3], s[0:1]
	s_xor_b64 s[0:1], exec, s[2:3]
; %bb.110:
	v_mov_b32_e32 v3, 0
; %bb.111:
	s_andn2_saveexec_b64 s[2:3], s[0:1]
	s_cbranch_execz .LBB171_121
; %bb.112:
	v_lshl_or_b32 v8, s6, 8, v2
	v_mov_b32_e32 v9, 0
	v_lshlrev_b64 v[10:11], 2, v[8:9]
	v_mov_b32_e32 v3, s35
	v_add_co_u32_e64 v10, s[0:1], s34, v10
	v_addc_co_u32_e64 v11, s[0:1], v3, v11, s[0:1]
	v_or_b32_e32 v8, 2.0, v7
	s_mov_b64 s[4:5], 0
	s_brev_b32 s15, 1
	s_mov_b32 s16, s6
	v_mov_b32_e32 v19, 0
	global_store_dword v[10:11], v8, off
                                        ; implicit-def: $sgpr0_sgpr1
	s_branch .LBB171_115
.LBB171_113:                            ;   in Loop: Header=BB171_115 Depth=1
	s_or_b64 exec, exec, s[12:13]
.LBB171_114:                            ;   in Loop: Header=BB171_115 Depth=1
	s_or_b64 exec, exec, s[10:11]
	v_and_b32_e32 v12, 0x3fffffff, v20
	v_add_u32_e32 v19, v12, v19
	v_cmp_eq_u32_e64 s[0:1], s15, v8
	s_and_b64 s[10:11], exec, s[0:1]
	s_or_b64 s[4:5], s[10:11], s[4:5]
	s_andn2_b64 exec, exec, s[4:5]
	s_cbranch_execz .LBB171_120
.LBB171_115:                            ; =>This Loop Header: Depth=1
                                        ;     Child Loop BB171_118 Depth 2
	s_or_b64 s[0:1], s[0:1], exec
	s_cmp_eq_u32 s16, 0
	s_cbranch_scc1 .LBB171_119
; %bb.116:                              ;   in Loop: Header=BB171_115 Depth=1
	s_add_i32 s16, s16, -1
	v_lshl_or_b32 v8, s16, 8, v2
	v_lshlrev_b64 v[12:13], 2, v[8:9]
	v_add_co_u32_e64 v12, s[0:1], s34, v12
	v_addc_co_u32_e64 v13, s[0:1], v3, v13, s[0:1]
	global_load_dword v20, v[12:13], off glc
	s_waitcnt vmcnt(0)
	v_and_b32_e32 v8, -2.0, v20
	v_cmp_eq_u32_e64 s[0:1], 0, v8
	s_and_saveexec_b64 s[10:11], s[0:1]
	s_cbranch_execz .LBB171_114
; %bb.117:                              ;   in Loop: Header=BB171_115 Depth=1
	s_mov_b64 s[12:13], 0
.LBB171_118:                            ;   Parent Loop BB171_115 Depth=1
                                        ; =>  This Inner Loop Header: Depth=2
	global_load_dword v20, v[12:13], off glc
	s_waitcnt vmcnt(0)
	v_and_b32_e32 v8, -2.0, v20
	v_cmp_ne_u32_e64 s[0:1], 0, v8
	s_or_b64 s[12:13], s[0:1], s[12:13]
	s_andn2_b64 exec, exec, s[12:13]
	s_cbranch_execnz .LBB171_118
	s_branch .LBB171_113
.LBB171_119:                            ;   in Loop: Header=BB171_115 Depth=1
                                        ; implicit-def: $sgpr16
	s_and_b64 s[10:11], exec, s[0:1]
	s_or_b64 s[4:5], s[10:11], s[4:5]
	s_andn2_b64 exec, exec, s[4:5]
	s_cbranch_execnz .LBB171_115
.LBB171_120:
	s_or_b64 exec, exec, s[4:5]
	v_add_u32_e32 v3, v19, v7
	v_or_b32_e32 v3, 0x80000000, v3
	global_store_dword v[10:11], v3, off
	v_lshlrev_b32_e32 v10, 3, v2
	global_load_dwordx2 v[8:9], v10, s[44:45]
	v_sub_co_u32_e64 v11, s[0:1], v19, v0
	v_subb_co_u32_e64 v12, s[0:1], 0, v1, s[0:1]
	v_mov_b32_e32 v3, 0
	s_waitcnt vmcnt(0)
	v_add_co_u32_e64 v8, s[0:1], v11, v8
	v_addc_co_u32_e64 v9, s[0:1], v12, v9, s[0:1]
	ds_write_b64 v10, v[8:9]
.LBB171_121:
	s_or_b64 exec, exec, s[2:3]
	s_waitcnt lgkmcnt(0)
	s_barrier
	ds_read_u8 v8, v2 offset:2048
	ds_read_u8 v19, v2 offset:2560
	;; [unrolled: 1-line block ×6, first 2 shown]
	s_waitcnt lgkmcnt(5)
	v_and_b32_e32 v9, 1, v8
	v_xor_b32_e32 v30, 1, v8
	s_waitcnt lgkmcnt(4)
	v_and_b32_e32 v8, 1, v19
	v_lshrrev_b32_e32 v8, s48, v8
	v_and_b32_e32 v8, s14, v8
	v_lshlrev_b32_e32 v37, 3, v8
	s_waitcnt lgkmcnt(3)
	v_and_b32_e32 v8, 1, v32
	v_lshrrev_b32_e32 v8, s48, v8
	v_and_b32_e32 v8, s14, v8
	v_lshrrev_b32_e32 v9, s48, v9
	v_lshlrev_b32_e32 v38, 3, v8
	s_waitcnt lgkmcnt(2)
	v_and_b32_e32 v8, 1, v33
	v_and_b32_e32 v9, s14, v9
	v_lshrrev_b32_e32 v8, s48, v8
	v_lshlrev_b32_e32 v36, 3, v9
	v_and_b32_e32 v8, s14, v8
	v_lshlrev_b32_e32 v39, 3, v8
	ds_read_b64 v[8:9], v36
	ds_read_b64 v[10:11], v37
	;; [unrolled: 1-line block ×4, first 2 shown]
	v_mov_b32_e32 v22, s39
	s_waitcnt lgkmcnt(3)
	v_add_co_u32_e64 v26, s[0:1], s38, v8
	v_addc_co_u32_e64 v27, s[0:1], v22, v9, s[0:1]
	s_lshl_b64 s[0:1], s[30:31], 3
	s_add_u32 s0, s40, s0
	s_addc_u32 s1, s41, s1
	v_lshlrev_b32_e32 v6, 3, v6
	v_mov_b32_e32 v8, s1
	v_add_co_u32_e64 v6, s[0:1], s0, v6
	v_addc_co_u32_e64 v9, s[0:1], 0, v8, s[0:1]
	v_lshlrev_b32_e32 v4, 3, v4
	v_add_co_u32_e64 v8, s[0:1], v6, v4
	v_addc_co_u32_e64 v9, s[0:1], 0, v9, s[0:1]
	global_load_dwordx2 v[22:23], v[8:9], off
	global_load_dwordx2 v[24:25], v[8:9], off offset:512
	v_add_co_u32_e64 v26, s[0:1], v26, v2
	v_addc_co_u32_e64 v27, s[0:1], v27, v3, s[0:1]
	global_load_dwordx2 v[28:29], v[8:9], off offset:1024
	v_xor_b32_e32 v4, 1, v19
	global_store_byte v[26:27], v30, off
	global_load_dwordx2 v[26:27], v[8:9], off offset:1536
	v_mov_b32_e32 v19, s39
	global_load_dwordx2 v[30:31], v[8:9], off offset:2048
	s_waitcnt lgkmcnt(2)
	v_add_co_u32_e64 v10, s[0:1], s38, v10
	global_load_dwordx2 v[8:9], v[8:9], off offset:2560
	v_addc_co_u32_e64 v11, s[0:1], v19, v11, s[0:1]
	v_add_co_u32_e64 v10, s[0:1], v10, v2
	v_addc_co_u32_e64 v11, s[0:1], v11, v3, s[0:1]
	global_store_byte v[10:11], v4, off offset:512
	v_mov_b32_e32 v10, s39
	s_waitcnt lgkmcnt(1)
	v_add_co_u32_e64 v11, s[0:1], s38, v12
	v_addc_co_u32_e64 v12, s[0:1], v10, v13, s[0:1]
	v_add_co_u32_e64 v10, s[0:1], v11, v2
	v_xor_b32_e32 v4, 1, v32
	v_addc_co_u32_e64 v11, s[0:1], v12, v3, s[0:1]
	global_store_byte v[10:11], v4, off offset:1024
	v_mov_b32_e32 v10, s39
	s_waitcnt lgkmcnt(0)
	v_add_co_u32_e64 v11, s[0:1], s38, v20
	v_addc_co_u32_e64 v12, s[0:1], v10, v21, s[0:1]
	v_add_co_u32_e64 v10, s[0:1], v11, v2
	v_xor_b32_e32 v4, 1, v33
	v_addc_co_u32_e64 v11, s[0:1], v12, v3, s[0:1]
	global_store_byte v[10:11], v4, off offset:1536
	v_and_b32_e32 v4, 1, v34
	v_lshrrev_b32_e32 v4, s48, v4
	v_and_b32_e32 v4, s14, v4
	v_lshlrev_b32_e32 v20, 3, v4
	v_and_b32_e32 v10, 1, v35
	v_lshrrev_b32_e32 v12, s48, v10
	ds_read_b64 v[10:11], v20
	v_and_b32_e32 v12, s14, v12
	v_lshlrev_b32_e32 v32, 3, v12
	ds_read_b64 v[12:13], v32
	v_mov_b32_e32 v4, s39
	s_waitcnt lgkmcnt(1)
	v_add_co_u32_e64 v10, s[0:1], s38, v10
	v_addc_co_u32_e64 v4, s[0:1], v4, v11, s[0:1]
	v_add_co_u32_e64 v10, s[0:1], v10, v2
	v_xor_b32_e32 v19, 1, v34
	v_addc_co_u32_e64 v11, s[0:1], v4, v3, s[0:1]
	global_store_byte v[10:11], v19, off offset:2048
	v_mov_b32_e32 v10, s39
	s_waitcnt lgkmcnt(0)
	v_add_co_u32_e64 v11, s[0:1], s38, v12
	v_addc_co_u32_e64 v12, s[0:1], v10, v13, s[0:1]
	v_add_co_u32_e64 v10, s[0:1], v11, v2
	v_xor_b32_e32 v4, 1, v35
	v_addc_co_u32_e64 v11, s[0:1], v12, v3, s[0:1]
	global_store_byte v[10:11], v4, off offset:2560
	v_lshlrev_b32_e32 v4, 3, v18
	s_barrier
	s_waitcnt vmcnt(11)
	ds_write_b64 v4, v[22:23] offset:2048
	v_lshlrev_b32_e32 v4, 3, v17
	s_waitcnt vmcnt(10)
	ds_write_b64 v4, v[24:25] offset:2048
	v_lshlrev_b32_e32 v4, 3, v16
	v_or_b32_e32 v6, 0x800, v2
	v_mad_u32_u24 v6, v2, 7, v6
	s_waitcnt vmcnt(9)
	ds_write_b64 v4, v[28:29] offset:2048
	v_lshlrev_b32_e32 v4, 3, v15
	v_lshlrev_b32_e32 v33, 3, v2
	s_waitcnt vmcnt(7)
	ds_write_b64 v4, v[26:27] offset:2048
	v_lshlrev_b32_e32 v4, 3, v14
	s_waitcnt vmcnt(6)
	ds_write_b64 v4, v[30:31] offset:2048
	v_lshlrev_b32_e32 v4, 3, v5
	s_add_i32 s7, s7, -1
	s_waitcnt vmcnt(5)
	ds_write_b64 v4, v[8:9] offset:2048
	s_waitcnt lgkmcnt(0)
	s_barrier
	ds_read_b64 v[4:5], v36
	v_mov_b32_e32 v9, s43
	v_lshlrev_b32_e32 v8, 3, v2
	ds_read_b64 v[12:13], v37
	ds_read_b64 v[14:15], v38
	;; [unrolled: 1-line block ×3, first 2 shown]
	s_cmp_eq_u32 s6, s7
	s_waitcnt lgkmcnt(3)
	v_lshlrev_b64 v[4:5], 3, v[4:5]
	v_add_co_u32_e64 v10, s[0:1], s42, v4
	v_addc_co_u32_e64 v9, s[0:1], v9, v5, s[0:1]
	v_lshlrev_b64 v[4:5], 3, v[2:3]
	v_add_co_u32_e64 v4, s[0:1], v10, v4
	v_addc_co_u32_e64 v5, s[0:1], v9, v5, s[0:1]
	ds_read_b64 v[8:9], v8 offset:2048
	ds_read_b64 v[18:19], v20
	ds_read_b64 v[20:21], v6 offset:20480
	ds_read_b64 v[22:23], v32
	s_waitcnt lgkmcnt(3)
	global_store_dwordx2 v[4:5], v[8:9], off
	ds_read2st64_b64 v[8:11], v6 offset0:8 offset1:16
	v_lshlrev_b64 v[4:5], 3, v[12:13]
	v_mov_b32_e32 v12, s43
	v_add_co_u32_e64 v4, s[0:1], s42, v4
	v_addc_co_u32_e64 v5, s[0:1], v12, v5, s[0:1]
	v_add_u32_e32 v12, 0x1000, v33
	v_add_co_u32_e64 v4, s[0:1], v4, v12
	v_addc_co_u32_e64 v5, s[0:1], 0, v5, s[0:1]
	s_waitcnt lgkmcnt(0)
	global_store_dwordx2 v[4:5], v[8:9], off
	v_lshlrev_b64 v[4:5], 3, v[14:15]
	v_mov_b32_e32 v8, s43
	v_add_co_u32_e64 v4, s[0:1], s42, v4
	v_addc_co_u32_e64 v5, s[0:1], v8, v5, s[0:1]
	v_or_b32_e32 v8, 0x2000, v33
	v_add_co_u32_e64 v4, s[0:1], v4, v8
	v_addc_co_u32_e64 v5, s[0:1], 0, v5, s[0:1]
	global_store_dwordx2 v[4:5], v[10:11], off
	ds_read2st64_b64 v[8:11], v6 offset0:24 offset1:32
	v_lshlrev_b64 v[4:5], 3, v[16:17]
	v_mov_b32_e32 v6, s43
	v_add_co_u32_e64 v4, s[0:1], s42, v4
	v_addc_co_u32_e64 v5, s[0:1], v6, v5, s[0:1]
	v_add_u32_e32 v6, 0x3000, v33
	v_add_co_u32_e64 v4, s[0:1], v4, v6
	v_addc_co_u32_e64 v5, s[0:1], 0, v5, s[0:1]
	s_waitcnt lgkmcnt(0)
	global_store_dwordx2 v[4:5], v[8:9], off
	v_lshlrev_b64 v[4:5], 3, v[18:19]
	v_mov_b32_e32 v6, s43
	v_add_co_u32_e64 v4, s[0:1], s42, v4
	v_addc_co_u32_e64 v5, s[0:1], v6, v5, s[0:1]
	v_or_b32_e32 v6, 0x4000, v33
	v_add_co_u32_e64 v4, s[0:1], v4, v6
	v_addc_co_u32_e64 v5, s[0:1], 0, v5, s[0:1]
	global_store_dwordx2 v[4:5], v[10:11], off
	v_lshlrev_b64 v[4:5], 3, v[22:23]
	v_mov_b32_e32 v6, s43
	v_add_co_u32_e64 v4, s[0:1], s42, v4
	v_addc_co_u32_e64 v5, s[0:1], v6, v5, s[0:1]
	v_add_u32_e32 v6, 0x5000, v33
	v_add_co_u32_e64 v4, s[0:1], v4, v6
	v_addc_co_u32_e64 v5, s[0:1], 0, v5, s[0:1]
	s_cselect_b64 s[0:1], -1, 0
	s_and_b64 s[2:3], vcc, s[0:1]
	global_store_dwordx2 v[4:5], v[20:21], off
                                        ; implicit-def: $vgpr4_vgpr5
	s_and_saveexec_b64 s[0:1], s[2:3]
; %bb.122:
	v_add_co_u32_e32 v4, vcc, v0, v7
	v_addc_co_u32_e32 v5, vcc, 0, v1, vcc
	s_or_b64 s[8:9], s[8:9], exec
; %bb.123:
	s_or_b64 exec, exec, s[0:1]
.LBB171_124:
	s_and_saveexec_b64 s[0:1], s[8:9]
	s_cbranch_execnz .LBB171_126
; %bb.125:
	s_endpgm
.LBB171_126:
	v_lshlrev_b32_e32 v6, 3, v2
	v_lshlrev_b64 v[0:1], 3, v[2:3]
	ds_read_b64 v[2:3], v6
	v_mov_b32_e32 v7, s47
	v_add_co_u32_e32 v0, vcc, s46, v0
	v_addc_co_u32_e32 v1, vcc, v7, v1, vcc
	s_waitcnt lgkmcnt(0)
	v_add_co_u32_e32 v2, vcc, v2, v4
	v_addc_co_u32_e32 v3, vcc, v3, v5, vcc
	global_store_dwordx2 v[0:1], v[2:3], off
	s_endpgm
.LBB171_127:
	global_load_dwordx2 v[4:5], v[18:19], off
	s_or_b64 exec, exec, s[28:29]
                                        ; implicit-def: $vgpr6_vgpr7
	s_and_saveexec_b64 s[28:29], s[0:1]
	s_cbranch_execz .LBB171_59
.LBB171_128:
	global_load_dwordx2 v[6:7], v[18:19], off offset:512
	s_or_b64 exec, exec, s[28:29]
                                        ; implicit-def: $vgpr10_vgpr11
	s_and_saveexec_b64 s[0:1], s[2:3]
	s_cbranch_execz .LBB171_60
.LBB171_129:
	global_load_dwordx2 v[10:11], v[18:19], off offset:1024
	s_or_b64 exec, exec, s[0:1]
                                        ; implicit-def: $vgpr12_vgpr13
	s_and_saveexec_b64 s[0:1], s[26:27]
	s_cbranch_execz .LBB171_61
.LBB171_130:
	global_load_dwordx2 v[12:13], v[18:19], off offset:1536
	s_or_b64 exec, exec, s[0:1]
                                        ; implicit-def: $vgpr14_vgpr15
	s_and_saveexec_b64 s[0:1], s[8:9]
	s_cbranch_execz .LBB171_62
.LBB171_131:
	global_load_dwordx2 v[14:15], v[18:19], off offset:2048
	s_or_b64 exec, exec, s[0:1]
                                        ; implicit-def: $vgpr16_vgpr17
	s_and_saveexec_b64 s[0:1], s[10:11]
	s_cbranch_execnz .LBB171_63
	s_branch .LBB171_64
.LBB171_132:
	v_lshlrev_b32_e32 v4, 3, v34
	ds_read_b64 v[4:5], v4
	ds_read_b64 v[6:7], v3 offset:2048
	v_mov_b32_e32 v10, s43
	s_waitcnt lgkmcnt(1)
	v_lshlrev_b64 v[4:5], 3, v[4:5]
	v_add_co_u32_e32 v4, vcc, s42, v4
	v_addc_co_u32_e32 v5, vcc, v10, v5, vcc
	v_add_co_u32_e32 v4, vcc, v4, v3
	v_addc_co_u32_e32 v5, vcc, 0, v5, vcc
	s_waitcnt lgkmcnt(0)
	global_store_dwordx2 v[4:5], v[6:7], off
	s_or_b64 exec, exec, s[0:1]
	s_and_saveexec_b64 s[0:1], s[16:17]
	s_cbranch_execz .LBB171_78
.LBB171_133:
	v_lshlrev_b32_e32 v4, 3, v32
	ds_read_b64 v[4:5], v4
	ds_read_b64 v[6:7], v3 offset:6144
	v_mov_b32_e32 v10, s43
	s_waitcnt lgkmcnt(1)
	v_lshlrev_b64 v[4:5], 3, v[4:5]
	v_add_co_u32_e32 v4, vcc, s42, v4
	v_addc_co_u32_e32 v5, vcc, v10, v5, vcc
	v_lshlrev_b32_e32 v10, 3, v26
	v_add_co_u32_e32 v4, vcc, v4, v10
	v_addc_co_u32_e32 v5, vcc, 0, v5, vcc
	s_waitcnt lgkmcnt(0)
	global_store_dwordx2 v[4:5], v[6:7], off
	s_or_b64 exec, exec, s[0:1]
	s_and_saveexec_b64 s[0:1], s[18:19]
	s_cbranch_execz .LBB171_79
.LBB171_134:
	v_lshlrev_b32_e32 v4, 3, v33
	ds_read_b64 v[4:5], v4
	ds_read_b64 v[6:7], v3 offset:10240
	v_mov_b32_e32 v10, s43
	s_waitcnt lgkmcnt(1)
	v_lshlrev_b64 v[4:5], 3, v[4:5]
	v_add_co_u32_e32 v4, vcc, s42, v4
	v_addc_co_u32_e32 v5, vcc, v10, v5, vcc
	v_lshlrev_b32_e32 v10, 3, v27
	v_add_co_u32_e32 v4, vcc, v4, v10
	v_addc_co_u32_e32 v5, vcc, 0, v5, vcc
	s_waitcnt lgkmcnt(0)
	global_store_dwordx2 v[4:5], v[6:7], off
	s_or_b64 exec, exec, s[0:1]
	s_and_saveexec_b64 s[0:1], s[20:21]
	s_cbranch_execz .LBB171_80
.LBB171_135:
	v_lshlrev_b32_e32 v4, 3, v19
	ds_read_b64 v[4:5], v4
	ds_read_b64 v[6:7], v3 offset:14336
	v_mov_b32_e32 v10, s43
	s_waitcnt lgkmcnt(1)
	v_lshlrev_b64 v[4:5], 3, v[4:5]
	v_add_co_u32_e32 v4, vcc, s42, v4
	v_addc_co_u32_e32 v5, vcc, v10, v5, vcc
	v_lshlrev_b32_e32 v10, 3, v28
	v_add_co_u32_e32 v4, vcc, v4, v10
	v_addc_co_u32_e32 v5, vcc, 0, v5, vcc
	s_waitcnt lgkmcnt(0)
	global_store_dwordx2 v[4:5], v[6:7], off
	s_or_b64 exec, exec, s[0:1]
	s_and_saveexec_b64 s[0:1], s[22:23]
	s_cbranch_execz .LBB171_81
.LBB171_136:
	v_lshlrev_b32_e32 v4, 3, v31
	ds_read_b64 v[4:5], v4
	ds_read_b64 v[6:7], v3 offset:18432
	v_mov_b32_e32 v10, s43
	s_waitcnt lgkmcnt(1)
	v_lshlrev_b64 v[4:5], 3, v[4:5]
	v_add_co_u32_e32 v4, vcc, s42, v4
	v_addc_co_u32_e32 v5, vcc, v10, v5, vcc
	v_lshlrev_b32_e32 v10, 3, v29
	v_add_co_u32_e32 v4, vcc, v4, v10
	v_addc_co_u32_e32 v5, vcc, 0, v5, vcc
	s_waitcnt lgkmcnt(0)
	global_store_dwordx2 v[4:5], v[6:7], off
	s_or_b64 exec, exec, s[0:1]
	s_and_saveexec_b64 s[0:1], s[24:25]
	s_cbranch_execnz .LBB171_82
	s_branch .LBB171_83
	.section	.rodata,"a",@progbits
	.p2align	6, 0x0
	.amdhsa_kernel _ZN7rocprim17ROCPRIM_304000_NS6detail25onesweep_iteration_kernelINS1_34wrapped_radix_sort_onesweep_configINS0_14default_configEbN2at4cuda3cub6detail10OpaqueTypeILi8EEEEELb1EPbSC_PSA_SD_mNS0_19identity_decomposerEEEvT1_T2_T3_T4_jPT5_SK_PNS1_23onesweep_lookback_stateET6_jjj
		.amdhsa_group_segment_fixed_size 26624
		.amdhsa_private_segment_fixed_size 0
		.amdhsa_kernarg_size 336
		.amdhsa_user_sgpr_count 6
		.amdhsa_user_sgpr_private_segment_buffer 1
		.amdhsa_user_sgpr_dispatch_ptr 0
		.amdhsa_user_sgpr_queue_ptr 0
		.amdhsa_user_sgpr_kernarg_segment_ptr 1
		.amdhsa_user_sgpr_dispatch_id 0
		.amdhsa_user_sgpr_flat_scratch_init 0
		.amdhsa_user_sgpr_kernarg_preload_length 0
		.amdhsa_user_sgpr_kernarg_preload_offset 0
		.amdhsa_user_sgpr_private_segment_size 0
		.amdhsa_uses_dynamic_stack 0
		.amdhsa_system_sgpr_private_segment_wavefront_offset 0
		.amdhsa_system_sgpr_workgroup_id_x 1
		.amdhsa_system_sgpr_workgroup_id_y 0
		.amdhsa_system_sgpr_workgroup_id_z 0
		.amdhsa_system_sgpr_workgroup_info 0
		.amdhsa_system_vgpr_workitem_id 2
		.amdhsa_next_free_vgpr 40
		.amdhsa_next_free_sgpr 53
		.amdhsa_accum_offset 40
		.amdhsa_reserve_vcc 1
		.amdhsa_reserve_flat_scratch 0
		.amdhsa_float_round_mode_32 0
		.amdhsa_float_round_mode_16_64 0
		.amdhsa_float_denorm_mode_32 3
		.amdhsa_float_denorm_mode_16_64 3
		.amdhsa_dx10_clamp 1
		.amdhsa_ieee_mode 1
		.amdhsa_fp16_overflow 0
		.amdhsa_tg_split 0
		.amdhsa_exception_fp_ieee_invalid_op 0
		.amdhsa_exception_fp_denorm_src 0
		.amdhsa_exception_fp_ieee_div_zero 0
		.amdhsa_exception_fp_ieee_overflow 0
		.amdhsa_exception_fp_ieee_underflow 0
		.amdhsa_exception_fp_ieee_inexact 0
		.amdhsa_exception_int_div_zero 0
	.end_amdhsa_kernel
	.section	.text._ZN7rocprim17ROCPRIM_304000_NS6detail25onesweep_iteration_kernelINS1_34wrapped_radix_sort_onesweep_configINS0_14default_configEbN2at4cuda3cub6detail10OpaqueTypeILi8EEEEELb1EPbSC_PSA_SD_mNS0_19identity_decomposerEEEvT1_T2_T3_T4_jPT5_SK_PNS1_23onesweep_lookback_stateET6_jjj,"axG",@progbits,_ZN7rocprim17ROCPRIM_304000_NS6detail25onesweep_iteration_kernelINS1_34wrapped_radix_sort_onesweep_configINS0_14default_configEbN2at4cuda3cub6detail10OpaqueTypeILi8EEEEELb1EPbSC_PSA_SD_mNS0_19identity_decomposerEEEvT1_T2_T3_T4_jPT5_SK_PNS1_23onesweep_lookback_stateET6_jjj,comdat
.Lfunc_end171:
	.size	_ZN7rocprim17ROCPRIM_304000_NS6detail25onesweep_iteration_kernelINS1_34wrapped_radix_sort_onesweep_configINS0_14default_configEbN2at4cuda3cub6detail10OpaqueTypeILi8EEEEELb1EPbSC_PSA_SD_mNS0_19identity_decomposerEEEvT1_T2_T3_T4_jPT5_SK_PNS1_23onesweep_lookback_stateET6_jjj, .Lfunc_end171-_ZN7rocprim17ROCPRIM_304000_NS6detail25onesweep_iteration_kernelINS1_34wrapped_radix_sort_onesweep_configINS0_14default_configEbN2at4cuda3cub6detail10OpaqueTypeILi8EEEEELb1EPbSC_PSA_SD_mNS0_19identity_decomposerEEEvT1_T2_T3_T4_jPT5_SK_PNS1_23onesweep_lookback_stateET6_jjj
                                        ; -- End function
	.section	.AMDGPU.csdata,"",@progbits
; Kernel info:
; codeLenInByte = 8684
; NumSgprs: 57
; NumVgprs: 40
; NumAgprs: 0
; TotalNumVgprs: 40
; ScratchSize: 0
; MemoryBound: 0
; FloatMode: 240
; IeeeMode: 1
; LDSByteSize: 26624 bytes/workgroup (compile time only)
; SGPRBlocks: 7
; VGPRBlocks: 4
; NumSGPRsForWavesPerEU: 57
; NumVGPRsForWavesPerEU: 40
; AccumOffset: 40
; Occupancy: 4
; WaveLimiterHint : 1
; COMPUTE_PGM_RSRC2:SCRATCH_EN: 0
; COMPUTE_PGM_RSRC2:USER_SGPR: 6
; COMPUTE_PGM_RSRC2:TRAP_HANDLER: 0
; COMPUTE_PGM_RSRC2:TGID_X_EN: 1
; COMPUTE_PGM_RSRC2:TGID_Y_EN: 0
; COMPUTE_PGM_RSRC2:TGID_Z_EN: 0
; COMPUTE_PGM_RSRC2:TIDIG_COMP_CNT: 2
; COMPUTE_PGM_RSRC3_GFX90A:ACCUM_OFFSET: 9
; COMPUTE_PGM_RSRC3_GFX90A:TG_SPLIT: 0
	.section	.text._ZN7rocprim17ROCPRIM_304000_NS6detail28radix_sort_block_sort_kernelINS1_36wrapped_radix_sort_block_sort_configINS0_13kernel_configILj256ELj4ELj4294967295EEEbN2at4cuda3cub6detail10OpaqueTypeILi8EEEEELb0EPKbPbPKSB_PSB_NS0_19identity_decomposerEEEvT1_T2_T3_T4_jT5_jj,"axG",@progbits,_ZN7rocprim17ROCPRIM_304000_NS6detail28radix_sort_block_sort_kernelINS1_36wrapped_radix_sort_block_sort_configINS0_13kernel_configILj256ELj4ELj4294967295EEEbN2at4cuda3cub6detail10OpaqueTypeILi8EEEEELb0EPKbPbPKSB_PSB_NS0_19identity_decomposerEEEvT1_T2_T3_T4_jT5_jj,comdat
	.protected	_ZN7rocprim17ROCPRIM_304000_NS6detail28radix_sort_block_sort_kernelINS1_36wrapped_radix_sort_block_sort_configINS0_13kernel_configILj256ELj4ELj4294967295EEEbN2at4cuda3cub6detail10OpaqueTypeILi8EEEEELb0EPKbPbPKSB_PSB_NS0_19identity_decomposerEEEvT1_T2_T3_T4_jT5_jj ; -- Begin function _ZN7rocprim17ROCPRIM_304000_NS6detail28radix_sort_block_sort_kernelINS1_36wrapped_radix_sort_block_sort_configINS0_13kernel_configILj256ELj4ELj4294967295EEEbN2at4cuda3cub6detail10OpaqueTypeILi8EEEEELb0EPKbPbPKSB_PSB_NS0_19identity_decomposerEEEvT1_T2_T3_T4_jT5_jj
	.globl	_ZN7rocprim17ROCPRIM_304000_NS6detail28radix_sort_block_sort_kernelINS1_36wrapped_radix_sort_block_sort_configINS0_13kernel_configILj256ELj4ELj4294967295EEEbN2at4cuda3cub6detail10OpaqueTypeILi8EEEEELb0EPKbPbPKSB_PSB_NS0_19identity_decomposerEEEvT1_T2_T3_T4_jT5_jj
	.p2align	8
	.type	_ZN7rocprim17ROCPRIM_304000_NS6detail28radix_sort_block_sort_kernelINS1_36wrapped_radix_sort_block_sort_configINS0_13kernel_configILj256ELj4ELj4294967295EEEbN2at4cuda3cub6detail10OpaqueTypeILi8EEEEELb0EPKbPbPKSB_PSB_NS0_19identity_decomposerEEEvT1_T2_T3_T4_jT5_jj,@function
_ZN7rocprim17ROCPRIM_304000_NS6detail28radix_sort_block_sort_kernelINS1_36wrapped_radix_sort_block_sort_configINS0_13kernel_configILj256ELj4ELj4294967295EEEbN2at4cuda3cub6detail10OpaqueTypeILi8EEEEELb0EPKbPbPKSB_PSB_NS0_19identity_decomposerEEEvT1_T2_T3_T4_jT5_jj: ; @_ZN7rocprim17ROCPRIM_304000_NS6detail28radix_sort_block_sort_kernelINS1_36wrapped_radix_sort_block_sort_configINS0_13kernel_configILj256ELj4ELj4294967295EEEbN2at4cuda3cub6detail10OpaqueTypeILi8EEEEELb0EPKbPbPKSB_PSB_NS0_19identity_decomposerEEEvT1_T2_T3_T4_jT5_jj
; %bb.0:
	s_load_dword s2, s[4:5], 0x20
	s_load_dwordx8 s[36:43], s[4:5], 0x0
	s_lshl_b32 s28, s6, 10
	v_mbcnt_lo_u32_b32 v1, -1, 0
	v_and_b32_e32 v8, 0x3ff, v0
	s_waitcnt lgkmcnt(0)
	s_lshr_b32 s0, s2, 10
	s_cmp_lg_u32 s6, s0
	s_cselect_b64 s[30:31], -1, 0
	s_add_u32 s1, s36, s28
	s_addc_u32 s3, s37, 0
	v_mbcnt_hi_u32_b32 v2, -1, v1
	v_lshlrev_b32_e32 v1, 2, v8
	v_mov_b32_e32 v3, s3
	v_add_co_u32_e32 v4, vcc, s1, v2
	v_and_b32_e32 v6, 0x300, v1
	v_addc_co_u32_e32 v3, vcc, 0, v3, vcc
	v_add_co_u32_e32 v4, vcc, v4, v6
	s_mov_b32 s29, 0
	s_cmp_eq_u32 s6, s0
	v_addc_co_u32_e32 v5, vcc, 0, v3, vcc
	v_lshlrev_b32_e32 v10, 3, v2
	v_lshlrev_b32_e32 v7, 3, v6
	v_add_u32_e32 v3, v2, v6
	s_cbranch_scc1 .LBB172_2
; %bb.1:
	s_lshl_b64 s[0:1], s[28:29], 3
	s_add_u32 s0, s40, s0
	s_addc_u32 s1, s41, s1
	v_mov_b32_e32 v11, s1
	v_add_co_u32_e32 v12, vcc, s0, v10
	v_addc_co_u32_e32 v11, vcc, 0, v11, vcc
	v_add_co_u32_e32 v12, vcc, v12, v7
	v_addc_co_u32_e32 v13, vcc, 0, v11, vcc
	global_load_ubyte v29, v[4:5], off offset:192
	global_load_ubyte v30, v[4:5], off offset:128
	;; [unrolled: 1-line block ×3, first 2 shown]
	global_load_ubyte v9, v[4:5], off
	global_load_dwordx2 v[18:19], v[12:13], off
	global_load_dwordx2 v[20:21], v[12:13], off offset:512
	global_load_dwordx2 v[22:23], v[12:13], off offset:1024
	;; [unrolled: 1-line block ×3, first 2 shown]
	v_add_u32_e32 v34, v2, v6
	v_add_u32_e32 v31, 64, v34
	;; [unrolled: 1-line block ×4, first 2 shown]
	s_sub_i32 s33, s2, s28
	s_cbranch_execz .LBB172_3
	s_branch .LBB172_17
.LBB172_2:
                                        ; implicit-def: $vgpr9
                                        ; implicit-def: $vgpr27
                                        ; implicit-def: $vgpr30
                                        ; implicit-def: $vgpr29
                                        ; implicit-def: $vgpr18_vgpr19
                                        ; implicit-def: $vgpr20_vgpr21
                                        ; implicit-def: $vgpr22_vgpr23
                                        ; implicit-def: $vgpr24_vgpr25
                                        ; implicit-def: $vgpr34
                                        ; implicit-def: $vgpr31
                                        ; implicit-def: $vgpr32
                                        ; implicit-def: $vgpr33
	s_sub_i32 s33, s2, s28
.LBB172_3:
	v_cmp_gt_u32_e32 vcc, s33, v3
	s_waitcnt vmcnt(4)
	v_mov_b32_e32 v9, 1
	v_mov_b32_e32 v29, 1
	v_mov_b32_e32 v27, 1
	v_mov_b32_e32 v30, 1
	s_and_saveexec_b64 s[0:1], vcc
	s_cbranch_execz .LBB172_5
; %bb.4:
	global_load_ubyte v9, v[4:5], off
	v_mov_b32_e32 v27, 1
	v_mov_b32_e32 v30, 1
	;; [unrolled: 1-line block ×3, first 2 shown]
.LBB172_5:
	s_or_b64 exec, exec, s[0:1]
	v_add_u32_e32 v31, 64, v3
	v_cmp_gt_u32_e64 s[0:1], s33, v31
	s_and_saveexec_b64 s[2:3], s[0:1]
	s_cbranch_execz .LBB172_7
; %bb.6:
	global_load_ubyte v27, v[4:5], off offset:64
.LBB172_7:
	s_or_b64 exec, exec, s[2:3]
	v_add_u32_e32 v32, 0x80, v3
	v_cmp_gt_u32_e64 s[2:3], s33, v32
	s_and_saveexec_b64 s[6:7], s[2:3]
	s_cbranch_execz .LBB172_9
; %bb.8:
	global_load_ubyte v30, v[4:5], off offset:128
.LBB172_9:
	;; [unrolled: 8-line block ×3, first 2 shown]
	s_or_b64 exec, exec, s[8:9]
	s_lshl_b64 s[8:9], s[28:29], 3
	s_add_u32 s8, s40, s8
	s_addc_u32 s9, s41, s9
	v_mov_b32_e32 v4, s9
	v_add_co_u32_e64 v5, s[8:9], s8, v10
	v_addc_co_u32_e64 v6, s[8:9], 0, v4, s[8:9]
	v_add_co_u32_e64 v4, s[8:9], v5, v7
	v_addc_co_u32_e64 v5, s[8:9], 0, v6, s[8:9]
                                        ; implicit-def: $vgpr18_vgpr19
	s_and_saveexec_b64 s[8:9], vcc
	s_cbranch_execnz .LBB172_54
; %bb.12:
	s_or_b64 exec, exec, s[8:9]
                                        ; implicit-def: $vgpr20_vgpr21
	s_and_saveexec_b64 s[8:9], s[0:1]
	s_cbranch_execnz .LBB172_55
.LBB172_13:
	s_or_b64 exec, exec, s[8:9]
                                        ; implicit-def: $vgpr22_vgpr23
	s_and_saveexec_b64 s[0:1], s[2:3]
	s_cbranch_execnz .LBB172_56
.LBB172_14:
	s_or_b64 exec, exec, s[0:1]
                                        ; implicit-def: $vgpr24_vgpr25
	s_and_saveexec_b64 s[0:1], s[6:7]
	s_cbranch_execz .LBB172_16
.LBB172_15:
	global_load_dwordx2 v[24:25], v[4:5], off offset:1536
.LBB172_16:
	s_or_b64 exec, exec, s[0:1]
	v_mov_b32_e32 v34, v3
.LBB172_17:
	s_load_dwordx2 s[34:35], s[4:5], 0x28
	s_load_dword s0, s[4:5], 0x3c
	v_bfe_u32 v3, v0, 10, 10
	v_bfe_u32 v0, v0, 20, 10
	v_lshlrev_b32_e32 v35, 2, v1
	v_and_b32_e32 v1, 64, v2
	s_waitcnt lgkmcnt(0)
	s_lshr_b32 s1, s0, 16
	s_and_b32 s0, s0, 0xffff
	v_mad_u32_u24 v0, v0, s1, v3
	s_waitcnt vmcnt(0)
	v_mad_u64_u32 v[4:5], s[0:1], v0, s0, v[8:9]
	v_and_b32_e32 v0, 15, v2
	v_cmp_eq_u32_e64 s[0:1], 0, v0
	v_cmp_lt_u32_e64 s[2:3], 1, v0
	v_cmp_lt_u32_e64 s[4:5], 3, v0
	;; [unrolled: 1-line block ×3, first 2 shown]
	v_and_b32_e32 v0, 16, v2
	v_cmp_eq_u32_e64 s[8:9], 0, v0
	v_and_b32_e32 v0, 0x3c0, v8
	v_min_u32_e32 v0, 0xc0, v0
	v_or_b32_e32 v0, 63, v0
	v_cmp_eq_u32_e64 s[12:13], v0, v8
	v_add_u32_e32 v0, -1, v2
	v_cmp_lt_i32_e32 vcc, v0, v1
	v_cndmask_b32_e32 v0, v0, v2, vcc
	s_mov_b32 s26, 0
	v_lshlrev_b32_e32 v37, 2, v0
	v_lshrrev_b32_e32 v0, 4, v8
	v_and_b32_e32 v1, 3, v2
	v_lshrrev_b32_e32 v36, 6, v4
	v_cmp_lt_u32_e64 s[10:11], 31, v2
	v_cmp_eq_u32_e64 s[18:19], 0, v2
	v_and_b32_e32 v38, 60, v0
	v_mul_i32_i24_e32 v0, -12, v8
	v_cmp_eq_u32_e64 s[22:23], 0, v1
	v_cmp_lt_u32_e64 s[24:25], 1, v1
	v_mul_lo_u32 v1, v34, 7
	v_mul_lo_u32 v2, v31, 7
	;; [unrolled: 1-line block ×4, first 2 shown]
	s_mov_b32 s27, s26
	s_mov_b32 s40, s26
	;; [unrolled: 1-line block ×3, first 2 shown]
	s_add_i32 s36, s35, s34
	v_cmp_gt_u32_e64 s[14:15], 4, v8
	v_cmp_lt_u32_e64 s[16:17], 63, v8
	v_cmp_eq_u32_e64 s[20:21], 0, v8
	v_add_u32_e32 v39, -4, v38
	v_pk_mov_b32 v[10:11], s[26:27], s[26:27] op_sel:[0,1]
	v_pk_mov_b32 v[14:15], s[40:41], s[40:41] op_sel:[0,1]
	v_add_u32_e32 v40, v35, v0
	v_add_u32_e32 v41, v34, v1
	;; [unrolled: 1-line block ×5, first 2 shown]
	s_branch .LBB172_19
.LBB172_18:                             ;   in Loop: Header=BB172_19 Depth=1
	s_barrier
	ds_write_b8 v28, v9
	ds_write_b8 v26, v27
	;; [unrolled: 1-line block ×4, first 2 shown]
	s_waitcnt lgkmcnt(0)
	s_barrier
	ds_read_u8 v29, v33
	ds_read_u8 v30, v32
	;; [unrolled: 1-line block ×4, first 2 shown]
	s_waitcnt lgkmcnt(0)
	v_mad_u64_u32 v[18:19], s[26:27], v28, 7, v[28:29]
	s_barrier
	ds_write_b64 v18, v[16:17]
	v_mad_u64_u32 v[18:19], s[26:27], v26, 7, v[26:27]
	ds_write_b64 v18, v[12:13]
	v_mad_u64_u32 v[18:19], s[26:27], v2, 7, v[2:3]
	;; [unrolled: 2-line block ×3, first 2 shown]
	ds_write_b64 v18, v[4:5]
	s_waitcnt lgkmcnt(0)
	s_barrier
	ds_read_b64 v[18:19], v41
	ds_read_b64 v[20:21], v42
	;; [unrolled: 1-line block ×4, first 2 shown]
	s_add_i32 s35, s35, -8
	s_waitcnt lgkmcnt(0)
	s_barrier
	s_cbranch_execz .LBB172_35
.LBB172_19:                             ; =>This Inner Loop Header: Depth=1
	s_min_u32 s26, s35, 8
	s_lshl_b32 s26, -1, s26
	s_not_b32 s37, s26
	v_lshrrev_b32_sdwa v0, s34, v9 dst_sel:DWORD dst_unused:UNUSED_PAD src0_sel:DWORD src1_sel:BYTE_0
	v_and_b32_e32 v0, s37, v0
	v_lshl_add_u32 v1, v0, 2, v36
	v_cmp_ne_u32_e32 vcc, 0, v0
	v_add_co_u32_e64 v0, s[26:27], -1, v0
	v_pk_mov_b32 v[16:17], v[18:19], v[18:19] op_sel:[0,1]
	v_lshl_add_u32 v18, v1, 2, 16
	v_addc_co_u32_e64 v1, s[26:27], 0, -1, s[26:27]
	v_xor_b32_e32 v0, vcc_lo, v0
	v_xor_b32_e32 v1, vcc_hi, v1
	v_and_b32_e32 v0, exec_lo, v0
	v_and_b32_e32 v1, exec_hi, v1
	v_mbcnt_lo_u32_b32 v2, v0, 0
	v_mbcnt_hi_u32_b32 v19, v1, v2
	v_cmp_eq_u32_e32 vcc, 0, v19
	v_cmp_ne_u64_e64 s[26:27], 0, v[0:1]
	v_pk_mov_b32 v[12:13], v[20:21], v[20:21] op_sel:[0,1]
	v_pk_mov_b32 v[6:7], v[22:23], v[22:23] op_sel:[0,1]
	v_pk_mov_b32 v[4:5], v[24:25], v[24:25] op_sel:[0,1]
	s_and_b64 s[40:41], s[26:27], vcc
	ds_write2_b64 v35, v[10:11], v[14:15] offset0:2 offset1:3
	s_waitcnt lgkmcnt(0)
	s_barrier
	s_waitcnt lgkmcnt(0)
	; wave barrier
	s_and_saveexec_b64 s[26:27], s[40:41]
	s_cbranch_execz .LBB172_21
; %bb.20:                               ;   in Loop: Header=BB172_19 Depth=1
	v_bcnt_u32_b32 v0, v0, 0
	v_bcnt_u32_b32 v0, v1, v0
	ds_write_b32 v18, v0
.LBB172_21:                             ;   in Loop: Header=BB172_19 Depth=1
	s_or_b64 exec, exec, s[26:27]
	v_lshrrev_b32_sdwa v0, s34, v27 dst_sel:DWORD dst_unused:UNUSED_PAD src0_sel:DWORD src1_sel:BYTE_0
	v_and_b32_e32 v0, s37, v0
	v_lshlrev_b32_e32 v1, 2, v0
	v_add_lshl_u32 v1, v1, v36, 2
	v_cmp_ne_u32_e32 vcc, 0, v0
	v_add_co_u32_e64 v0, s[26:27], -1, v0
	; wave barrier
	v_add_u32_e32 v21, 16, v1
	ds_read_b32 v20, v1 offset:16
	v_addc_co_u32_e64 v1, s[26:27], 0, -1, s[26:27]
	v_xor_b32_e32 v0, vcc_lo, v0
	v_xor_b32_e32 v1, vcc_hi, v1
	v_and_b32_e32 v0, exec_lo, v0
	v_and_b32_e32 v1, exec_hi, v1
	v_mbcnt_lo_u32_b32 v2, v0, 0
	v_mbcnt_hi_u32_b32 v22, v1, v2
	v_cmp_eq_u32_e32 vcc, 0, v22
	v_cmp_ne_u64_e64 s[26:27], 0, v[0:1]
	s_and_b64 s[40:41], s[26:27], vcc
	; wave barrier
	s_and_saveexec_b64 s[26:27], s[40:41]
	s_cbranch_execz .LBB172_23
; %bb.22:                               ;   in Loop: Header=BB172_19 Depth=1
	v_bcnt_u32_b32 v0, v0, 0
	v_bcnt_u32_b32 v0, v1, v0
	s_waitcnt lgkmcnt(0)
	v_add_u32_e32 v0, v20, v0
	ds_write_b32 v21, v0
.LBB172_23:                             ;   in Loop: Header=BB172_19 Depth=1
	s_or_b64 exec, exec, s[26:27]
	v_lshrrev_b32_sdwa v0, s34, v30 dst_sel:DWORD dst_unused:UNUSED_PAD src0_sel:DWORD src1_sel:BYTE_0
	v_and_b32_e32 v0, s37, v0
	v_lshlrev_b32_e32 v1, 2, v0
	v_add_lshl_u32 v1, v1, v36, 2
	v_cmp_ne_u32_e32 vcc, 0, v0
	v_add_co_u32_e64 v0, s[26:27], -1, v0
	; wave barrier
	v_add_u32_e32 v24, 16, v1
	ds_read_b32 v23, v1 offset:16
	v_addc_co_u32_e64 v1, s[26:27], 0, -1, s[26:27]
	v_xor_b32_e32 v0, vcc_lo, v0
	v_xor_b32_e32 v1, vcc_hi, v1
	v_and_b32_e32 v0, exec_lo, v0
	v_and_b32_e32 v1, exec_hi, v1
	v_mbcnt_lo_u32_b32 v2, v0, 0
	v_mbcnt_hi_u32_b32 v25, v1, v2
	v_cmp_eq_u32_e32 vcc, 0, v25
	v_cmp_ne_u64_e64 s[26:27], 0, v[0:1]
	s_and_b64 s[40:41], s[26:27], vcc
	; wave barrier
	s_and_saveexec_b64 s[26:27], s[40:41]
	s_cbranch_execz .LBB172_25
; %bb.24:                               ;   in Loop: Header=BB172_19 Depth=1
	v_bcnt_u32_b32 v0, v0, 0
	v_bcnt_u32_b32 v0, v1, v0
	s_waitcnt lgkmcnt(0)
	v_add_u32_e32 v0, v23, v0
	ds_write_b32 v24, v0
.LBB172_25:                             ;   in Loop: Header=BB172_19 Depth=1
	;; [unrolled: 30-line block ×3, first 2 shown]
	s_or_b64 exec, exec, s[26:27]
	; wave barrier
	s_waitcnt lgkmcnt(0)
	s_barrier
	ds_read2_b64 v[0:3], v35 offset0:2 offset1:3
	s_waitcnt lgkmcnt(0)
	v_add_u32_e32 v28, v1, v0
	v_add3_u32 v3, v28, v2, v3
	s_nop 1
	v_mov_b32_dpp v28, v3 row_shr:1 row_mask:0xf bank_mask:0xf
	v_cndmask_b32_e64 v28, v28, 0, s[0:1]
	v_add_u32_e32 v3, v28, v3
	s_nop 1
	v_mov_b32_dpp v28, v3 row_shr:2 row_mask:0xf bank_mask:0xf
	v_cndmask_b32_e64 v28, 0, v28, s[2:3]
	v_add_u32_e32 v3, v3, v28
	;; [unrolled: 4-line block ×4, first 2 shown]
	s_nop 1
	v_mov_b32_dpp v28, v3 row_bcast:15 row_mask:0xf bank_mask:0xf
	v_cndmask_b32_e64 v28, v28, 0, s[8:9]
	v_add_u32_e32 v3, v3, v28
	s_nop 1
	v_mov_b32_dpp v28, v3 row_bcast:31 row_mask:0xf bank_mask:0xf
	v_cndmask_b32_e64 v28, 0, v28, s[10:11]
	v_add_u32_e32 v3, v3, v28
	s_and_saveexec_b64 s[26:27], s[12:13]
	s_cbranch_execz .LBB172_29
; %bb.28:                               ;   in Loop: Header=BB172_19 Depth=1
	ds_write_b32 v38, v3
.LBB172_29:                             ;   in Loop: Header=BB172_19 Depth=1
	s_or_b64 exec, exec, s[26:27]
	s_waitcnt lgkmcnt(0)
	s_barrier
	s_and_saveexec_b64 s[26:27], s[14:15]
	s_cbranch_execz .LBB172_31
; %bb.30:                               ;   in Loop: Header=BB172_19 Depth=1
	ds_read_b32 v28, v40
	s_waitcnt lgkmcnt(0)
	s_nop 0
	v_mov_b32_dpp v46, v28 row_shr:1 row_mask:0xf bank_mask:0xf
	v_cndmask_b32_e64 v46, v46, 0, s[22:23]
	v_add_u32_e32 v28, v46, v28
	s_nop 1
	v_mov_b32_dpp v46, v28 row_shr:2 row_mask:0xf bank_mask:0xf
	v_cndmask_b32_e64 v46, 0, v46, s[24:25]
	v_add_u32_e32 v28, v28, v46
	ds_write_b32 v40, v28
.LBB172_31:                             ;   in Loop: Header=BB172_19 Depth=1
	s_or_b64 exec, exec, s[26:27]
	v_mov_b32_e32 v28, 0
	s_waitcnt lgkmcnt(0)
	s_barrier
	s_and_saveexec_b64 s[26:27], s[16:17]
	s_cbranch_execz .LBB172_33
; %bb.32:                               ;   in Loop: Header=BB172_19 Depth=1
	ds_read_b32 v28, v39
.LBB172_33:                             ;   in Loop: Header=BB172_19 Depth=1
	s_or_b64 exec, exec, s[26:27]
	s_waitcnt lgkmcnt(0)
	v_add_u32_e32 v3, v28, v3
	ds_bpermute_b32 v49, v37, v3
	s_add_i32 s34, s34, 8
	v_mov_b32_e32 v3, v9
	v_mov_b32_e32 v46, v27
	;; [unrolled: 1-line block ×3, first 2 shown]
	s_waitcnt lgkmcnt(0)
	v_cndmask_b32_e64 v28, v49, v28, s[18:19]
	v_cndmask_b32_e64 v50, v28, 0, s[20:21]
	v_add_u32_e32 v51, v50, v0
	v_add_u32_e32 v0, v51, v1
	;; [unrolled: 1-line block ×3, first 2 shown]
	ds_write2_b64 v35, v[50:51], v[0:1] offset0:2 offset1:3
	s_waitcnt lgkmcnt(0)
	s_barrier
	ds_read_b32 v0, v18
	ds_read_b32 v2, v21
	;; [unrolled: 1-line block ×4, first 2 shown]
	v_mov_b32_e32 v1, v29
	s_waitcnt lgkmcnt(3)
	v_add_u32_e32 v28, v0, v19
	s_waitcnt lgkmcnt(2)
	v_add3_u32 v26, v22, v20, v2
	s_waitcnt lgkmcnt(1)
	v_add3_u32 v2, v25, v23, v18
	;; [unrolled: 2-line block ×3, first 2 shown]
	s_cmp_ge_u32 s34, s36
	s_cbranch_scc0 .LBB172_18
; %bb.34:
                                        ; implicit-def: $sgpr34
                                        ; implicit-def: $vgpr9
                                        ; implicit-def: $vgpr27
                                        ; implicit-def: $vgpr30
                                        ; implicit-def: $vgpr29
                                        ; implicit-def: $vgpr18_vgpr19
                                        ; implicit-def: $vgpr20_vgpr21
                                        ; implicit-def: $vgpr22_vgpr23
                                        ; implicit-def: $vgpr24_vgpr25
.LBB172_35:
	v_mad_u64_u32 v[10:11], s[0:1], v28, 7, v[28:29]
	s_barrier
	ds_write_b8 v28, v3
	ds_write_b8 v26, v46
	;; [unrolled: 1-line block ×4, first 2 shown]
	s_waitcnt lgkmcnt(0)
	s_barrier
	ds_read_u8 v18, v8
	ds_read_u8 v15, v8 offset:256
	ds_read_u8 v14, v8 offset:512
	;; [unrolled: 1-line block ×3, first 2 shown]
	s_waitcnt lgkmcnt(0)
	s_barrier
	ds_write_b64 v10, v[16:17]
	v_mad_u64_u32 v[10:11], s[0:1], v26, 7, v[26:27]
	v_mad_u64_u32 v[2:3], s[0:1], v2, 7, v[2:3]
	v_mad_u64_u32 v[0:1], s[0:1], v0, 7, v[0:1]
	ds_write_b64 v10, v[12:13]
	ds_write_b64 v2, v[6:7]
	;; [unrolled: 1-line block ×3, first 2 shown]
	v_mad_u32_u24 v0, v8, 7, v8
	s_waitcnt lgkmcnt(0)
	s_barrier
	ds_read2st64_b64 v[4:7], v0 offset1:4
	ds_read2st64_b64 v[0:3], v0 offset0:8 offset1:12
	s_add_u32 s0, s38, s28
	s_addc_u32 s1, s39, 0
	v_mov_b32_e32 v11, s1
	v_add_co_u32_e32 v10, vcc, s0, v8
	v_addc_co_u32_e32 v11, vcc, 0, v11, vcc
	s_andn2_b64 vcc, exec, s[30:31]
	v_lshlrev_b32_e32 v12, 3, v8
	s_cbranch_vccnz .LBB172_37
; %bb.36:
	s_lshl_b64 s[0:1], s[28:29], 3
	s_add_u32 s0, s42, s0
	s_addc_u32 s1, s43, s1
	v_mov_b32_e32 v13, s1
	v_add_co_u32_e32 v16, vcc, s0, v12
	v_addc_co_u32_e32 v13, vcc, 0, v13, vcc
	v_add_co_u32_e32 v16, vcc, 0x1000, v16
	global_store_byte v[10:11], v18, off
	global_store_byte v[10:11], v15, off offset:256
	global_store_byte v[10:11], v14, off offset:512
	;; [unrolled: 1-line block ×3, first 2 shown]
	s_waitcnt lgkmcnt(1)
	global_store_dwordx2 v12, v[4:5], s[0:1]
	global_store_dwordx2 v12, v[6:7], s[0:1] offset:2048
	v_addc_co_u32_e32 v17, vcc, 0, v13, vcc
	s_mov_b64 s[6:7], -1
	s_waitcnt lgkmcnt(0)
	global_store_dwordx2 v[16:17], v[0:1], off
	s_cbranch_execz .LBB172_38
	s_branch .LBB172_51
.LBB172_37:
	s_mov_b64 s[6:7], 0
.LBB172_38:
	v_cmp_gt_u32_e32 vcc, s33, v8
	s_and_saveexec_b64 s[0:1], vcc
	s_cbranch_execz .LBB172_40
; %bb.39:
	global_store_byte v[10:11], v18, off
.LBB172_40:
	s_or_b64 exec, exec, s[0:1]
	v_add_u32_e32 v13, 0x100, v8
	v_cmp_gt_u32_e64 s[0:1], s33, v13
	s_and_saveexec_b64 s[2:3], s[0:1]
	s_cbranch_execz .LBB172_42
; %bb.41:
	global_store_byte v[10:11], v15, off offset:256
.LBB172_42:
	s_or_b64 exec, exec, s[2:3]
	v_add_u32_e32 v13, 0x200, v8
	v_cmp_gt_u32_e64 s[2:3], s33, v13
	s_and_saveexec_b64 s[4:5], s[2:3]
	s_cbranch_execz .LBB172_44
; %bb.43:
	global_store_byte v[10:11], v14, off offset:512
.LBB172_44:
	;; [unrolled: 8-line block ×3, first 2 shown]
	s_or_b64 exec, exec, s[4:5]
	s_lshl_b64 s[4:5], s[28:29], 3
	s_add_u32 s4, s42, s4
	s_addc_u32 s5, s43, s5
	v_mov_b32_e32 v9, s5
	v_add_co_u32_e64 v8, s[4:5], s4, v12
	v_addc_co_u32_e64 v9, s[4:5], 0, v9, s[4:5]
	s_and_saveexec_b64 s[4:5], vcc
	s_cbranch_execnz .LBB172_57
; %bb.47:
	s_or_b64 exec, exec, s[4:5]
	s_and_saveexec_b64 s[4:5], s[0:1]
	s_cbranch_execnz .LBB172_58
.LBB172_48:
	s_or_b64 exec, exec, s[4:5]
	s_and_saveexec_b64 s[0:1], s[2:3]
	s_cbranch_execz .LBB172_50
.LBB172_49:
	s_waitcnt lgkmcnt(1)
	v_add_co_u32_e32 v4, vcc, 0x1000, v8
	v_addc_co_u32_e32 v5, vcc, 0, v9, vcc
	s_waitcnt lgkmcnt(0)
	global_store_dwordx2 v[4:5], v[0:1], off
.LBB172_50:
	s_or_b64 exec, exec, s[0:1]
.LBB172_51:
	s_and_saveexec_b64 s[0:1], s[6:7]
	s_cbranch_execnz .LBB172_53
; %bb.52:
	s_endpgm
.LBB172_53:
	s_lshl_b64 s[0:1], s[28:29], 3
	s_add_u32 s0, s42, s0
	s_addc_u32 s1, s43, s1
	s_waitcnt lgkmcnt(0)
	v_mov_b32_e32 v0, s1
	v_add_co_u32_e32 v1, vcc, s0, v12
	v_addc_co_u32_e32 v4, vcc, 0, v0, vcc
	v_add_co_u32_e32 v0, vcc, 0x1000, v1
	v_addc_co_u32_e32 v1, vcc, 0, v4, vcc
	global_store_dwordx2 v[0:1], v[2:3], off offset:2048
	s_endpgm
.LBB172_54:
	global_load_dwordx2 v[18:19], v[4:5], off
	s_or_b64 exec, exec, s[8:9]
                                        ; implicit-def: $vgpr20_vgpr21
	s_and_saveexec_b64 s[8:9], s[0:1]
	s_cbranch_execz .LBB172_13
.LBB172_55:
	global_load_dwordx2 v[20:21], v[4:5], off offset:512
	s_or_b64 exec, exec, s[8:9]
                                        ; implicit-def: $vgpr22_vgpr23
	s_and_saveexec_b64 s[0:1], s[2:3]
	s_cbranch_execz .LBB172_14
.LBB172_56:
	global_load_dwordx2 v[22:23], v[4:5], off offset:1024
	s_or_b64 exec, exec, s[0:1]
                                        ; implicit-def: $vgpr24_vgpr25
	s_and_saveexec_b64 s[0:1], s[6:7]
	s_cbranch_execnz .LBB172_15
	s_branch .LBB172_16
.LBB172_57:
	s_waitcnt lgkmcnt(1)
	global_store_dwordx2 v[8:9], v[4:5], off
	s_or_b64 exec, exec, s[4:5]
	s_and_saveexec_b64 s[4:5], s[0:1]
	s_cbranch_execz .LBB172_48
.LBB172_58:
	s_waitcnt lgkmcnt(1)
	global_store_dwordx2 v[8:9], v[6:7], off offset:2048
	s_or_b64 exec, exec, s[4:5]
	s_and_saveexec_b64 s[0:1], s[2:3]
	s_cbranch_execnz .LBB172_49
	s_branch .LBB172_50
	.section	.rodata,"a",@progbits
	.p2align	6, 0x0
	.amdhsa_kernel _ZN7rocprim17ROCPRIM_304000_NS6detail28radix_sort_block_sort_kernelINS1_36wrapped_radix_sort_block_sort_configINS0_13kernel_configILj256ELj4ELj4294967295EEEbN2at4cuda3cub6detail10OpaqueTypeILi8EEEEELb0EPKbPbPKSB_PSB_NS0_19identity_decomposerEEEvT1_T2_T3_T4_jT5_jj
		.amdhsa_group_segment_fixed_size 8192
		.amdhsa_private_segment_fixed_size 0
		.amdhsa_kernarg_size 304
		.amdhsa_user_sgpr_count 6
		.amdhsa_user_sgpr_private_segment_buffer 1
		.amdhsa_user_sgpr_dispatch_ptr 0
		.amdhsa_user_sgpr_queue_ptr 0
		.amdhsa_user_sgpr_kernarg_segment_ptr 1
		.amdhsa_user_sgpr_dispatch_id 0
		.amdhsa_user_sgpr_flat_scratch_init 0
		.amdhsa_user_sgpr_kernarg_preload_length 0
		.amdhsa_user_sgpr_kernarg_preload_offset 0
		.amdhsa_user_sgpr_private_segment_size 0
		.amdhsa_uses_dynamic_stack 0
		.amdhsa_system_sgpr_private_segment_wavefront_offset 0
		.amdhsa_system_sgpr_workgroup_id_x 1
		.amdhsa_system_sgpr_workgroup_id_y 0
		.amdhsa_system_sgpr_workgroup_id_z 0
		.amdhsa_system_sgpr_workgroup_info 0
		.amdhsa_system_vgpr_workitem_id 2
		.amdhsa_next_free_vgpr 52
		.amdhsa_next_free_sgpr 44
		.amdhsa_accum_offset 52
		.amdhsa_reserve_vcc 1
		.amdhsa_reserve_flat_scratch 0
		.amdhsa_float_round_mode_32 0
		.amdhsa_float_round_mode_16_64 0
		.amdhsa_float_denorm_mode_32 3
		.amdhsa_float_denorm_mode_16_64 3
		.amdhsa_dx10_clamp 1
		.amdhsa_ieee_mode 1
		.amdhsa_fp16_overflow 0
		.amdhsa_tg_split 0
		.amdhsa_exception_fp_ieee_invalid_op 0
		.amdhsa_exception_fp_denorm_src 0
		.amdhsa_exception_fp_ieee_div_zero 0
		.amdhsa_exception_fp_ieee_overflow 0
		.amdhsa_exception_fp_ieee_underflow 0
		.amdhsa_exception_fp_ieee_inexact 0
		.amdhsa_exception_int_div_zero 0
	.end_amdhsa_kernel
	.section	.text._ZN7rocprim17ROCPRIM_304000_NS6detail28radix_sort_block_sort_kernelINS1_36wrapped_radix_sort_block_sort_configINS0_13kernel_configILj256ELj4ELj4294967295EEEbN2at4cuda3cub6detail10OpaqueTypeILi8EEEEELb0EPKbPbPKSB_PSB_NS0_19identity_decomposerEEEvT1_T2_T3_T4_jT5_jj,"axG",@progbits,_ZN7rocprim17ROCPRIM_304000_NS6detail28radix_sort_block_sort_kernelINS1_36wrapped_radix_sort_block_sort_configINS0_13kernel_configILj256ELj4ELj4294967295EEEbN2at4cuda3cub6detail10OpaqueTypeILi8EEEEELb0EPKbPbPKSB_PSB_NS0_19identity_decomposerEEEvT1_T2_T3_T4_jT5_jj,comdat
.Lfunc_end172:
	.size	_ZN7rocprim17ROCPRIM_304000_NS6detail28radix_sort_block_sort_kernelINS1_36wrapped_radix_sort_block_sort_configINS0_13kernel_configILj256ELj4ELj4294967295EEEbN2at4cuda3cub6detail10OpaqueTypeILi8EEEEELb0EPKbPbPKSB_PSB_NS0_19identity_decomposerEEEvT1_T2_T3_T4_jT5_jj, .Lfunc_end172-_ZN7rocprim17ROCPRIM_304000_NS6detail28radix_sort_block_sort_kernelINS1_36wrapped_radix_sort_block_sort_configINS0_13kernel_configILj256ELj4ELj4294967295EEEbN2at4cuda3cub6detail10OpaqueTypeILi8EEEEELb0EPKbPbPKSB_PSB_NS0_19identity_decomposerEEEvT1_T2_T3_T4_jT5_jj
                                        ; -- End function
	.section	.AMDGPU.csdata,"",@progbits
; Kernel info:
; codeLenInByte = 2932
; NumSgprs: 48
; NumVgprs: 52
; NumAgprs: 0
; TotalNumVgprs: 52
; ScratchSize: 0
; MemoryBound: 0
; FloatMode: 240
; IeeeMode: 1
; LDSByteSize: 8192 bytes/workgroup (compile time only)
; SGPRBlocks: 5
; VGPRBlocks: 6
; NumSGPRsForWavesPerEU: 48
; NumVGPRsForWavesPerEU: 52
; AccumOffset: 52
; Occupancy: 8
; WaveLimiterHint : 1
; COMPUTE_PGM_RSRC2:SCRATCH_EN: 0
; COMPUTE_PGM_RSRC2:USER_SGPR: 6
; COMPUTE_PGM_RSRC2:TRAP_HANDLER: 0
; COMPUTE_PGM_RSRC2:TGID_X_EN: 1
; COMPUTE_PGM_RSRC2:TGID_Y_EN: 0
; COMPUTE_PGM_RSRC2:TGID_Z_EN: 0
; COMPUTE_PGM_RSRC2:TIDIG_COMP_CNT: 2
; COMPUTE_PGM_RSRC3_GFX90A:ACCUM_OFFSET: 12
; COMPUTE_PGM_RSRC3_GFX90A:TG_SPLIT: 0
	.section	.text._ZN7rocprim17ROCPRIM_304000_NS6detail45device_block_merge_mergepath_partition_kernelINS1_37wrapped_merge_sort_block_merge_configINS0_14default_configEbN2at4cuda3cub6detail10OpaqueTypeILi8EEEEEPbjNS1_19radix_merge_compareILb0ELb0EbNS0_19identity_decomposerEEEEEvT0_T1_jPSH_T2_SH_,"axG",@progbits,_ZN7rocprim17ROCPRIM_304000_NS6detail45device_block_merge_mergepath_partition_kernelINS1_37wrapped_merge_sort_block_merge_configINS0_14default_configEbN2at4cuda3cub6detail10OpaqueTypeILi8EEEEEPbjNS1_19radix_merge_compareILb0ELb0EbNS0_19identity_decomposerEEEEEvT0_T1_jPSH_T2_SH_,comdat
	.protected	_ZN7rocprim17ROCPRIM_304000_NS6detail45device_block_merge_mergepath_partition_kernelINS1_37wrapped_merge_sort_block_merge_configINS0_14default_configEbN2at4cuda3cub6detail10OpaqueTypeILi8EEEEEPbjNS1_19radix_merge_compareILb0ELb0EbNS0_19identity_decomposerEEEEEvT0_T1_jPSH_T2_SH_ ; -- Begin function _ZN7rocprim17ROCPRIM_304000_NS6detail45device_block_merge_mergepath_partition_kernelINS1_37wrapped_merge_sort_block_merge_configINS0_14default_configEbN2at4cuda3cub6detail10OpaqueTypeILi8EEEEEPbjNS1_19radix_merge_compareILb0ELb0EbNS0_19identity_decomposerEEEEEvT0_T1_jPSH_T2_SH_
	.globl	_ZN7rocprim17ROCPRIM_304000_NS6detail45device_block_merge_mergepath_partition_kernelINS1_37wrapped_merge_sort_block_merge_configINS0_14default_configEbN2at4cuda3cub6detail10OpaqueTypeILi8EEEEEPbjNS1_19radix_merge_compareILb0ELb0EbNS0_19identity_decomposerEEEEEvT0_T1_jPSH_T2_SH_
	.p2align	8
	.type	_ZN7rocprim17ROCPRIM_304000_NS6detail45device_block_merge_mergepath_partition_kernelINS1_37wrapped_merge_sort_block_merge_configINS0_14default_configEbN2at4cuda3cub6detail10OpaqueTypeILi8EEEEEPbjNS1_19radix_merge_compareILb0ELb0EbNS0_19identity_decomposerEEEEEvT0_T1_jPSH_T2_SH_,@function
_ZN7rocprim17ROCPRIM_304000_NS6detail45device_block_merge_mergepath_partition_kernelINS1_37wrapped_merge_sort_block_merge_configINS0_14default_configEbN2at4cuda3cub6detail10OpaqueTypeILi8EEEEEPbjNS1_19radix_merge_compareILb0ELb0EbNS0_19identity_decomposerEEEEEvT0_T1_jPSH_T2_SH_: ; @_ZN7rocprim17ROCPRIM_304000_NS6detail45device_block_merge_mergepath_partition_kernelINS1_37wrapped_merge_sort_block_merge_configINS0_14default_configEbN2at4cuda3cub6detail10OpaqueTypeILi8EEEEEPbjNS1_19radix_merge_compareILb0ELb0EbNS0_19identity_decomposerEEEEEvT0_T1_jPSH_T2_SH_
; %bb.0:
	s_load_dwordx2 s[0:1], s[4:5], 0x8
	v_lshl_or_b32 v0, s6, 7, v0
	s_waitcnt lgkmcnt(0)
	v_cmp_gt_u32_e32 vcc, s1, v0
	s_and_saveexec_b64 s[2:3], vcc
	s_cbranch_execz .LBB173_6
; %bb.1:
	s_load_dword s1, s[4:5], 0x1c
	s_waitcnt lgkmcnt(0)
	s_lshr_b32 s2, s1, 9
	s_and_b32 s2, s2, 0x7ffffe
	s_add_i32 s3, s2, -1
	s_sub_i32 s2, 0, s2
	v_and_b32_e32 v1, s2, v0
	v_lshlrev_b32_e32 v3, 10, v1
	v_min_u32_e32 v1, s0, v3
	v_add_u32_e32 v3, s1, v3
	v_min_u32_e32 v7, s0, v3
	v_add_u32_e32 v3, s1, v7
	v_and_b32_e32 v2, s3, v0
	v_min_u32_e32 v4, s0, v3
	v_lshlrev_b32_e32 v2, 10, v2
	v_sub_u32_e32 v3, v4, v1
	v_min_u32_e32 v3, v3, v2
	v_sub_u32_e32 v5, v7, v1
	v_sub_u32_e32 v2, v4, v7
	v_sub_u32_e64 v2, v3, v2 clamp
	v_min_u32_e32 v4, v3, v5
	v_cmp_lt_u32_e32 vcc, v2, v4
	s_and_saveexec_b64 s[0:1], vcc
	s_cbranch_execz .LBB173_5
; %bb.2:
	s_load_dwordx2 s[2:3], s[4:5], 0x0
	s_waitcnt lgkmcnt(0)
	v_mov_b32_e32 v8, s3
	v_add_co_u32_e32 v5, vcc, s2, v1
	v_addc_co_u32_e32 v6, vcc, 0, v8, vcc
	v_add_co_u32_e32 v7, vcc, s2, v7
	v_addc_co_u32_e32 v8, vcc, 0, v8, vcc
	s_mov_b64 s[2:3], 0
.LBB173_3:                              ; =>This Inner Loop Header: Depth=1
	v_add_u32_e32 v9, v4, v2
	v_lshrrev_b32_e32 v9, 1, v9
	v_add_co_u32_e32 v10, vcc, v5, v9
	v_xad_u32 v12, v9, -1, v3
	v_addc_co_u32_e32 v11, vcc, 0, v6, vcc
	v_add_co_u32_e32 v12, vcc, v7, v12
	v_addc_co_u32_e32 v13, vcc, 0, v8, vcc
	global_load_ubyte v14, v[10:11], off
	global_load_ubyte v15, v[12:13], off
	v_add_u32_e32 v10, 1, v9
	s_waitcnt vmcnt(0)
	v_cmp_gt_u16_e32 vcc, v14, v15
	v_cndmask_b32_e32 v4, v4, v9, vcc
	v_cndmask_b32_e32 v2, v10, v2, vcc
	v_cmp_ge_u32_e32 vcc, v2, v4
	s_or_b64 s[2:3], vcc, s[2:3]
	s_andn2_b64 exec, exec, s[2:3]
	s_cbranch_execnz .LBB173_3
; %bb.4:
	s_or_b64 exec, exec, s[2:3]
.LBB173_5:
	s_or_b64 exec, exec, s[0:1]
	s_load_dwordx2 s[0:1], s[4:5], 0x10
	v_add_u32_e32 v2, v2, v1
	v_mov_b32_e32 v1, 0
	v_lshlrev_b64 v[0:1], 2, v[0:1]
	s_waitcnt lgkmcnt(0)
	v_mov_b32_e32 v3, s1
	v_add_co_u32_e32 v0, vcc, s0, v0
	v_addc_co_u32_e32 v1, vcc, v3, v1, vcc
	global_store_dword v[0:1], v2, off
.LBB173_6:
	s_endpgm
	.section	.rodata,"a",@progbits
	.p2align	6, 0x0
	.amdhsa_kernel _ZN7rocprim17ROCPRIM_304000_NS6detail45device_block_merge_mergepath_partition_kernelINS1_37wrapped_merge_sort_block_merge_configINS0_14default_configEbN2at4cuda3cub6detail10OpaqueTypeILi8EEEEEPbjNS1_19radix_merge_compareILb0ELb0EbNS0_19identity_decomposerEEEEEvT0_T1_jPSH_T2_SH_
		.amdhsa_group_segment_fixed_size 0
		.amdhsa_private_segment_fixed_size 0
		.amdhsa_kernarg_size 32
		.amdhsa_user_sgpr_count 6
		.amdhsa_user_sgpr_private_segment_buffer 1
		.amdhsa_user_sgpr_dispatch_ptr 0
		.amdhsa_user_sgpr_queue_ptr 0
		.amdhsa_user_sgpr_kernarg_segment_ptr 1
		.amdhsa_user_sgpr_dispatch_id 0
		.amdhsa_user_sgpr_flat_scratch_init 0
		.amdhsa_user_sgpr_kernarg_preload_length 0
		.amdhsa_user_sgpr_kernarg_preload_offset 0
		.amdhsa_user_sgpr_private_segment_size 0
		.amdhsa_uses_dynamic_stack 0
		.amdhsa_system_sgpr_private_segment_wavefront_offset 0
		.amdhsa_system_sgpr_workgroup_id_x 1
		.amdhsa_system_sgpr_workgroup_id_y 0
		.amdhsa_system_sgpr_workgroup_id_z 0
		.amdhsa_system_sgpr_workgroup_info 0
		.amdhsa_system_vgpr_workitem_id 0
		.amdhsa_next_free_vgpr 16
		.amdhsa_next_free_sgpr 7
		.amdhsa_accum_offset 16
		.amdhsa_reserve_vcc 1
		.amdhsa_reserve_flat_scratch 0
		.amdhsa_float_round_mode_32 0
		.amdhsa_float_round_mode_16_64 0
		.amdhsa_float_denorm_mode_32 3
		.amdhsa_float_denorm_mode_16_64 3
		.amdhsa_dx10_clamp 1
		.amdhsa_ieee_mode 1
		.amdhsa_fp16_overflow 0
		.amdhsa_tg_split 0
		.amdhsa_exception_fp_ieee_invalid_op 0
		.amdhsa_exception_fp_denorm_src 0
		.amdhsa_exception_fp_ieee_div_zero 0
		.amdhsa_exception_fp_ieee_overflow 0
		.amdhsa_exception_fp_ieee_underflow 0
		.amdhsa_exception_fp_ieee_inexact 0
		.amdhsa_exception_int_div_zero 0
	.end_amdhsa_kernel
	.section	.text._ZN7rocprim17ROCPRIM_304000_NS6detail45device_block_merge_mergepath_partition_kernelINS1_37wrapped_merge_sort_block_merge_configINS0_14default_configEbN2at4cuda3cub6detail10OpaqueTypeILi8EEEEEPbjNS1_19radix_merge_compareILb0ELb0EbNS0_19identity_decomposerEEEEEvT0_T1_jPSH_T2_SH_,"axG",@progbits,_ZN7rocprim17ROCPRIM_304000_NS6detail45device_block_merge_mergepath_partition_kernelINS1_37wrapped_merge_sort_block_merge_configINS0_14default_configEbN2at4cuda3cub6detail10OpaqueTypeILi8EEEEEPbjNS1_19radix_merge_compareILb0ELb0EbNS0_19identity_decomposerEEEEEvT0_T1_jPSH_T2_SH_,comdat
.Lfunc_end173:
	.size	_ZN7rocprim17ROCPRIM_304000_NS6detail45device_block_merge_mergepath_partition_kernelINS1_37wrapped_merge_sort_block_merge_configINS0_14default_configEbN2at4cuda3cub6detail10OpaqueTypeILi8EEEEEPbjNS1_19radix_merge_compareILb0ELb0EbNS0_19identity_decomposerEEEEEvT0_T1_jPSH_T2_SH_, .Lfunc_end173-_ZN7rocprim17ROCPRIM_304000_NS6detail45device_block_merge_mergepath_partition_kernelINS1_37wrapped_merge_sort_block_merge_configINS0_14default_configEbN2at4cuda3cub6detail10OpaqueTypeILi8EEEEEPbjNS1_19radix_merge_compareILb0ELb0EbNS0_19identity_decomposerEEEEEvT0_T1_jPSH_T2_SH_
                                        ; -- End function
	.section	.AMDGPU.csdata,"",@progbits
; Kernel info:
; codeLenInByte = 320
; NumSgprs: 11
; NumVgprs: 16
; NumAgprs: 0
; TotalNumVgprs: 16
; ScratchSize: 0
; MemoryBound: 0
; FloatMode: 240
; IeeeMode: 1
; LDSByteSize: 0 bytes/workgroup (compile time only)
; SGPRBlocks: 1
; VGPRBlocks: 1
; NumSGPRsForWavesPerEU: 11
; NumVGPRsForWavesPerEU: 16
; AccumOffset: 16
; Occupancy: 8
; WaveLimiterHint : 0
; COMPUTE_PGM_RSRC2:SCRATCH_EN: 0
; COMPUTE_PGM_RSRC2:USER_SGPR: 6
; COMPUTE_PGM_RSRC2:TRAP_HANDLER: 0
; COMPUTE_PGM_RSRC2:TGID_X_EN: 1
; COMPUTE_PGM_RSRC2:TGID_Y_EN: 0
; COMPUTE_PGM_RSRC2:TGID_Z_EN: 0
; COMPUTE_PGM_RSRC2:TIDIG_COMP_CNT: 0
; COMPUTE_PGM_RSRC3_GFX90A:ACCUM_OFFSET: 3
; COMPUTE_PGM_RSRC3_GFX90A:TG_SPLIT: 0
	.section	.text._ZN7rocprim17ROCPRIM_304000_NS6detail35device_block_merge_mergepath_kernelINS1_37wrapped_merge_sort_block_merge_configINS0_14default_configEbN2at4cuda3cub6detail10OpaqueTypeILi8EEEEEPbSC_PSA_SD_jNS1_19radix_merge_compareILb0ELb0EbNS0_19identity_decomposerEEEEEvT0_T1_T2_T3_T4_SL_jT5_PKSL_NS1_7vsmem_tE,"axG",@progbits,_ZN7rocprim17ROCPRIM_304000_NS6detail35device_block_merge_mergepath_kernelINS1_37wrapped_merge_sort_block_merge_configINS0_14default_configEbN2at4cuda3cub6detail10OpaqueTypeILi8EEEEEPbSC_PSA_SD_jNS1_19radix_merge_compareILb0ELb0EbNS0_19identity_decomposerEEEEEvT0_T1_T2_T3_T4_SL_jT5_PKSL_NS1_7vsmem_tE,comdat
	.protected	_ZN7rocprim17ROCPRIM_304000_NS6detail35device_block_merge_mergepath_kernelINS1_37wrapped_merge_sort_block_merge_configINS0_14default_configEbN2at4cuda3cub6detail10OpaqueTypeILi8EEEEEPbSC_PSA_SD_jNS1_19radix_merge_compareILb0ELb0EbNS0_19identity_decomposerEEEEEvT0_T1_T2_T3_T4_SL_jT5_PKSL_NS1_7vsmem_tE ; -- Begin function _ZN7rocprim17ROCPRIM_304000_NS6detail35device_block_merge_mergepath_kernelINS1_37wrapped_merge_sort_block_merge_configINS0_14default_configEbN2at4cuda3cub6detail10OpaqueTypeILi8EEEEEPbSC_PSA_SD_jNS1_19radix_merge_compareILb0ELb0EbNS0_19identity_decomposerEEEEEvT0_T1_T2_T3_T4_SL_jT5_PKSL_NS1_7vsmem_tE
	.globl	_ZN7rocprim17ROCPRIM_304000_NS6detail35device_block_merge_mergepath_kernelINS1_37wrapped_merge_sort_block_merge_configINS0_14default_configEbN2at4cuda3cub6detail10OpaqueTypeILi8EEEEEPbSC_PSA_SD_jNS1_19radix_merge_compareILb0ELb0EbNS0_19identity_decomposerEEEEEvT0_T1_T2_T3_T4_SL_jT5_PKSL_NS1_7vsmem_tE
	.p2align	8
	.type	_ZN7rocprim17ROCPRIM_304000_NS6detail35device_block_merge_mergepath_kernelINS1_37wrapped_merge_sort_block_merge_configINS0_14default_configEbN2at4cuda3cub6detail10OpaqueTypeILi8EEEEEPbSC_PSA_SD_jNS1_19radix_merge_compareILb0ELb0EbNS0_19identity_decomposerEEEEEvT0_T1_T2_T3_T4_SL_jT5_PKSL_NS1_7vsmem_tE,@function
_ZN7rocprim17ROCPRIM_304000_NS6detail35device_block_merge_mergepath_kernelINS1_37wrapped_merge_sort_block_merge_configINS0_14default_configEbN2at4cuda3cub6detail10OpaqueTypeILi8EEEEEPbSC_PSA_SD_jNS1_19radix_merge_compareILb0ELb0EbNS0_19identity_decomposerEEEEEvT0_T1_T2_T3_T4_SL_jT5_PKSL_NS1_7vsmem_tE: ; @_ZN7rocprim17ROCPRIM_304000_NS6detail35device_block_merge_mergepath_kernelINS1_37wrapped_merge_sort_block_merge_configINS0_14default_configEbN2at4cuda3cub6detail10OpaqueTypeILi8EEEEEPbSC_PSA_SD_jNS1_19radix_merge_compareILb0ELb0EbNS0_19identity_decomposerEEEEEvT0_T1_T2_T3_T4_SL_jT5_PKSL_NS1_7vsmem_tE
; %bb.0:
	s_load_dwordx2 s[24:25], s[4:5], 0x40
	s_load_dwordx4 s[16:19], s[4:5], 0x20
	s_add_u32 s2, s4, 64
	s_addc_u32 s3, s5, 0
	s_waitcnt lgkmcnt(0)
	s_mul_i32 s0, s25, s8
	s_add_i32 s0, s0, s7
	s_mul_i32 s0, s0, s24
	s_add_i32 s0, s0, s6
	s_cmp_ge_u32 s0, s18
	s_cbranch_scc1 .LBB174_75
; %bb.1:
	s_load_dwordx8 s[8:15], s[4:5], 0x0
	s_load_dwordx2 s[20:21], s[4:5], 0x30
	s_lshr_b32 s27, s16, 10
	s_cmp_lg_u32 s0, s27
	s_mov_b32 s1, 0
	s_cselect_b64 s[18:19], -1, 0
	s_lshl_b64 s[4:5], s[0:1], 2
	s_waitcnt lgkmcnt(0)
	s_add_u32 s4, s20, s4
	s_addc_u32 s5, s21, s5
	s_load_dwordx2 s[20:21], s[4:5], 0x0
	s_lshr_b32 s4, s17, 9
	s_and_b32 s4, s4, 0x7ffffe
	s_sub_i32 s4, 0, s4
	s_and_b32 s5, s0, s4
	s_lshl_b32 s7, s5, 10
	s_lshl_b32 s25, s0, 10
	;; [unrolled: 1-line block ×3, first 2 shown]
	s_sub_i32 s22, s25, s7
	s_add_i32 s5, s5, s17
	s_add_i32 s23, s5, s22
	s_waitcnt lgkmcnt(0)
	s_sub_i32 s22, s23, s20
	s_sub_i32 s23, s23, s21
	;; [unrolled: 1-line block ×3, first 2 shown]
	s_min_u32 s22, s16, s22
	s_addk_i32 s23, 0x400
	s_or_b32 s4, s0, s4
	s_min_u32 s7, s16, s5
	s_add_i32 s5, s5, s17
	s_cmp_eq_u32 s4, -1
	s_cselect_b32 s4, s5, s23
	s_cselect_b32 s5, s7, s21
	s_min_u32 s4, s4, s16
	s_sub_i32 s17, s5, s20
	s_sub_i32 s26, s4, s22
	s_add_u32 s4, s8, s20
	s_addc_u32 s5, s9, 0
	s_add_u32 s7, s8, s22
	s_addc_u32 s8, s9, 0
	s_cmp_lt_u32 s6, s24
	v_mov_b32_e32 v1, 0
	s_cselect_b32 s6, 12, 18
	global_load_dword v2, v1, s[2:3] offset:14
	s_add_u32 s2, s2, s6
	s_addc_u32 s3, s3, 0
	global_load_ushort v1, v1, s[2:3]
	s_mov_b32 s23, s1
	s_mov_b32 s21, s1
	s_cmp_eq_u32 s0, s27
	v_cmp_gt_u32_e32 vcc, s17, v0
	s_waitcnt vmcnt(1)
	v_lshrrev_b32_e32 v3, 16, v2
	v_and_b32_e32 v2, 0xffff, v2
	v_mul_lo_u32 v2, v2, v3
	s_waitcnt vmcnt(0)
	v_mul_lo_u32 v2, v2, v1
	v_add_u32_e32 v4, v2, v0
	v_add_u32_e32 v3, v4, v2
	s_cbranch_scc1 .LBB174_3
; %bb.2:
	v_mov_b32_e32 v1, s17
	v_cndmask_b32_e64 v5, v1, 0, vcc
	v_mov_b32_e32 v12, s7
	v_mov_b32_e32 v13, s4
	v_sub_u32_e32 v5, v0, v5
	v_mov_b32_e32 v6, s8
	v_mov_b32_e32 v7, s5
	v_cndmask_b32_e32 v8, v12, v13, vcc
	v_cndmask_b32_e32 v9, v6, v7, vcc
	v_add_co_u32_e32 v8, vcc, v8, v5
	v_addc_co_u32_e32 v9, vcc, 0, v9, vcc
	v_cmp_gt_u32_e32 vcc, s17, v4
	v_cndmask_b32_e64 v5, v1, 0, vcc
	v_sub_u32_e32 v5, v4, v5
	v_cndmask_b32_e32 v10, v12, v13, vcc
	v_cndmask_b32_e32 v11, v6, v7, vcc
	v_add_co_u32_e32 v10, vcc, v10, v5
	v_addc_co_u32_e32 v11, vcc, 0, v11, vcc
	v_cmp_gt_u32_e32 vcc, s17, v3
	v_cndmask_b32_e64 v1, v1, 0, vcc
	v_sub_u32_e32 v1, v3, v1
	v_cndmask_b32_e32 v5, v6, v7, vcc
	v_cndmask_b32_e32 v6, v12, v13, vcc
	v_add_co_u32_e32 v12, vcc, v6, v1
	v_addc_co_u32_e32 v13, vcc, 0, v5, vcc
	global_load_ubyte v6, v[10:11], off
	global_load_ubyte v7, v[12:13], off
	;; [unrolled: 1-line block ×3, first 2 shown]
	v_add_u32_e32 v5, v3, v2
	s_add_i32 s6, s26, s17
	s_mov_b64 s[0:1], -1
	s_cbranch_execz .LBB174_4
	s_branch .LBB174_11
.LBB174_3:
	s_mov_b64 s[0:1], 0
                                        ; implicit-def: $vgpr5
                                        ; implicit-def: $vgpr1
                                        ; implicit-def: $vgpr6
                                        ; implicit-def: $vgpr7
                                        ; implicit-def: $sgpr6
.LBB174_4:
	s_add_i32 s6, s26, s17
	v_cmp_gt_u32_e32 vcc, s6, v0
                                        ; implicit-def: $vgpr1
	s_and_saveexec_b64 s[0:1], vcc
	s_cbranch_execz .LBB174_6
; %bb.5:
	s_waitcnt vmcnt(0)
	v_mov_b32_e32 v1, s8
	v_mov_b32_e32 v5, s5
	v_cmp_gt_u32_e32 vcc, s17, v0
	v_cndmask_b32_e32 v1, v1, v5, vcc
	v_mov_b32_e32 v5, s7
	v_mov_b32_e32 v6, s4
	v_cndmask_b32_e32 v5, v5, v6, vcc
	v_mov_b32_e32 v6, s17
	v_cndmask_b32_e64 v6, v6, 0, vcc
	v_sub_u32_e32 v6, v0, v6
	v_add_co_u32_e32 v6, vcc, v5, v6
	v_addc_co_u32_e32 v7, vcc, 0, v1, vcc
	global_load_ubyte v1, v[6:7], off
.LBB174_6:
	s_or_b64 exec, exec, s[0:1]
	v_cmp_gt_u32_e32 vcc, s6, v4
                                        ; implicit-def: $vgpr6
	s_and_saveexec_b64 s[0:1], vcc
	s_cbranch_execz .LBB174_8
; %bb.7:
	v_mov_b32_e32 v5, s8
	s_waitcnt vmcnt(2)
	v_mov_b32_e32 v6, s5
	v_cmp_gt_u32_e32 vcc, s17, v4
	v_cndmask_b32_e32 v5, v5, v6, vcc
	v_mov_b32_e32 v6, s7
	s_waitcnt vmcnt(1)
	v_mov_b32_e32 v7, s4
	v_cndmask_b32_e32 v6, v6, v7, vcc
	v_mov_b32_e32 v7, s17
	v_cndmask_b32_e64 v7, v7, 0, vcc
	v_sub_u32_e32 v4, v4, v7
	v_add_co_u32_e32 v4, vcc, v6, v4
	v_addc_co_u32_e32 v5, vcc, 0, v5, vcc
	global_load_ubyte v6, v[4:5], off
.LBB174_8:
	s_or_b64 exec, exec, s[0:1]
	v_cmp_gt_u32_e32 vcc, s6, v3
                                        ; implicit-def: $vgpr7
	s_and_saveexec_b64 s[0:1], vcc
	s_cbranch_execz .LBB174_10
; %bb.9:
	v_mov_b32_e32 v4, s8
	v_mov_b32_e32 v5, s5
	v_cmp_gt_u32_e32 vcc, s17, v3
	v_cndmask_b32_e32 v5, v4, v5, vcc
	v_mov_b32_e32 v4, s7
	s_waitcnt vmcnt(1)
	v_mov_b32_e32 v7, s4
	v_cndmask_b32_e32 v4, v4, v7, vcc
	v_mov_b32_e32 v7, s17
	v_cndmask_b32_e64 v7, v7, 0, vcc
	v_sub_u32_e32 v7, v3, v7
	v_add_co_u32_e32 v4, vcc, v4, v7
	v_addc_co_u32_e32 v5, vcc, 0, v5, vcc
	global_load_ubyte v7, v[4:5], off
.LBB174_10:
	s_or_b64 exec, exec, s[0:1]
	v_add_u32_e32 v5, v3, v2
	v_cmp_gt_u32_e64 s[0:1], s6, v5
.LBB174_11:
	v_mov_b32_e32 v9, s6
                                        ; implicit-def: $vgpr10
	s_and_saveexec_b64 s[2:3], s[0:1]
	s_cbranch_execz .LBB174_13
; %bb.12:
	v_mov_b32_e32 v2, s17
	v_cmp_gt_u32_e32 vcc, s17, v5
	v_cndmask_b32_e64 v2, v2, 0, vcc
	v_mov_b32_e32 v3, s8
	v_mov_b32_e32 v4, s5
	v_sub_u32_e32 v2, v5, v2
	v_cndmask_b32_e32 v3, v3, v4, vcc
	v_mov_b32_e32 v4, s7
	v_mov_b32_e32 v5, s4
	v_cndmask_b32_e32 v4, v4, v5, vcc
	v_add_co_u32_e32 v2, vcc, v4, v2
	v_addc_co_u32_e32 v3, vcc, 0, v3, vcc
	global_load_ubyte v10, v[2:3], off
	v_mov_b32_e32 v9, s6
.LBB174_13:
	s_or_b64 exec, exec, s[2:3]
	v_lshlrev_b32_e32 v8, 2, v0
	v_min_u32_e32 v3, v9, v8
	v_sub_u32_e64 v2, v3, s26 clamp
	v_min_u32_e32 v4, s17, v3
	v_cmp_lt_u32_e32 vcc, v2, v4
	s_waitcnt vmcnt(0)
	ds_write_b8 v0, v1
	ds_write_b8 v0, v6 offset:256
	ds_write_b8 v0, v7 offset:512
	;; [unrolled: 1-line block ×3, first 2 shown]
	s_waitcnt lgkmcnt(0)
	s_barrier
	s_and_saveexec_b64 s[0:1], vcc
	s_cbranch_execz .LBB174_17
; %bb.14:
	v_add_u32_e32 v5, s17, v3
	s_mov_b64 s[2:3], 0
.LBB174_15:                             ; =>This Inner Loop Header: Depth=1
	v_add_u32_e32 v11, v4, v2
	v_lshrrev_b32_e32 v11, 1, v11
	v_xad_u32 v12, v11, -1, v5
	ds_read_u8 v13, v11
	ds_read_u8 v12, v12
	v_add_u32_e32 v14, 1, v11
	s_waitcnt lgkmcnt(0)
	v_cmp_gt_u16_e32 vcc, v13, v12
	v_cndmask_b32_e32 v4, v4, v11, vcc
	v_cndmask_b32_e32 v2, v14, v2, vcc
	v_cmp_ge_u32_e32 vcc, v2, v4
	s_or_b64 s[2:3], vcc, s[2:3]
	s_andn2_b64 exec, exec, s[2:3]
	s_cbranch_execnz .LBB174_15
; %bb.16:
	s_or_b64 exec, exec, s[2:3]
.LBB174_17:
	s_or_b64 exec, exec, s[0:1]
	v_sub_u32_e32 v3, v3, v2
	v_add_u32_e32 v3, s17, v3
	v_cmp_ge_u32_e32 vcc, s17, v2
	v_cmp_le_u32_e64 s[0:1], v3, v9
	s_or_b64 s[0:1], vcc, s[0:1]
                                        ; implicit-def: $vgpr11
                                        ; implicit-def: $vgpr12
                                        ; implicit-def: $vgpr13
                                        ; implicit-def: $vgpr14
	s_and_saveexec_b64 s[6:7], s[0:1]
	s_cbranch_execz .LBB174_23
; %bb.18:
	v_cmp_gt_u32_e32 vcc, s17, v2
                                        ; implicit-def: $vgpr1
	s_and_saveexec_b64 s[0:1], vcc
	s_cbranch_execz .LBB174_20
; %bb.19:
	ds_read_u8 v1, v2
.LBB174_20:
	s_or_b64 exec, exec, s[0:1]
	v_cmp_ge_u32_e64 s[0:1], v3, v9
	v_cmp_lt_u32_e64 s[2:3], v3, v9
                                        ; implicit-def: $vgpr4
	s_and_saveexec_b64 s[4:5], s[2:3]
	s_cbranch_execz .LBB174_22
; %bb.21:
	ds_read_u8 v4, v3
.LBB174_22:
	s_or_b64 exec, exec, s[4:5]
	s_waitcnt lgkmcnt(0)
	v_cmp_le_u16_sdwa s[2:3], v1, v4 src0_sel:BYTE_0 src1_sel:BYTE_0
	s_and_b64 s[2:3], vcc, s[2:3]
	s_or_b64 vcc, s[0:1], s[2:3]
	v_mov_b32_e32 v5, s17
	v_cndmask_b32_e32 v14, v3, v2, vcc
	v_cndmask_b32_e32 v6, v9, v5, vcc
	v_add_u32_e32 v7, 1, v14
	v_add_u32_e32 v6, -1, v6
	v_min_u32_e32 v6, v7, v6
	ds_read_u8 v6, v6
	v_cndmask_b32_e32 v2, v2, v7, vcc
	v_cndmask_b32_e32 v3, v7, v3, vcc
	v_cmp_gt_u32_e64 s[2:3], s17, v2
	v_cmp_ge_u32_e64 s[0:1], v3, v9
	s_waitcnt lgkmcnt(0)
	v_cndmask_b32_e32 v10, v6, v4, vcc
	v_cndmask_b32_e32 v6, v1, v6, vcc
	v_cmp_le_u16_sdwa s[4:5], v6, v10 src0_sel:BYTE_0 src1_sel:BYTE_0
	s_and_b64 s[2:3], s[4:5], s[2:3]
	s_or_b64 s[0:1], s[0:1], s[2:3]
	v_cndmask_b32_e64 v13, v3, v2, s[0:1]
	v_cndmask_b32_e64 v7, v9, v5, s[0:1]
	v_add_u32_e32 v11, 1, v13
	v_add_u32_e32 v7, -1, v7
	v_min_u32_e32 v7, v11, v7
	ds_read_u8 v7, v7
	v_cndmask_b32_e64 v2, v2, v11, s[0:1]
	v_cndmask_b32_e64 v3, v11, v3, s[0:1]
	v_cmp_gt_u32_e64 s[4:5], s17, v2
	v_cmp_ge_u32_e64 s[2:3], v3, v9
	s_waitcnt lgkmcnt(0)
	v_cndmask_b32_e64 v15, v7, v10, s[0:1]
	v_cndmask_b32_e64 v16, v6, v7, s[0:1]
	v_cmp_le_u16_sdwa s[8:9], v16, v15 src0_sel:BYTE_0 src1_sel:BYTE_0
	s_and_b64 s[4:5], s[8:9], s[4:5]
	s_or_b64 s[2:3], s[2:3], s[4:5]
	v_cndmask_b32_e64 v12, v3, v2, s[2:3]
	v_cndmask_b32_e64 v5, v9, v5, s[2:3]
	v_add_u32_e32 v11, 1, v12
	v_add_u32_e32 v5, -1, v5
	v_min_u32_e32 v5, v11, v5
	ds_read_u8 v5, v5
	v_cndmask_b32_e32 v1, v4, v1, vcc
	v_cndmask_b32_e64 v2, v2, v11, s[2:3]
	v_cndmask_b32_e64 v6, v10, v6, s[0:1]
	;; [unrolled: 1-line block ×3, first 2 shown]
	s_waitcnt lgkmcnt(0)
	v_cndmask_b32_e64 v4, v5, v15, s[2:3]
	v_cndmask_b32_e64 v5, v16, v5, s[2:3]
	;; [unrolled: 1-line block ×3, first 2 shown]
	v_cmp_gt_u32_e64 s[0:1], s17, v2
	v_cmp_le_u16_sdwa s[2:3], v5, v4 src0_sel:BYTE_0 src1_sel:BYTE_0
	v_cmp_ge_u32_e32 vcc, v3, v9
	s_and_b64 s[0:1], s[2:3], s[0:1]
	s_or_b64 vcc, vcc, s[0:1]
	v_cndmask_b32_e32 v11, v3, v2, vcc
	v_cndmask_b32_e32 v10, v4, v5, vcc
.LBB174_23:
	s_or_b64 exec, exec, s[6:7]
	s_lshl_b64 s[0:1], s[20:21], 3
	s_add_u32 s24, s12, s0
	s_addc_u32 s27, s13, s1
	s_lshl_b64 s[0:1], s[22:23], 3
	s_add_u32 s28, s12, s0
	v_cndmask_b32_e64 v2, 0, 1, s[18:19]
	s_addc_u32 s29, s13, s1
	v_cmp_gt_u32_e64 s[4:5], s17, v0
	v_cmp_ne_u32_e64 s[0:1], 1, v2
	s_andn2_b64 vcc, exec, s[18:19]
	v_cmp_le_u32_e64 s[2:3], s17, v0
	s_barrier
	s_cbranch_vccnz .LBB174_25
; %bb.24:
	v_subrev_u32_e32 v2, s17, v0
	v_mov_b32_e32 v3, 0
	v_lshlrev_b64 v[4:5], 3, v[2:3]
	v_mov_b32_e32 v2, s29
	v_add_co_u32_e32 v4, vcc, s28, v4
	v_addc_co_u32_e32 v2, vcc, v2, v5, vcc
	v_lshlrev_b32_e32 v20, 3, v0
	v_mov_b32_e32 v5, s27
	v_add_co_u32_e32 v21, vcc, s24, v20
	v_addc_co_u32_e32 v22, vcc, 0, v5, vcc
	v_cndmask_b32_e64 v5, v2, v22, s[4:5]
	v_cndmask_b32_e64 v4, v4, v21, s[4:5]
	v_or_b32_e32 v15, 0x100, v0
	s_movk_i32 s4, 0x800
	v_add_co_u32_e32 v18, vcc, s4, v21
	v_subrev_u32_e32 v2, s17, v15
	v_addc_co_u32_e32 v19, vcc, 0, v22, vcc
	v_lshlrev_b64 v[16:17], 3, v[2:3]
	v_mov_b32_e32 v2, s29
	v_add_co_u32_e32 v16, vcc, s28, v16
	v_addc_co_u32_e32 v2, vcc, v2, v17, vcc
	v_cmp_gt_u32_e32 vcc, s17, v15
	v_or_b32_e32 v15, 0x200, v0
	s_movk_i32 s4, 0x1000
	v_cndmask_b32_e32 v17, v2, v19, vcc
	v_cndmask_b32_e32 v16, v16, v18, vcc
	v_add_co_u32_e32 v23, vcc, s4, v21
	v_subrev_u32_e32 v2, s17, v15
	v_addc_co_u32_e32 v24, vcc, 0, v22, vcc
	v_lshlrev_b64 v[18:19], 3, v[2:3]
	v_mov_b32_e32 v2, s29
	v_add_co_u32_e32 v18, vcc, s28, v18
	v_addc_co_u32_e32 v2, vcc, v2, v19, vcc
	v_cmp_gt_u32_e32 vcc, s17, v15
	global_load_dwordx2 v[4:5], v[4:5], off
	v_cndmask_b32_e32 v19, v2, v24, vcc
	global_load_dwordx2 v[16:17], v[16:17], off
	v_cndmask_b32_e32 v18, v18, v23, vcc
	global_load_dwordx2 v[18:19], v[18:19], off
	v_or_b32_e32 v23, 0x300, v0
	s_movk_i32 s4, 0x1800
	v_add_co_u32_e32 v21, vcc, s4, v21
	v_subrev_u32_e32 v2, s17, v23
	v_addc_co_u32_e32 v22, vcc, 0, v22, vcc
	v_lshlrev_b64 v[2:3], 3, v[2:3]
	v_mov_b32_e32 v24, s29
	v_add_co_u32_e32 v2, vcc, s28, v2
	v_addc_co_u32_e32 v3, vcc, v24, v3, vcc
	v_cmp_gt_u32_e32 vcc, s17, v23
	v_or_b32_e32 v15, 0x1800, v20
	v_cndmask_b32_e32 v3, v3, v22, vcc
	v_cndmask_b32_e32 v2, v2, v21, vcc
	s_mov_b64 s[4:5], -1
	s_waitcnt vmcnt(1)
	ds_write2st64_b64 v20, v[4:5], v[16:17] offset1:4
	s_waitcnt vmcnt(0)
	ds_write_b64 v20, v[18:19] offset:4096
	s_cbranch_execz .LBB174_26
	s_branch .LBB174_47
.LBB174_25:
	s_mov_b64 s[4:5], 0
                                        ; implicit-def: $vgpr15
                                        ; implicit-def: $vgpr2_vgpr3
.LBB174_26:
	s_mov_b64 s[6:7], 0
                                        ; implicit-def: $vgpr2_vgpr3
	s_and_saveexec_b64 s[8:9], s[2:3]
	s_xor_b64 s[2:3], exec, s[8:9]
	s_cbranch_execz .LBB174_51
; %bb.27:
	v_subrev_u32_e32 v4, s17, v0
	v_cmp_gt_u32_e32 vcc, s26, v4
                                        ; implicit-def: $vgpr2_vgpr3
	s_and_saveexec_b64 s[8:9], vcc
	s_xor_b64 s[8:9], exec, s[8:9]
; %bb.28:
	v_mov_b32_e32 v5, 0
	v_lshlrev_b64 v[2:3], 3, v[4:5]
	v_mov_b32_e32 v4, s29
	v_add_co_u32_e32 v2, vcc, s28, v2
	s_mov_b64 s[6:7], exec
	v_addc_co_u32_e32 v3, vcc, v4, v3, vcc
; %bb.29:
	s_or_b64 exec, exec, s[8:9]
	s_and_b64 s[6:7], s[6:7], exec
	s_andn2_saveexec_b64 s[2:3], s[2:3]
	s_cbranch_execnz .LBB174_52
.LBB174_30:
	s_or_b64 exec, exec, s[2:3]
	v_mad_u32_u24 v15, v0, 7, v0
	s_and_saveexec_b64 s[2:3], s[6:7]
	s_cbranch_execz .LBB174_32
.LBB174_31:
	global_load_dwordx2 v[2:3], v[2:3], off
	s_waitcnt vmcnt(0)
	ds_write_b64 v15, v[2:3]
.LBB174_32:
	s_or_b64 exec, exec, s[2:3]
	v_or_b32_e32 v2, 0x100, v0
	v_cmp_le_u32_e32 vcc, s17, v2
	s_mov_b64 s[6:7], -1
	v_pk_mov_b32 v[4:5], s[20:21], s[20:21] op_sel:[0,1]
	s_and_saveexec_b64 s[2:3], vcc
; %bb.33:
	v_subrev_u32_e32 v2, s17, v2
	v_cmp_gt_u32_e32 vcc, s26, v2
	v_pk_mov_b32 v[4:5], s[22:23], s[22:23] op_sel:[0,1]
	s_orn2_b64 s[6:7], vcc, exec
; %bb.34:
	s_or_b64 exec, exec, s[2:3]
	s_and_saveexec_b64 s[2:3], s[6:7]
	s_cbranch_execz .LBB174_36
; %bb.35:
	v_lshlrev_b64 v[4:5], 3, v[4:5]
	v_mov_b32_e32 v3, s13
	v_add_co_u32_e32 v4, vcc, s12, v4
	v_addc_co_u32_e32 v5, vcc, v3, v5, vcc
	v_mov_b32_e32 v3, 0
	v_lshlrev_b64 v[2:3], 3, v[2:3]
	v_add_co_u32_e32 v2, vcc, v4, v2
	v_addc_co_u32_e32 v3, vcc, v5, v3, vcc
	global_load_dwordx2 v[2:3], v[2:3], off
	s_waitcnt vmcnt(0)
	ds_write_b64 v15, v[2:3] offset:2048
.LBB174_36:
	s_or_b64 exec, exec, s[2:3]
	v_or_b32_e32 v2, 0x200, v0
	v_cmp_le_u32_e32 vcc, s17, v2
	s_mov_b64 s[6:7], -1
	v_pk_mov_b32 v[4:5], s[20:21], s[20:21] op_sel:[0,1]
	s_and_saveexec_b64 s[2:3], vcc
; %bb.37:
	v_subrev_u32_e32 v2, s17, v2
	v_cmp_gt_u32_e32 vcc, s26, v2
	v_pk_mov_b32 v[4:5], s[22:23], s[22:23] op_sel:[0,1]
	s_orn2_b64 s[6:7], vcc, exec
; %bb.38:
	s_or_b64 exec, exec, s[2:3]
	s_and_saveexec_b64 s[2:3], s[6:7]
	s_cbranch_execz .LBB174_40
; %bb.39:
	v_lshlrev_b64 v[4:5], 3, v[4:5]
	v_mov_b32_e32 v3, s13
	v_add_co_u32_e32 v4, vcc, s12, v4
	v_addc_co_u32_e32 v5, vcc, v3, v5, vcc
	v_mov_b32_e32 v3, 0
	v_lshlrev_b64 v[2:3], 3, v[2:3]
	v_add_co_u32_e32 v2, vcc, v4, v2
	v_addc_co_u32_e32 v3, vcc, v5, v3, vcc
	global_load_dwordx2 v[2:3], v[2:3], off
	s_waitcnt vmcnt(0)
	ds_write_b64 v15, v[2:3] offset:4096
.LBB174_40:
	s_or_b64 exec, exec, s[2:3]
	v_or_b32_e32 v4, 0x300, v0
	v_cmp_le_u32_e32 vcc, s17, v4
                                        ; implicit-def: $vgpr15
                                        ; implicit-def: $vgpr2_vgpr3
	s_and_saveexec_b64 s[2:3], vcc
	s_xor_b64 s[2:3], exec, s[2:3]
	s_cbranch_execz .LBB174_44
; %bb.41:
	v_subrev_u32_e32 v4, s17, v4
	v_cmp_gt_u32_e32 vcc, s26, v4
	s_mov_b64 s[8:9], s[4:5]
                                        ; implicit-def: $vgpr15
                                        ; implicit-def: $vgpr2_vgpr3
	s_and_saveexec_b64 s[6:7], vcc
; %bb.42:
	v_mul_u32_u24_e32 v2, 7, v0
	s_movk_i32 s8, 0x1800
	v_mov_b32_e32 v5, 0
	v_add3_u32 v15, v0, v2, s8
	v_lshlrev_b64 v[2:3], 3, v[4:5]
	v_mov_b32_e32 v4, s29
	v_add_co_u32_e32 v2, vcc, s28, v2
	v_addc_co_u32_e32 v3, vcc, v4, v3, vcc
	s_or_b64 s[8:9], s[4:5], exec
; %bb.43:
	s_or_b64 exec, exec, s[6:7]
	s_andn2_b64 s[4:5], s[4:5], exec
	s_and_b64 s[6:7], s[8:9], exec
	s_or_b64 s[4:5], s[4:5], s[6:7]
                                        ; implicit-def: $vgpr4
.LBB174_44:
	s_andn2_saveexec_b64 s[2:3], s[2:3]
; %bb.45:
	v_lshlrev_b32_e32 v2, 3, v4
	v_mov_b32_e32 v3, s27
	v_add_co_u32_e32 v2, vcc, s24, v2
	v_mul_u32_u24_e32 v4, 7, v0
	s_movk_i32 s6, 0x1800
	v_addc_co_u32_e32 v3, vcc, 0, v3, vcc
	v_add3_u32 v15, v0, v4, s6
	s_or_b64 s[4:5], s[4:5], exec
; %bb.46:
	s_or_b64 exec, exec, s[2:3]
.LBB174_47:
	s_and_saveexec_b64 s[2:3], s[4:5]
	s_cbranch_execz .LBB174_49
; %bb.48:
	global_load_dwordx2 v[2:3], v[2:3], off
	s_waitcnt vmcnt(0)
	ds_write_b64 v15, v[2:3]
.LBB174_49:
	s_or_b64 exec, exec, s[2:3]
	s_and_b64 vcc, exec, s[0:1]
	v_add_u32_e32 v2, s25, v8
	s_waitcnt lgkmcnt(0)
	s_barrier
	s_cbranch_vccnz .LBB174_53
; %bb.50:
	v_lshlrev_b32_e32 v15, 3, v14
	v_lshlrev_b32_e32 v18, 3, v13
	;; [unrolled: 1-line block ×3, first 2 shown]
	ds_read_b64 v[16:17], v15
	ds_read_b64 v[18:19], v18
	;; [unrolled: 1-line block ×3, first 2 shown]
	v_mov_b32_e32 v3, 0
	v_lshlrev_b64 v[4:5], 3, v[2:3]
	v_mov_b32_e32 v22, s15
	v_add_co_u32_e32 v4, vcc, s14, v4
	v_addc_co_u32_e32 v5, vcc, v22, v5, vcc
	s_mov_b64 s[0:1], -1
	s_waitcnt lgkmcnt(1)
	global_store_dwordx4 v[4:5], v[16:19], off
	s_waitcnt lgkmcnt(0)
	global_store_dwordx2 v[4:5], v[20:21], off offset:16
	s_cbranch_execz .LBB174_54
	s_branch .LBB174_63
.LBB174_51:
	s_andn2_saveexec_b64 s[2:3], s[2:3]
	s_cbranch_execz .LBB174_30
.LBB174_52:
	v_lshlrev_b32_e32 v2, 3, v0
	v_mov_b32_e32 v3, s27
	v_add_co_u32_e32 v2, vcc, s24, v2
	v_addc_co_u32_e32 v3, vcc, 0, v3, vcc
	s_or_b64 s[6:7], s[6:7], exec
	s_or_b64 exec, exec, s[2:3]
	v_mad_u32_u24 v15, v0, 7, v0
	s_and_saveexec_b64 s[2:3], s[6:7]
	s_cbranch_execnz .LBB174_31
	s_branch .LBB174_32
.LBB174_53:
	s_mov_b64 s[0:1], 0
.LBB174_54:
	v_cmp_lt_u32_e32 vcc, v8, v9
	s_and_saveexec_b64 s[2:3], vcc
	s_cbranch_execz .LBB174_56
; %bb.55:
	v_lshlrev_b32_e32 v14, 3, v14
	ds_read_b64 v[14:15], v14
	v_mov_b32_e32 v3, 0
	v_lshlrev_b64 v[4:5], 3, v[2:3]
	v_mov_b32_e32 v3, s15
	v_add_co_u32_e32 v4, vcc, s14, v4
	v_addc_co_u32_e32 v5, vcc, v3, v5, vcc
	s_waitcnt lgkmcnt(0)
	global_store_dwordx2 v[4:5], v[14:15], off
.LBB174_56:
	s_or_b64 exec, exec, s[2:3]
	v_or_b32_e32 v3, 1, v8
	v_cmp_lt_u32_e32 vcc, v3, v9
	s_and_saveexec_b64 s[2:3], vcc
	s_cbranch_execz .LBB174_58
; %bb.57:
	v_lshlrev_b32_e32 v13, 3, v13
	ds_read_b64 v[14:15], v13
	v_mov_b32_e32 v3, 0
	v_lshlrev_b64 v[4:5], 3, v[2:3]
	v_mov_b32_e32 v3, s15
	v_add_co_u32_e32 v4, vcc, s14, v4
	v_addc_co_u32_e32 v5, vcc, v3, v5, vcc
	s_waitcnt lgkmcnt(0)
	global_store_dwordx2 v[4:5], v[14:15], off offset:8
.LBB174_58:
	s_or_b64 exec, exec, s[2:3]
	v_or_b32_e32 v3, 2, v8
	v_cmp_lt_u32_e32 vcc, v3, v9
	s_and_saveexec_b64 s[2:3], vcc
	s_cbranch_execz .LBB174_60
; %bb.59:
	v_lshlrev_b32_e32 v12, 3, v12
	ds_read_b64 v[12:13], v12
	v_mov_b32_e32 v3, 0
	v_lshlrev_b64 v[4:5], 3, v[2:3]
	v_mov_b32_e32 v3, s15
	v_add_co_u32_e32 v4, vcc, s14, v4
	v_addc_co_u32_e32 v5, vcc, v3, v5, vcc
	s_waitcnt lgkmcnt(0)
	global_store_dwordx2 v[4:5], v[12:13], off offset:16
.LBB174_60:
	s_or_b64 exec, exec, s[2:3]
	v_or_b32_e32 v3, 3, v8
	v_cmp_lt_u32_e32 vcc, v3, v9
	s_and_saveexec_b64 s[2:3], vcc
; %bb.61:
	v_mov_b32_e32 v3, 0
	s_or_b64 s[0:1], s[0:1], exec
; %bb.62:
	s_or_b64 exec, exec, s[2:3]
.LBB174_63:
	s_and_saveexec_b64 s[2:3], s[0:1]
	s_cbranch_execz .LBB174_65
; %bb.64:
	v_lshlrev_b32_e32 v4, 3, v11
	ds_read_b64 v[4:5], v4
	v_lshlrev_b64 v[2:3], 3, v[2:3]
	v_mov_b32_e32 v9, s15
	v_add_co_u32_e32 v2, vcc, s14, v2
	v_addc_co_u32_e32 v3, vcc, v9, v3, vcc
	s_waitcnt lgkmcnt(0)
	global_store_dwordx2 v[2:3], v[4:5], off offset:24
.LBB174_65:
	s_or_b64 exec, exec, s[2:3]
	v_lshlrev_b16_e32 v3, 8, v6
	v_lshrrev_b32_e32 v2, 3, v0
	v_or_b32_sdwa v1, v1, v3 dst_sel:DWORD dst_unused:UNUSED_PAD src0_sel:BYTE_0 src1_sel:DWORD
	v_lshlrev_b16_e32 v3, 8, v10
	v_and_b32_e32 v2, 28, v2
	v_or_b32_sdwa v3, v7, v3 dst_sel:WORD_1 dst_unused:UNUSED_PAD src0_sel:BYTE_0 src1_sel:DWORD
	v_add_u32_e32 v2, v2, v8
	v_or_b32_sdwa v1, v1, v3 dst_sel:DWORD dst_unused:UNUSED_PAD src0_sel:WORD_0 src1_sel:DWORD
	s_barrier
	s_barrier
	ds_write_b32 v2, v1
	v_lshrrev_b32_e32 v1, 5, v0
	v_or_b32_e32 v5, 0x100, v0
	v_and_b32_e32 v6, 4, v1
	v_lshrrev_b32_e32 v1, 5, v5
	v_or_b32_e32 v4, 0x200, v0
	v_and_b32_e32 v7, 12, v1
	v_lshrrev_b32_e32 v1, 5, v4
	s_add_u32 s0, s10, s25
	v_and_b32_e32 v9, 20, v1
	v_or_b32_e32 v1, 0x300, v0
	s_addc_u32 s1, s11, 0
	v_lshrrev_b32_e32 v2, 5, v1
	v_and_b32_e32 v10, 28, v2
	v_mov_b32_e32 v3, s1
	v_add_co_u32_e32 v2, vcc, s0, v0
	v_addc_co_u32_e32 v3, vcc, 0, v3, vcc
	s_and_b64 vcc, exec, s[18:19]
	v_add_u32_e32 v8, v0, v7
	v_add_u32_e32 v9, v0, v9
	v_add_u32_e32 v10, v0, v10
	s_waitcnt lgkmcnt(0)
	s_cbranch_vccz .LBB174_67
; %bb.66:
	v_add_u32_e32 v7, v0, v6
	s_barrier
	ds_read_u8 v11, v7
	ds_read_u8 v12, v8 offset:256
	ds_read_u8 v13, v9 offset:512
	;; [unrolled: 1-line block ×3, first 2 shown]
	s_waitcnt lgkmcnt(3)
	global_store_byte v[2:3], v11, off
	s_waitcnt lgkmcnt(2)
	global_store_byte v[2:3], v12, off offset:256
	s_waitcnt lgkmcnt(1)
	global_store_byte v[2:3], v13, off offset:512
	s_mov_b64 s[0:1], -1
	s_cbranch_execz .LBB174_68
	s_branch .LBB174_73
.LBB174_67:
	s_mov_b64 s[0:1], 0
                                        ; implicit-def: $vgpr7
.LBB174_68:
	s_barrier
	s_waitcnt lgkmcnt(0)
	ds_read_u8 v11, v8 offset:256
	ds_read_u8 v8, v9 offset:512
	;; [unrolled: 1-line block ×3, first 2 shown]
	s_sub_i32 s2, s16, s25
	v_cmp_gt_u32_e32 vcc, s2, v0
	s_and_saveexec_b64 s[0:1], vcc
	s_cbranch_execz .LBB174_76
; %bb.69:
	v_add_u32_e32 v0, v0, v6
	ds_read_u8 v0, v0
	s_waitcnt lgkmcnt(0)
	global_store_byte v[2:3], v0, off
	s_or_b64 exec, exec, s[0:1]
	v_cmp_gt_u32_e32 vcc, s2, v5
	s_and_saveexec_b64 s[0:1], vcc
	s_cbranch_execnz .LBB174_77
.LBB174_70:
	s_or_b64 exec, exec, s[0:1]
	v_cmp_gt_u32_e32 vcc, s2, v4
	s_and_saveexec_b64 s[0:1], vcc
	s_cbranch_execz .LBB174_72
.LBB174_71:
	s_waitcnt lgkmcnt(1)
	global_store_byte v[2:3], v8, off offset:512
.LBB174_72:
	s_or_b64 exec, exec, s[0:1]
	v_cmp_gt_u32_e64 s[0:1], s2, v1
.LBB174_73:
	s_and_saveexec_b64 s[2:3], s[0:1]
	s_cbranch_execz .LBB174_75
; %bb.74:
	s_waitcnt lgkmcnt(0)
	global_store_byte v[2:3], v7, off offset:768
.LBB174_75:
	s_endpgm
.LBB174_76:
	s_or_b64 exec, exec, s[0:1]
	v_cmp_gt_u32_e32 vcc, s2, v5
	s_and_saveexec_b64 s[0:1], vcc
	s_cbranch_execz .LBB174_70
.LBB174_77:
	s_waitcnt lgkmcnt(2)
	global_store_byte v[2:3], v11, off offset:256
	s_or_b64 exec, exec, s[0:1]
	v_cmp_gt_u32_e32 vcc, s2, v4
	s_and_saveexec_b64 s[0:1], vcc
	s_cbranch_execnz .LBB174_71
	s_branch .LBB174_72
	.section	.rodata,"a",@progbits
	.p2align	6, 0x0
	.amdhsa_kernel _ZN7rocprim17ROCPRIM_304000_NS6detail35device_block_merge_mergepath_kernelINS1_37wrapped_merge_sort_block_merge_configINS0_14default_configEbN2at4cuda3cub6detail10OpaqueTypeILi8EEEEEPbSC_PSA_SD_jNS1_19radix_merge_compareILb0ELb0EbNS0_19identity_decomposerEEEEEvT0_T1_T2_T3_T4_SL_jT5_PKSL_NS1_7vsmem_tE
		.amdhsa_group_segment_fixed_size 8208
		.amdhsa_private_segment_fixed_size 0
		.amdhsa_kernarg_size 320
		.amdhsa_user_sgpr_count 6
		.amdhsa_user_sgpr_private_segment_buffer 1
		.amdhsa_user_sgpr_dispatch_ptr 0
		.amdhsa_user_sgpr_queue_ptr 0
		.amdhsa_user_sgpr_kernarg_segment_ptr 1
		.amdhsa_user_sgpr_dispatch_id 0
		.amdhsa_user_sgpr_flat_scratch_init 0
		.amdhsa_user_sgpr_kernarg_preload_length 0
		.amdhsa_user_sgpr_kernarg_preload_offset 0
		.amdhsa_user_sgpr_private_segment_size 0
		.amdhsa_uses_dynamic_stack 0
		.amdhsa_system_sgpr_private_segment_wavefront_offset 0
		.amdhsa_system_sgpr_workgroup_id_x 1
		.amdhsa_system_sgpr_workgroup_id_y 1
		.amdhsa_system_sgpr_workgroup_id_z 1
		.amdhsa_system_sgpr_workgroup_info 0
		.amdhsa_system_vgpr_workitem_id 0
		.amdhsa_next_free_vgpr 25
		.amdhsa_next_free_sgpr 30
		.amdhsa_accum_offset 28
		.amdhsa_reserve_vcc 1
		.amdhsa_reserve_flat_scratch 0
		.amdhsa_float_round_mode_32 0
		.amdhsa_float_round_mode_16_64 0
		.amdhsa_float_denorm_mode_32 3
		.amdhsa_float_denorm_mode_16_64 3
		.amdhsa_dx10_clamp 1
		.amdhsa_ieee_mode 1
		.amdhsa_fp16_overflow 0
		.amdhsa_tg_split 0
		.amdhsa_exception_fp_ieee_invalid_op 0
		.amdhsa_exception_fp_denorm_src 0
		.amdhsa_exception_fp_ieee_div_zero 0
		.amdhsa_exception_fp_ieee_overflow 0
		.amdhsa_exception_fp_ieee_underflow 0
		.amdhsa_exception_fp_ieee_inexact 0
		.amdhsa_exception_int_div_zero 0
	.end_amdhsa_kernel
	.section	.text._ZN7rocprim17ROCPRIM_304000_NS6detail35device_block_merge_mergepath_kernelINS1_37wrapped_merge_sort_block_merge_configINS0_14default_configEbN2at4cuda3cub6detail10OpaqueTypeILi8EEEEEPbSC_PSA_SD_jNS1_19radix_merge_compareILb0ELb0EbNS0_19identity_decomposerEEEEEvT0_T1_T2_T3_T4_SL_jT5_PKSL_NS1_7vsmem_tE,"axG",@progbits,_ZN7rocprim17ROCPRIM_304000_NS6detail35device_block_merge_mergepath_kernelINS1_37wrapped_merge_sort_block_merge_configINS0_14default_configEbN2at4cuda3cub6detail10OpaqueTypeILi8EEEEEPbSC_PSA_SD_jNS1_19radix_merge_compareILb0ELb0EbNS0_19identity_decomposerEEEEEvT0_T1_T2_T3_T4_SL_jT5_PKSL_NS1_7vsmem_tE,comdat
.Lfunc_end174:
	.size	_ZN7rocprim17ROCPRIM_304000_NS6detail35device_block_merge_mergepath_kernelINS1_37wrapped_merge_sort_block_merge_configINS0_14default_configEbN2at4cuda3cub6detail10OpaqueTypeILi8EEEEEPbSC_PSA_SD_jNS1_19radix_merge_compareILb0ELb0EbNS0_19identity_decomposerEEEEEvT0_T1_T2_T3_T4_SL_jT5_PKSL_NS1_7vsmem_tE, .Lfunc_end174-_ZN7rocprim17ROCPRIM_304000_NS6detail35device_block_merge_mergepath_kernelINS1_37wrapped_merge_sort_block_merge_configINS0_14default_configEbN2at4cuda3cub6detail10OpaqueTypeILi8EEEEEPbSC_PSA_SD_jNS1_19radix_merge_compareILb0ELb0EbNS0_19identity_decomposerEEEEEvT0_T1_T2_T3_T4_SL_jT5_PKSL_NS1_7vsmem_tE
                                        ; -- End function
	.section	.AMDGPU.csdata,"",@progbits
; Kernel info:
; codeLenInByte = 3236
; NumSgprs: 34
; NumVgprs: 25
; NumAgprs: 0
; TotalNumVgprs: 25
; ScratchSize: 0
; MemoryBound: 1
; FloatMode: 240
; IeeeMode: 1
; LDSByteSize: 8208 bytes/workgroup (compile time only)
; SGPRBlocks: 4
; VGPRBlocks: 3
; NumSGPRsForWavesPerEU: 34
; NumVGPRsForWavesPerEU: 25
; AccumOffset: 28
; Occupancy: 7
; WaveLimiterHint : 1
; COMPUTE_PGM_RSRC2:SCRATCH_EN: 0
; COMPUTE_PGM_RSRC2:USER_SGPR: 6
; COMPUTE_PGM_RSRC2:TRAP_HANDLER: 0
; COMPUTE_PGM_RSRC2:TGID_X_EN: 1
; COMPUTE_PGM_RSRC2:TGID_Y_EN: 1
; COMPUTE_PGM_RSRC2:TGID_Z_EN: 1
; COMPUTE_PGM_RSRC2:TIDIG_COMP_CNT: 0
; COMPUTE_PGM_RSRC3_GFX90A:ACCUM_OFFSET: 6
; COMPUTE_PGM_RSRC3_GFX90A:TG_SPLIT: 0
	.section	.text._ZN7rocprim17ROCPRIM_304000_NS6detail33device_block_merge_oddeven_kernelINS1_37wrapped_merge_sort_block_merge_configINS0_14default_configEbN2at4cuda3cub6detail10OpaqueTypeILi8EEEEEPbSC_PSA_SD_jNS1_19radix_merge_compareILb0ELb0EbNS0_19identity_decomposerEEEEEvT0_T1_T2_T3_T4_SL_T5_,"axG",@progbits,_ZN7rocprim17ROCPRIM_304000_NS6detail33device_block_merge_oddeven_kernelINS1_37wrapped_merge_sort_block_merge_configINS0_14default_configEbN2at4cuda3cub6detail10OpaqueTypeILi8EEEEEPbSC_PSA_SD_jNS1_19radix_merge_compareILb0ELb0EbNS0_19identity_decomposerEEEEEvT0_T1_T2_T3_T4_SL_T5_,comdat
	.protected	_ZN7rocprim17ROCPRIM_304000_NS6detail33device_block_merge_oddeven_kernelINS1_37wrapped_merge_sort_block_merge_configINS0_14default_configEbN2at4cuda3cub6detail10OpaqueTypeILi8EEEEEPbSC_PSA_SD_jNS1_19radix_merge_compareILb0ELb0EbNS0_19identity_decomposerEEEEEvT0_T1_T2_T3_T4_SL_T5_ ; -- Begin function _ZN7rocprim17ROCPRIM_304000_NS6detail33device_block_merge_oddeven_kernelINS1_37wrapped_merge_sort_block_merge_configINS0_14default_configEbN2at4cuda3cub6detail10OpaqueTypeILi8EEEEEPbSC_PSA_SD_jNS1_19radix_merge_compareILb0ELb0EbNS0_19identity_decomposerEEEEEvT0_T1_T2_T3_T4_SL_T5_
	.globl	_ZN7rocprim17ROCPRIM_304000_NS6detail33device_block_merge_oddeven_kernelINS1_37wrapped_merge_sort_block_merge_configINS0_14default_configEbN2at4cuda3cub6detail10OpaqueTypeILi8EEEEEPbSC_PSA_SD_jNS1_19radix_merge_compareILb0ELb0EbNS0_19identity_decomposerEEEEEvT0_T1_T2_T3_T4_SL_T5_
	.p2align	8
	.type	_ZN7rocprim17ROCPRIM_304000_NS6detail33device_block_merge_oddeven_kernelINS1_37wrapped_merge_sort_block_merge_configINS0_14default_configEbN2at4cuda3cub6detail10OpaqueTypeILi8EEEEEPbSC_PSA_SD_jNS1_19radix_merge_compareILb0ELb0EbNS0_19identity_decomposerEEEEEvT0_T1_T2_T3_T4_SL_T5_,@function
_ZN7rocprim17ROCPRIM_304000_NS6detail33device_block_merge_oddeven_kernelINS1_37wrapped_merge_sort_block_merge_configINS0_14default_configEbN2at4cuda3cub6detail10OpaqueTypeILi8EEEEEPbSC_PSA_SD_jNS1_19radix_merge_compareILb0ELb0EbNS0_19identity_decomposerEEEEEvT0_T1_T2_T3_T4_SL_T5_: ; @_ZN7rocprim17ROCPRIM_304000_NS6detail33device_block_merge_oddeven_kernelINS1_37wrapped_merge_sort_block_merge_configINS0_14default_configEbN2at4cuda3cub6detail10OpaqueTypeILi8EEEEEPbSC_PSA_SD_jNS1_19radix_merge_compareILb0ELb0EbNS0_19identity_decomposerEEEEEvT0_T1_T2_T3_T4_SL_T5_
; %bb.0:
	s_load_dwordx2 s[16:17], s[4:5], 0x20
	s_waitcnt lgkmcnt(0)
	s_lshr_b32 s2, s16, 8
	s_cmp_lg_u32 s6, s2
	s_cselect_b64 s[0:1], -1, 0
	s_cmp_eq_u32 s6, s2
	s_cselect_b64 s[18:19], -1, 0
	s_lshl_b32 s20, s6, 8
	s_sub_i32 s2, s16, s20
	v_cmp_gt_u32_e64 s[2:3], s2, v0
	s_or_b64 s[0:1], s[0:1], s[2:3]
	s_and_saveexec_b64 s[8:9], s[0:1]
	s_cbranch_execz .LBB175_26
; %bb.1:
	s_load_dwordx8 s[8:15], s[4:5], 0x0
	s_mov_b32 s21, 0
	v_lshlrev_b32_e32 v1, 3, v0
	v_add_u32_e32 v4, s20, v0
	s_waitcnt lgkmcnt(0)
	s_add_u32 s0, s8, s20
	s_addc_u32 s1, s9, 0
	s_lshl_b64 s[4:5], s[20:21], 3
	s_add_u32 s4, s12, s4
	s_addc_u32 s5, s13, s5
	global_load_dwordx2 v[2:3], v1, s[4:5]
	global_load_ubyte v6, v0, s[0:1]
	s_lshr_b32 s0, s17, 8
	s_sub_i32 s1, 0, s0
	s_and_b32 s1, s6, s1
	s_and_b32 s0, s1, s0
	s_lshl_b32 s22, s1, 8
	s_sub_i32 s6, 0, s17
	s_cmp_eq_u32 s0, 0
	s_cselect_b64 s[0:1], -1, 0
	s_and_b64 s[4:5], s[0:1], exec
	s_cselect_b32 s21, s17, s6
	s_add_i32 s21, s21, s22
	s_cmp_lt_u32 s21, s16
	s_cbranch_scc1 .LBB175_6
; %bb.2:
	s_and_b64 vcc, exec, s[18:19]
	s_cbranch_vccz .LBB175_7
; %bb.3:
	v_cmp_gt_u32_e32 vcc, s16, v4
	s_mov_b64 s[6:7], 0
	s_mov_b64 s[4:5], 0
                                        ; implicit-def: $vgpr0_vgpr1
	s_and_saveexec_b64 s[12:13], vcc
	s_cbranch_execz .LBB175_5
; %bb.4:
	v_mov_b32_e32 v5, 0
	v_lshlrev_b64 v[0:1], 3, v[4:5]
	v_mov_b32_e32 v5, s15
	v_add_co_u32_e32 v0, vcc, s14, v0
	s_mov_b64 s[4:5], exec
	v_addc_co_u32_e32 v1, vcc, v5, v1, vcc
	s_waitcnt vmcnt(0)
	global_store_byte v4, v6, s[10:11]
.LBB175_5:
	s_or_b64 exec, exec, s[12:13]
	s_and_b64 vcc, exec, s[6:7]
	s_cbranch_vccnz .LBB175_8
	s_branch .LBB175_9
.LBB175_6:
	s_mov_b64 s[4:5], 0
                                        ; implicit-def: $vgpr0_vgpr1
	s_cbranch_execnz .LBB175_10
	s_branch .LBB175_24
.LBB175_7:
	s_mov_b64 s[4:5], 0
                                        ; implicit-def: $vgpr0_vgpr1
	s_cbranch_execz .LBB175_9
.LBB175_8:
	v_mov_b32_e32 v5, 0
	v_lshlrev_b64 v[0:1], 3, v[4:5]
	v_mov_b32_e32 v5, s15
	v_add_co_u32_e32 v0, vcc, s14, v0
	v_addc_co_u32_e32 v1, vcc, v5, v1, vcc
	s_or_b64 s[4:5], s[4:5], exec
	s_waitcnt vmcnt(0)
	global_store_byte v4, v6, s[10:11]
.LBB175_9:
	s_branch .LBB175_24
.LBB175_10:
	s_min_u32 s12, s21, s16
	s_add_i32 s6, s12, s17
	s_min_u32 s13, s6, s16
	s_min_u32 s6, s22, s12
	s_add_i32 s22, s22, s12
	v_subrev_u32_e32 v0, s22, v4
	v_add_u32_e32 v4, s6, v0
	s_and_b64 vcc, exec, s[18:19]
	s_cbranch_vccz .LBB175_18
; %bb.11:
                                        ; implicit-def: $vgpr0_vgpr1
	s_and_saveexec_b64 s[6:7], s[2:3]
	s_cbranch_execz .LBB175_17
; %bb.12:
	s_cmp_ge_u32 s21, s13
	v_mov_b32_e32 v0, s12
	s_cbranch_scc1 .LBB175_16
; %bb.13:
	s_mov_b64 s[2:3], 0
	v_mov_b32_e32 v1, s13
	v_mov_b32_e32 v0, s12
.LBB175_14:                             ; =>This Inner Loop Header: Depth=1
	v_add_u32_e32 v5, v0, v1
	v_lshrrev_b32_e32 v5, 1, v5
	global_load_ubyte v7, v5, s[8:9]
	v_add_u32_e32 v8, 1, v5
	s_waitcnt vmcnt(0)
	v_cmp_gt_u16_sdwa s[16:17], v6, v7 src0_sel:BYTE_0 src1_sel:DWORD
	v_cndmask_b32_e64 v9, 0, 1, s[16:17]
	v_cmp_le_u16_sdwa s[16:17], v7, v6 src0_sel:DWORD src1_sel:BYTE_0
	v_cndmask_b32_e64 v7, 0, 1, s[16:17]
	v_cndmask_b32_e64 v7, v7, v9, s[0:1]
	v_and_b32_e32 v7, 1, v7
	v_cmp_eq_u32_e32 vcc, 1, v7
	v_cndmask_b32_e32 v1, v5, v1, vcc
	v_cndmask_b32_e32 v0, v0, v8, vcc
	v_cmp_ge_u32_e32 vcc, v0, v1
	s_or_b64 s[2:3], vcc, s[2:3]
	s_andn2_b64 exec, exec, s[2:3]
	s_cbranch_execnz .LBB175_14
; %bb.15:
	s_or_b64 exec, exec, s[2:3]
.LBB175_16:
	v_add_u32_e32 v0, v0, v4
	v_mov_b32_e32 v1, 0
	s_waitcnt vmcnt(0)
	global_store_byte v0, v6, s[10:11]
	v_lshlrev_b64 v[0:1], 3, v[0:1]
	v_mov_b32_e32 v5, s15
	v_add_co_u32_e32 v0, vcc, s14, v0
	v_addc_co_u32_e32 v1, vcc, v5, v1, vcc
	s_or_b64 s[4:5], s[4:5], exec
.LBB175_17:
	s_or_b64 exec, exec, s[6:7]
	s_branch .LBB175_24
.LBB175_18:
                                        ; implicit-def: $vgpr0_vgpr1
	s_cbranch_execz .LBB175_24
; %bb.19:
	s_cmp_ge_u32 s21, s13
	v_mov_b32_e32 v0, s12
	s_cbranch_scc1 .LBB175_23
; %bb.20:
	s_mov_b64 s[2:3], 0
	v_mov_b32_e32 v1, s13
	v_mov_b32_e32 v0, s12
.LBB175_21:                             ; =>This Inner Loop Header: Depth=1
	v_add_u32_e32 v5, v0, v1
	v_lshrrev_b32_e32 v5, 1, v5
	global_load_ubyte v7, v5, s[8:9]
	v_add_u32_e32 v8, 1, v5
	s_waitcnt vmcnt(0)
	v_cmp_gt_u16_sdwa s[4:5], v6, v7 src0_sel:BYTE_0 src1_sel:DWORD
	v_cndmask_b32_e64 v9, 0, 1, s[4:5]
	v_cmp_le_u16_sdwa s[4:5], v7, v6 src0_sel:DWORD src1_sel:BYTE_0
	v_cndmask_b32_e64 v7, 0, 1, s[4:5]
	v_cndmask_b32_e64 v7, v7, v9, s[0:1]
	v_and_b32_e32 v7, 1, v7
	v_cmp_eq_u32_e32 vcc, 1, v7
	v_cndmask_b32_e32 v1, v5, v1, vcc
	v_cndmask_b32_e32 v0, v0, v8, vcc
	v_cmp_ge_u32_e32 vcc, v0, v1
	s_or_b64 s[2:3], vcc, s[2:3]
	s_andn2_b64 exec, exec, s[2:3]
	s_cbranch_execnz .LBB175_21
; %bb.22:
	s_or_b64 exec, exec, s[2:3]
.LBB175_23:
	v_add_u32_e32 v0, v0, v4
	v_mov_b32_e32 v1, 0
	s_waitcnt vmcnt(0)
	global_store_byte v0, v6, s[10:11]
	v_lshlrev_b64 v[0:1], 3, v[0:1]
	v_mov_b32_e32 v4, s15
	v_add_co_u32_e32 v0, vcc, s14, v0
	v_addc_co_u32_e32 v1, vcc, v4, v1, vcc
	s_mov_b64 s[4:5], -1
.LBB175_24:
	s_and_b64 exec, exec, s[4:5]
	s_cbranch_execz .LBB175_26
; %bb.25:
	s_waitcnt vmcnt(1)
	global_store_dwordx2 v[0:1], v[2:3], off
.LBB175_26:
	s_endpgm
	.section	.rodata,"a",@progbits
	.p2align	6, 0x0
	.amdhsa_kernel _ZN7rocprim17ROCPRIM_304000_NS6detail33device_block_merge_oddeven_kernelINS1_37wrapped_merge_sort_block_merge_configINS0_14default_configEbN2at4cuda3cub6detail10OpaqueTypeILi8EEEEEPbSC_PSA_SD_jNS1_19radix_merge_compareILb0ELb0EbNS0_19identity_decomposerEEEEEvT0_T1_T2_T3_T4_SL_T5_
		.amdhsa_group_segment_fixed_size 0
		.amdhsa_private_segment_fixed_size 0
		.amdhsa_kernarg_size 44
		.amdhsa_user_sgpr_count 6
		.amdhsa_user_sgpr_private_segment_buffer 1
		.amdhsa_user_sgpr_dispatch_ptr 0
		.amdhsa_user_sgpr_queue_ptr 0
		.amdhsa_user_sgpr_kernarg_segment_ptr 1
		.amdhsa_user_sgpr_dispatch_id 0
		.amdhsa_user_sgpr_flat_scratch_init 0
		.amdhsa_user_sgpr_kernarg_preload_length 0
		.amdhsa_user_sgpr_kernarg_preload_offset 0
		.amdhsa_user_sgpr_private_segment_size 0
		.amdhsa_uses_dynamic_stack 0
		.amdhsa_system_sgpr_private_segment_wavefront_offset 0
		.amdhsa_system_sgpr_workgroup_id_x 1
		.amdhsa_system_sgpr_workgroup_id_y 0
		.amdhsa_system_sgpr_workgroup_id_z 0
		.amdhsa_system_sgpr_workgroup_info 0
		.amdhsa_system_vgpr_workitem_id 0
		.amdhsa_next_free_vgpr 10
		.amdhsa_next_free_sgpr 23
		.amdhsa_accum_offset 12
		.amdhsa_reserve_vcc 1
		.amdhsa_reserve_flat_scratch 0
		.amdhsa_float_round_mode_32 0
		.amdhsa_float_round_mode_16_64 0
		.amdhsa_float_denorm_mode_32 3
		.amdhsa_float_denorm_mode_16_64 3
		.amdhsa_dx10_clamp 1
		.amdhsa_ieee_mode 1
		.amdhsa_fp16_overflow 0
		.amdhsa_tg_split 0
		.amdhsa_exception_fp_ieee_invalid_op 0
		.amdhsa_exception_fp_denorm_src 0
		.amdhsa_exception_fp_ieee_div_zero 0
		.amdhsa_exception_fp_ieee_overflow 0
		.amdhsa_exception_fp_ieee_underflow 0
		.amdhsa_exception_fp_ieee_inexact 0
		.amdhsa_exception_int_div_zero 0
	.end_amdhsa_kernel
	.section	.text._ZN7rocprim17ROCPRIM_304000_NS6detail33device_block_merge_oddeven_kernelINS1_37wrapped_merge_sort_block_merge_configINS0_14default_configEbN2at4cuda3cub6detail10OpaqueTypeILi8EEEEEPbSC_PSA_SD_jNS1_19radix_merge_compareILb0ELb0EbNS0_19identity_decomposerEEEEEvT0_T1_T2_T3_T4_SL_T5_,"axG",@progbits,_ZN7rocprim17ROCPRIM_304000_NS6detail33device_block_merge_oddeven_kernelINS1_37wrapped_merge_sort_block_merge_configINS0_14default_configEbN2at4cuda3cub6detail10OpaqueTypeILi8EEEEEPbSC_PSA_SD_jNS1_19radix_merge_compareILb0ELb0EbNS0_19identity_decomposerEEEEEvT0_T1_T2_T3_T4_SL_T5_,comdat
.Lfunc_end175:
	.size	_ZN7rocprim17ROCPRIM_304000_NS6detail33device_block_merge_oddeven_kernelINS1_37wrapped_merge_sort_block_merge_configINS0_14default_configEbN2at4cuda3cub6detail10OpaqueTypeILi8EEEEEPbSC_PSA_SD_jNS1_19radix_merge_compareILb0ELb0EbNS0_19identity_decomposerEEEEEvT0_T1_T2_T3_T4_SL_T5_, .Lfunc_end175-_ZN7rocprim17ROCPRIM_304000_NS6detail33device_block_merge_oddeven_kernelINS1_37wrapped_merge_sort_block_merge_configINS0_14default_configEbN2at4cuda3cub6detail10OpaqueTypeILi8EEEEEPbSC_PSA_SD_jNS1_19radix_merge_compareILb0ELb0EbNS0_19identity_decomposerEEEEEvT0_T1_T2_T3_T4_SL_T5_
                                        ; -- End function
	.section	.AMDGPU.csdata,"",@progbits
; Kernel info:
; codeLenInByte = 736
; NumSgprs: 27
; NumVgprs: 10
; NumAgprs: 0
; TotalNumVgprs: 10
; ScratchSize: 0
; MemoryBound: 0
; FloatMode: 240
; IeeeMode: 1
; LDSByteSize: 0 bytes/workgroup (compile time only)
; SGPRBlocks: 3
; VGPRBlocks: 1
; NumSGPRsForWavesPerEU: 27
; NumVGPRsForWavesPerEU: 10
; AccumOffset: 12
; Occupancy: 8
; WaveLimiterHint : 0
; COMPUTE_PGM_RSRC2:SCRATCH_EN: 0
; COMPUTE_PGM_RSRC2:USER_SGPR: 6
; COMPUTE_PGM_RSRC2:TRAP_HANDLER: 0
; COMPUTE_PGM_RSRC2:TGID_X_EN: 1
; COMPUTE_PGM_RSRC2:TGID_Y_EN: 0
; COMPUTE_PGM_RSRC2:TGID_Z_EN: 0
; COMPUTE_PGM_RSRC2:TIDIG_COMP_CNT: 0
; COMPUTE_PGM_RSRC3_GFX90A:ACCUM_OFFSET: 2
; COMPUTE_PGM_RSRC3_GFX90A:TG_SPLIT: 0
	.section	.text._ZN7rocprim17ROCPRIM_304000_NS6detail45device_block_merge_mergepath_partition_kernelINS1_37wrapped_merge_sort_block_merge_configINS0_14default_configEbN2at4cuda3cub6detail10OpaqueTypeILi8EEEEEPbjNS1_19radix_merge_compareILb0ELb1EbNS0_19identity_decomposerEEEEEvT0_T1_jPSH_T2_SH_,"axG",@progbits,_ZN7rocprim17ROCPRIM_304000_NS6detail45device_block_merge_mergepath_partition_kernelINS1_37wrapped_merge_sort_block_merge_configINS0_14default_configEbN2at4cuda3cub6detail10OpaqueTypeILi8EEEEEPbjNS1_19radix_merge_compareILb0ELb1EbNS0_19identity_decomposerEEEEEvT0_T1_jPSH_T2_SH_,comdat
	.protected	_ZN7rocprim17ROCPRIM_304000_NS6detail45device_block_merge_mergepath_partition_kernelINS1_37wrapped_merge_sort_block_merge_configINS0_14default_configEbN2at4cuda3cub6detail10OpaqueTypeILi8EEEEEPbjNS1_19radix_merge_compareILb0ELb1EbNS0_19identity_decomposerEEEEEvT0_T1_jPSH_T2_SH_ ; -- Begin function _ZN7rocprim17ROCPRIM_304000_NS6detail45device_block_merge_mergepath_partition_kernelINS1_37wrapped_merge_sort_block_merge_configINS0_14default_configEbN2at4cuda3cub6detail10OpaqueTypeILi8EEEEEPbjNS1_19radix_merge_compareILb0ELb1EbNS0_19identity_decomposerEEEEEvT0_T1_jPSH_T2_SH_
	.globl	_ZN7rocprim17ROCPRIM_304000_NS6detail45device_block_merge_mergepath_partition_kernelINS1_37wrapped_merge_sort_block_merge_configINS0_14default_configEbN2at4cuda3cub6detail10OpaqueTypeILi8EEEEEPbjNS1_19radix_merge_compareILb0ELb1EbNS0_19identity_decomposerEEEEEvT0_T1_jPSH_T2_SH_
	.p2align	8
	.type	_ZN7rocprim17ROCPRIM_304000_NS6detail45device_block_merge_mergepath_partition_kernelINS1_37wrapped_merge_sort_block_merge_configINS0_14default_configEbN2at4cuda3cub6detail10OpaqueTypeILi8EEEEEPbjNS1_19radix_merge_compareILb0ELb1EbNS0_19identity_decomposerEEEEEvT0_T1_jPSH_T2_SH_,@function
_ZN7rocprim17ROCPRIM_304000_NS6detail45device_block_merge_mergepath_partition_kernelINS1_37wrapped_merge_sort_block_merge_configINS0_14default_configEbN2at4cuda3cub6detail10OpaqueTypeILi8EEEEEPbjNS1_19radix_merge_compareILb0ELb1EbNS0_19identity_decomposerEEEEEvT0_T1_jPSH_T2_SH_: ; @_ZN7rocprim17ROCPRIM_304000_NS6detail45device_block_merge_mergepath_partition_kernelINS1_37wrapped_merge_sort_block_merge_configINS0_14default_configEbN2at4cuda3cub6detail10OpaqueTypeILi8EEEEEPbjNS1_19radix_merge_compareILb0ELb1EbNS0_19identity_decomposerEEEEEvT0_T1_jPSH_T2_SH_
; %bb.0:
	s_load_dwordx2 s[0:1], s[4:5], 0x8
	v_lshl_or_b32 v0, s6, 7, v0
	s_waitcnt lgkmcnt(0)
	v_cmp_gt_u32_e32 vcc, s1, v0
	s_and_saveexec_b64 s[2:3], vcc
	s_cbranch_execz .LBB176_6
; %bb.1:
	s_load_dwordx2 s[2:3], s[4:5], 0x18
	s_waitcnt lgkmcnt(0)
	s_lshr_b32 s1, s3, 9
	s_and_b32 s1, s1, 0x7ffffe
	s_add_i32 s6, s1, -1
	s_sub_i32 s1, 0, s1
	v_and_b32_e32 v1, s1, v0
	v_lshlrev_b32_e32 v3, 10, v1
	v_min_u32_e32 v1, s0, v3
	v_add_u32_e32 v3, s3, v3
	v_min_u32_e32 v7, s0, v3
	v_add_u32_e32 v3, s3, v7
	v_and_b32_e32 v2, s6, v0
	v_min_u32_e32 v4, s0, v3
	v_lshlrev_b32_e32 v2, 10, v2
	v_sub_u32_e32 v3, v4, v1
	v_min_u32_e32 v3, v3, v2
	v_sub_u32_e32 v5, v7, v1
	v_sub_u32_e32 v2, v4, v7
	v_sub_u32_e64 v2, v3, v2 clamp
	v_min_u32_e32 v4, v3, v5
	v_cmp_lt_u32_e32 vcc, v2, v4
	s_and_saveexec_b64 s[0:1], vcc
	s_cbranch_execz .LBB176_5
; %bb.2:
	s_load_dwordx2 s[6:7], s[4:5], 0x0
	v_and_b32_e64 v9, s2, 1
	s_mov_b64 s[2:3], 0
	s_waitcnt lgkmcnt(0)
	v_mov_b32_e32 v8, s7
	v_add_co_u32_e32 v5, vcc, s6, v1
	v_addc_co_u32_e32 v6, vcc, 0, v8, vcc
	v_add_co_u32_e32 v7, vcc, s6, v7
	v_addc_co_u32_e32 v8, vcc, 0, v8, vcc
.LBB176_3:                              ; =>This Inner Loop Header: Depth=1
	v_add_u32_e32 v10, v4, v2
	v_lshrrev_b32_e32 v14, 1, v10
	v_add_co_u32_e32 v10, vcc, v5, v14
	v_xad_u32 v12, v14, -1, v3
	v_addc_co_u32_e32 v11, vcc, 0, v6, vcc
	v_add_co_u32_e32 v12, vcc, v7, v12
	v_addc_co_u32_e32 v13, vcc, 0, v8, vcc
	global_load_ubyte v15, v[10:11], off
	global_load_ubyte v16, v[12:13], off
	v_add_u32_e32 v10, 1, v14
	s_waitcnt vmcnt(1)
	v_and_b32_e32 v11, v15, v9
	s_waitcnt vmcnt(0)
	v_and_b32_e32 v12, v16, v9
	v_cmp_gt_u16_e32 vcc, v11, v12
	v_cndmask_b32_e32 v4, v4, v14, vcc
	v_cndmask_b32_e32 v2, v10, v2, vcc
	v_cmp_ge_u32_e32 vcc, v2, v4
	s_or_b64 s[2:3], vcc, s[2:3]
	s_andn2_b64 exec, exec, s[2:3]
	s_cbranch_execnz .LBB176_3
; %bb.4:
	s_or_b64 exec, exec, s[2:3]
.LBB176_5:
	s_or_b64 exec, exec, s[0:1]
	s_load_dwordx2 s[0:1], s[4:5], 0x10
	v_add_u32_e32 v2, v2, v1
	v_mov_b32_e32 v1, 0
	v_lshlrev_b64 v[0:1], 2, v[0:1]
	s_waitcnt lgkmcnt(0)
	v_mov_b32_e32 v3, s1
	v_add_co_u32_e32 v0, vcc, s0, v0
	v_addc_co_u32_e32 v1, vcc, v3, v1, vcc
	global_store_dword v[0:1], v2, off
.LBB176_6:
	s_endpgm
	.section	.rodata,"a",@progbits
	.p2align	6, 0x0
	.amdhsa_kernel _ZN7rocprim17ROCPRIM_304000_NS6detail45device_block_merge_mergepath_partition_kernelINS1_37wrapped_merge_sort_block_merge_configINS0_14default_configEbN2at4cuda3cub6detail10OpaqueTypeILi8EEEEEPbjNS1_19radix_merge_compareILb0ELb1EbNS0_19identity_decomposerEEEEEvT0_T1_jPSH_T2_SH_
		.amdhsa_group_segment_fixed_size 0
		.amdhsa_private_segment_fixed_size 0
		.amdhsa_kernarg_size 32
		.amdhsa_user_sgpr_count 6
		.amdhsa_user_sgpr_private_segment_buffer 1
		.amdhsa_user_sgpr_dispatch_ptr 0
		.amdhsa_user_sgpr_queue_ptr 0
		.amdhsa_user_sgpr_kernarg_segment_ptr 1
		.amdhsa_user_sgpr_dispatch_id 0
		.amdhsa_user_sgpr_flat_scratch_init 0
		.amdhsa_user_sgpr_kernarg_preload_length 0
		.amdhsa_user_sgpr_kernarg_preload_offset 0
		.amdhsa_user_sgpr_private_segment_size 0
		.amdhsa_uses_dynamic_stack 0
		.amdhsa_system_sgpr_private_segment_wavefront_offset 0
		.amdhsa_system_sgpr_workgroup_id_x 1
		.amdhsa_system_sgpr_workgroup_id_y 0
		.amdhsa_system_sgpr_workgroup_id_z 0
		.amdhsa_system_sgpr_workgroup_info 0
		.amdhsa_system_vgpr_workitem_id 0
		.amdhsa_next_free_vgpr 17
		.amdhsa_next_free_sgpr 8
		.amdhsa_accum_offset 20
		.amdhsa_reserve_vcc 1
		.amdhsa_reserve_flat_scratch 0
		.amdhsa_float_round_mode_32 0
		.amdhsa_float_round_mode_16_64 0
		.amdhsa_float_denorm_mode_32 3
		.amdhsa_float_denorm_mode_16_64 3
		.amdhsa_dx10_clamp 1
		.amdhsa_ieee_mode 1
		.amdhsa_fp16_overflow 0
		.amdhsa_tg_split 0
		.amdhsa_exception_fp_ieee_invalid_op 0
		.amdhsa_exception_fp_denorm_src 0
		.amdhsa_exception_fp_ieee_div_zero 0
		.amdhsa_exception_fp_ieee_overflow 0
		.amdhsa_exception_fp_ieee_underflow 0
		.amdhsa_exception_fp_ieee_inexact 0
		.amdhsa_exception_int_div_zero 0
	.end_amdhsa_kernel
	.section	.text._ZN7rocprim17ROCPRIM_304000_NS6detail45device_block_merge_mergepath_partition_kernelINS1_37wrapped_merge_sort_block_merge_configINS0_14default_configEbN2at4cuda3cub6detail10OpaqueTypeILi8EEEEEPbjNS1_19radix_merge_compareILb0ELb1EbNS0_19identity_decomposerEEEEEvT0_T1_jPSH_T2_SH_,"axG",@progbits,_ZN7rocprim17ROCPRIM_304000_NS6detail45device_block_merge_mergepath_partition_kernelINS1_37wrapped_merge_sort_block_merge_configINS0_14default_configEbN2at4cuda3cub6detail10OpaqueTypeILi8EEEEEPbjNS1_19radix_merge_compareILb0ELb1EbNS0_19identity_decomposerEEEEEvT0_T1_jPSH_T2_SH_,comdat
.Lfunc_end176:
	.size	_ZN7rocprim17ROCPRIM_304000_NS6detail45device_block_merge_mergepath_partition_kernelINS1_37wrapped_merge_sort_block_merge_configINS0_14default_configEbN2at4cuda3cub6detail10OpaqueTypeILi8EEEEEPbjNS1_19radix_merge_compareILb0ELb1EbNS0_19identity_decomposerEEEEEvT0_T1_jPSH_T2_SH_, .Lfunc_end176-_ZN7rocprim17ROCPRIM_304000_NS6detail45device_block_merge_mergepath_partition_kernelINS1_37wrapped_merge_sort_block_merge_configINS0_14default_configEbN2at4cuda3cub6detail10OpaqueTypeILi8EEEEEPbjNS1_19radix_merge_compareILb0ELb1EbNS0_19identity_decomposerEEEEEvT0_T1_jPSH_T2_SH_
                                        ; -- End function
	.section	.AMDGPU.csdata,"",@progbits
; Kernel info:
; codeLenInByte = 340
; NumSgprs: 12
; NumVgprs: 17
; NumAgprs: 0
; TotalNumVgprs: 17
; ScratchSize: 0
; MemoryBound: 0
; FloatMode: 240
; IeeeMode: 1
; LDSByteSize: 0 bytes/workgroup (compile time only)
; SGPRBlocks: 1
; VGPRBlocks: 2
; NumSGPRsForWavesPerEU: 12
; NumVGPRsForWavesPerEU: 17
; AccumOffset: 20
; Occupancy: 8
; WaveLimiterHint : 0
; COMPUTE_PGM_RSRC2:SCRATCH_EN: 0
; COMPUTE_PGM_RSRC2:USER_SGPR: 6
; COMPUTE_PGM_RSRC2:TRAP_HANDLER: 0
; COMPUTE_PGM_RSRC2:TGID_X_EN: 1
; COMPUTE_PGM_RSRC2:TGID_Y_EN: 0
; COMPUTE_PGM_RSRC2:TGID_Z_EN: 0
; COMPUTE_PGM_RSRC2:TIDIG_COMP_CNT: 0
; COMPUTE_PGM_RSRC3_GFX90A:ACCUM_OFFSET: 4
; COMPUTE_PGM_RSRC3_GFX90A:TG_SPLIT: 0
	.section	.text._ZN7rocprim17ROCPRIM_304000_NS6detail35device_block_merge_mergepath_kernelINS1_37wrapped_merge_sort_block_merge_configINS0_14default_configEbN2at4cuda3cub6detail10OpaqueTypeILi8EEEEEPbSC_PSA_SD_jNS1_19radix_merge_compareILb0ELb1EbNS0_19identity_decomposerEEEEEvT0_T1_T2_T3_T4_SL_jT5_PKSL_NS1_7vsmem_tE,"axG",@progbits,_ZN7rocprim17ROCPRIM_304000_NS6detail35device_block_merge_mergepath_kernelINS1_37wrapped_merge_sort_block_merge_configINS0_14default_configEbN2at4cuda3cub6detail10OpaqueTypeILi8EEEEEPbSC_PSA_SD_jNS1_19radix_merge_compareILb0ELb1EbNS0_19identity_decomposerEEEEEvT0_T1_T2_T3_T4_SL_jT5_PKSL_NS1_7vsmem_tE,comdat
	.protected	_ZN7rocprim17ROCPRIM_304000_NS6detail35device_block_merge_mergepath_kernelINS1_37wrapped_merge_sort_block_merge_configINS0_14default_configEbN2at4cuda3cub6detail10OpaqueTypeILi8EEEEEPbSC_PSA_SD_jNS1_19radix_merge_compareILb0ELb1EbNS0_19identity_decomposerEEEEEvT0_T1_T2_T3_T4_SL_jT5_PKSL_NS1_7vsmem_tE ; -- Begin function _ZN7rocprim17ROCPRIM_304000_NS6detail35device_block_merge_mergepath_kernelINS1_37wrapped_merge_sort_block_merge_configINS0_14default_configEbN2at4cuda3cub6detail10OpaqueTypeILi8EEEEEPbSC_PSA_SD_jNS1_19radix_merge_compareILb0ELb1EbNS0_19identity_decomposerEEEEEvT0_T1_T2_T3_T4_SL_jT5_PKSL_NS1_7vsmem_tE
	.globl	_ZN7rocprim17ROCPRIM_304000_NS6detail35device_block_merge_mergepath_kernelINS1_37wrapped_merge_sort_block_merge_configINS0_14default_configEbN2at4cuda3cub6detail10OpaqueTypeILi8EEEEEPbSC_PSA_SD_jNS1_19radix_merge_compareILb0ELb1EbNS0_19identity_decomposerEEEEEvT0_T1_T2_T3_T4_SL_jT5_PKSL_NS1_7vsmem_tE
	.p2align	8
	.type	_ZN7rocprim17ROCPRIM_304000_NS6detail35device_block_merge_mergepath_kernelINS1_37wrapped_merge_sort_block_merge_configINS0_14default_configEbN2at4cuda3cub6detail10OpaqueTypeILi8EEEEEPbSC_PSA_SD_jNS1_19radix_merge_compareILb0ELb1EbNS0_19identity_decomposerEEEEEvT0_T1_T2_T3_T4_SL_jT5_PKSL_NS1_7vsmem_tE,@function
_ZN7rocprim17ROCPRIM_304000_NS6detail35device_block_merge_mergepath_kernelINS1_37wrapped_merge_sort_block_merge_configINS0_14default_configEbN2at4cuda3cub6detail10OpaqueTypeILi8EEEEEPbSC_PSA_SD_jNS1_19radix_merge_compareILb0ELb1EbNS0_19identity_decomposerEEEEEvT0_T1_T2_T3_T4_SL_jT5_PKSL_NS1_7vsmem_tE: ; @_ZN7rocprim17ROCPRIM_304000_NS6detail35device_block_merge_mergepath_kernelINS1_37wrapped_merge_sort_block_merge_configINS0_14default_configEbN2at4cuda3cub6detail10OpaqueTypeILi8EEEEEPbSC_PSA_SD_jNS1_19radix_merge_compareILb0ELb1EbNS0_19identity_decomposerEEEEEvT0_T1_T2_T3_T4_SL_jT5_PKSL_NS1_7vsmem_tE
; %bb.0:
	s_load_dwordx2 s[26:27], s[4:5], 0x40
	s_load_dwordx4 s[16:19], s[4:5], 0x20
	s_add_u32 s2, s4, 64
	s_addc_u32 s3, s5, 0
	s_waitcnt lgkmcnt(0)
	s_mul_i32 s0, s27, s8
	s_add_i32 s0, s0, s7
	s_mul_i32 s0, s0, s26
	s_add_i32 s0, s0, s6
	s_cmp_ge_u32 s0, s18
	s_cbranch_scc1 .LBB177_75
; %bb.1:
	s_load_dwordx8 s[8:15], s[4:5], 0x0
	s_load_dwordx2 s[22:23], s[4:5], 0x30
	s_lshr_b32 s28, s16, 10
	s_cmp_lg_u32 s0, s28
	s_mov_b32 s1, 0
	s_cselect_b64 s[20:21], -1, 0
	s_lshl_b64 s[4:5], s[0:1], 2
	s_waitcnt lgkmcnt(0)
	s_add_u32 s4, s22, s4
	s_addc_u32 s5, s23, s5
	s_load_dwordx2 s[22:23], s[4:5], 0x0
	s_lshr_b32 s4, s17, 9
	s_and_b32 s4, s4, 0x7ffffe
	s_sub_i32 s4, 0, s4
	s_and_b32 s5, s0, s4
	s_lshl_b32 s7, s5, 10
	s_lshl_b32 s18, s0, 10
	;; [unrolled: 1-line block ×3, first 2 shown]
	s_sub_i32 s24, s18, s7
	s_add_i32 s5, s5, s17
	s_add_i32 s25, s5, s24
	s_waitcnt lgkmcnt(0)
	s_sub_i32 s24, s25, s22
	s_sub_i32 s25, s25, s23
	;; [unrolled: 1-line block ×3, first 2 shown]
	s_min_u32 s24, s16, s24
	s_addk_i32 s25, 0x400
	s_or_b32 s4, s0, s4
	s_min_u32 s7, s16, s5
	s_add_i32 s5, s5, s17
	s_cmp_eq_u32 s4, -1
	s_cselect_b32 s4, s5, s25
	s_cselect_b32 s5, s7, s23
	s_min_u32 s4, s4, s16
	s_sub_i32 s17, s5, s22
	s_sub_i32 s27, s4, s24
	s_add_u32 s4, s8, s22
	s_addc_u32 s5, s9, 0
	s_add_u32 s7, s8, s24
	s_addc_u32 s8, s9, 0
	s_cmp_lt_u32 s6, s26
	v_mov_b32_e32 v1, 0
	s_cselect_b32 s6, 12, 18
	global_load_dword v2, v1, s[2:3] offset:14
	s_add_u32 s2, s2, s6
	s_addc_u32 s3, s3, 0
	global_load_ushort v1, v1, s[2:3]
	s_mov_b32 s25, s1
	s_mov_b32 s23, s1
	s_cmp_eq_u32 s0, s28
	v_cmp_gt_u32_e32 vcc, s17, v0
	s_waitcnt vmcnt(1)
	v_lshrrev_b32_e32 v3, 16, v2
	v_and_b32_e32 v2, 0xffff, v2
	v_mul_lo_u32 v2, v2, v3
	s_waitcnt vmcnt(0)
	v_mul_lo_u32 v2, v2, v1
	v_add_u32_e32 v4, v2, v0
	v_add_u32_e32 v3, v4, v2
	s_cbranch_scc1 .LBB177_3
; %bb.2:
	v_mov_b32_e32 v1, s17
	v_cndmask_b32_e64 v5, v1, 0, vcc
	v_mov_b32_e32 v12, s7
	v_mov_b32_e32 v13, s4
	v_sub_u32_e32 v5, v0, v5
	v_mov_b32_e32 v6, s8
	v_mov_b32_e32 v7, s5
	v_cndmask_b32_e32 v8, v12, v13, vcc
	v_cndmask_b32_e32 v9, v6, v7, vcc
	v_add_co_u32_e32 v8, vcc, v8, v5
	v_addc_co_u32_e32 v9, vcc, 0, v9, vcc
	v_cmp_gt_u32_e32 vcc, s17, v4
	v_cndmask_b32_e64 v5, v1, 0, vcc
	v_sub_u32_e32 v5, v4, v5
	v_cndmask_b32_e32 v10, v12, v13, vcc
	v_cndmask_b32_e32 v11, v6, v7, vcc
	v_add_co_u32_e32 v10, vcc, v10, v5
	v_addc_co_u32_e32 v11, vcc, 0, v11, vcc
	v_cmp_gt_u32_e32 vcc, s17, v3
	v_cndmask_b32_e64 v1, v1, 0, vcc
	v_sub_u32_e32 v1, v3, v1
	v_cndmask_b32_e32 v5, v6, v7, vcc
	v_cndmask_b32_e32 v6, v12, v13, vcc
	v_add_co_u32_e32 v12, vcc, v6, v1
	v_addc_co_u32_e32 v13, vcc, 0, v5, vcc
	global_load_ubyte v6, v[10:11], off
	global_load_ubyte v7, v[12:13], off
	;; [unrolled: 1-line block ×3, first 2 shown]
	v_add_u32_e32 v5, v3, v2
	s_add_i32 s6, s27, s17
	s_mov_b64 s[0:1], -1
	s_cbranch_execz .LBB177_4
	s_branch .LBB177_11
.LBB177_3:
	s_mov_b64 s[0:1], 0
                                        ; implicit-def: $vgpr5
                                        ; implicit-def: $vgpr1
                                        ; implicit-def: $vgpr6
                                        ; implicit-def: $vgpr7
                                        ; implicit-def: $sgpr6
.LBB177_4:
	s_add_i32 s6, s27, s17
	v_cmp_gt_u32_e32 vcc, s6, v0
                                        ; implicit-def: $vgpr1
	s_and_saveexec_b64 s[0:1], vcc
	s_cbranch_execz .LBB177_6
; %bb.5:
	s_waitcnt vmcnt(0)
	v_mov_b32_e32 v1, s8
	v_mov_b32_e32 v5, s5
	v_cmp_gt_u32_e32 vcc, s17, v0
	v_cndmask_b32_e32 v1, v1, v5, vcc
	v_mov_b32_e32 v5, s7
	v_mov_b32_e32 v6, s4
	v_cndmask_b32_e32 v5, v5, v6, vcc
	v_mov_b32_e32 v6, s17
	v_cndmask_b32_e64 v6, v6, 0, vcc
	v_sub_u32_e32 v6, v0, v6
	v_add_co_u32_e32 v6, vcc, v5, v6
	v_addc_co_u32_e32 v7, vcc, 0, v1, vcc
	global_load_ubyte v1, v[6:7], off
.LBB177_6:
	s_or_b64 exec, exec, s[0:1]
	v_cmp_gt_u32_e32 vcc, s6, v4
                                        ; implicit-def: $vgpr6
	s_and_saveexec_b64 s[0:1], vcc
	s_cbranch_execz .LBB177_8
; %bb.7:
	v_mov_b32_e32 v5, s8
	s_waitcnt vmcnt(2)
	v_mov_b32_e32 v6, s5
	v_cmp_gt_u32_e32 vcc, s17, v4
	v_cndmask_b32_e32 v5, v5, v6, vcc
	v_mov_b32_e32 v6, s7
	s_waitcnt vmcnt(1)
	v_mov_b32_e32 v7, s4
	v_cndmask_b32_e32 v6, v6, v7, vcc
	v_mov_b32_e32 v7, s17
	v_cndmask_b32_e64 v7, v7, 0, vcc
	v_sub_u32_e32 v4, v4, v7
	v_add_co_u32_e32 v4, vcc, v6, v4
	v_addc_co_u32_e32 v5, vcc, 0, v5, vcc
	global_load_ubyte v6, v[4:5], off
.LBB177_8:
	s_or_b64 exec, exec, s[0:1]
	v_cmp_gt_u32_e32 vcc, s6, v3
                                        ; implicit-def: $vgpr7
	s_and_saveexec_b64 s[0:1], vcc
	s_cbranch_execz .LBB177_10
; %bb.9:
	v_mov_b32_e32 v4, s8
	v_mov_b32_e32 v5, s5
	v_cmp_gt_u32_e32 vcc, s17, v3
	v_cndmask_b32_e32 v5, v4, v5, vcc
	v_mov_b32_e32 v4, s7
	s_waitcnt vmcnt(1)
	v_mov_b32_e32 v7, s4
	v_cndmask_b32_e32 v4, v4, v7, vcc
	v_mov_b32_e32 v7, s17
	v_cndmask_b32_e64 v7, v7, 0, vcc
	v_sub_u32_e32 v7, v3, v7
	v_add_co_u32_e32 v4, vcc, v4, v7
	v_addc_co_u32_e32 v5, vcc, 0, v5, vcc
	global_load_ubyte v7, v[4:5], off
.LBB177_10:
	s_or_b64 exec, exec, s[0:1]
	v_add_u32_e32 v5, v3, v2
	v_cmp_gt_u32_e64 s[0:1], s6, v5
.LBB177_11:
	v_mov_b32_e32 v9, s6
                                        ; implicit-def: $vgpr10
	s_and_saveexec_b64 s[2:3], s[0:1]
	s_cbranch_execz .LBB177_13
; %bb.12:
	v_mov_b32_e32 v2, s17
	v_cmp_gt_u32_e32 vcc, s17, v5
	v_cndmask_b32_e64 v2, v2, 0, vcc
	v_mov_b32_e32 v3, s8
	v_mov_b32_e32 v4, s5
	v_sub_u32_e32 v2, v5, v2
	v_cndmask_b32_e32 v3, v3, v4, vcc
	v_mov_b32_e32 v4, s7
	v_mov_b32_e32 v5, s4
	v_cndmask_b32_e32 v4, v4, v5, vcc
	v_add_co_u32_e32 v2, vcc, v4, v2
	v_addc_co_u32_e32 v3, vcc, 0, v3, vcc
	global_load_ubyte v10, v[2:3], off
	v_mov_b32_e32 v9, s6
.LBB177_13:
	s_or_b64 exec, exec, s[2:3]
	v_lshlrev_b32_e32 v8, 2, v0
	v_min_u32_e32 v4, v9, v8
	v_sub_u32_e64 v3, v4, s27 clamp
	v_min_u32_e32 v5, s17, v4
	v_and_b32_e64 v2, s19, 1
	v_cmp_lt_u32_e32 vcc, v3, v5
	s_waitcnt vmcnt(0)
	ds_write_b8 v0, v1
	ds_write_b8 v0, v6 offset:256
	ds_write_b8 v0, v7 offset:512
	;; [unrolled: 1-line block ×3, first 2 shown]
	s_waitcnt lgkmcnt(0)
	s_barrier
	s_and_saveexec_b64 s[0:1], vcc
	s_cbranch_execz .LBB177_17
; %bb.14:
	v_add_u32_e32 v11, s17, v4
	s_mov_b64 s[2:3], 0
.LBB177_15:                             ; =>This Inner Loop Header: Depth=1
	v_add_u32_e32 v12, v5, v3
	v_lshrrev_b32_e32 v12, 1, v12
	v_xad_u32 v13, v12, -1, v11
	ds_read_u8 v14, v12
	ds_read_u8 v13, v13
	v_add_u32_e32 v15, 1, v12
	s_waitcnt lgkmcnt(1)
	v_and_b32_e32 v14, v14, v2
	s_waitcnt lgkmcnt(0)
	v_and_b32_e32 v13, v13, v2
	v_cmp_gt_u16_e32 vcc, v14, v13
	v_cndmask_b32_e32 v5, v5, v12, vcc
	v_cndmask_b32_e32 v3, v15, v3, vcc
	v_cmp_ge_u32_e32 vcc, v3, v5
	s_or_b64 s[2:3], vcc, s[2:3]
	s_andn2_b64 exec, exec, s[2:3]
	s_cbranch_execnz .LBB177_15
; %bb.16:
	s_or_b64 exec, exec, s[2:3]
.LBB177_17:
	s_or_b64 exec, exec, s[0:1]
	v_sub_u32_e32 v4, v4, v3
	v_add_u32_e32 v4, s17, v4
	v_cmp_ge_u32_e32 vcc, s17, v3
	v_cmp_le_u32_e64 s[0:1], v4, v9
	s_or_b64 s[0:1], vcc, s[0:1]
                                        ; implicit-def: $vgpr11
                                        ; implicit-def: $vgpr12
                                        ; implicit-def: $vgpr13
                                        ; implicit-def: $vgpr14
	s_and_saveexec_b64 s[6:7], s[0:1]
	s_cbranch_execz .LBB177_23
; %bb.18:
	v_cmp_gt_u32_e32 vcc, s17, v3
                                        ; implicit-def: $vgpr1
	s_and_saveexec_b64 s[0:1], vcc
	s_cbranch_execz .LBB177_20
; %bb.19:
	ds_read_u8 v1, v3
.LBB177_20:
	s_or_b64 exec, exec, s[0:1]
	v_cmp_ge_u32_e64 s[0:1], v4, v9
	v_cmp_lt_u32_e64 s[2:3], v4, v9
                                        ; implicit-def: $vgpr5
	s_and_saveexec_b64 s[4:5], s[2:3]
	s_cbranch_execz .LBB177_22
; %bb.21:
	ds_read_u8 v5, v4
.LBB177_22:
	s_or_b64 exec, exec, s[4:5]
	s_waitcnt lgkmcnt(0)
	v_and_b32_e32 v6, v5, v2
	v_and_b32_e32 v7, v1, v2
	v_cmp_le_u16_sdwa s[2:3], v7, v6 src0_sel:BYTE_0 src1_sel:BYTE_0
	s_and_b64 s[2:3], vcc, s[2:3]
	s_or_b64 vcc, s[0:1], s[2:3]
	v_mov_b32_e32 v6, s17
	v_cndmask_b32_e32 v14, v4, v3, vcc
	v_cndmask_b32_e32 v7, v9, v6, vcc
	v_add_u32_e32 v10, 1, v14
	v_add_u32_e32 v7, -1, v7
	v_min_u32_e32 v7, v10, v7
	ds_read_u8 v7, v7
	v_cndmask_b32_e32 v4, v10, v4, vcc
	v_cndmask_b32_e32 v3, v3, v10, vcc
	v_cmp_gt_u32_e64 s[2:3], s17, v3
	v_cmp_ge_u32_e64 s[0:1], v4, v9
	s_waitcnt lgkmcnt(0)
	v_cndmask_b32_e32 v11, v7, v5, vcc
	v_cndmask_b32_e32 v7, v1, v7, vcc
	v_and_b32_e32 v10, v11, v2
	v_and_b32_e32 v12, v7, v2
	v_cmp_le_u16_sdwa s[4:5], v12, v10 src0_sel:BYTE_0 src1_sel:BYTE_0
	s_and_b64 s[2:3], s[2:3], s[4:5]
	s_or_b64 s[0:1], s[0:1], s[2:3]
	v_cndmask_b32_e64 v13, v4, v3, s[0:1]
	v_cndmask_b32_e64 v10, v9, v6, s[0:1]
	v_add_u32_e32 v12, 1, v13
	v_add_u32_e32 v10, -1, v10
	v_min_u32_e32 v10, v12, v10
	ds_read_u8 v10, v10
	v_cndmask_b32_e64 v4, v12, v4, s[0:1]
	v_cndmask_b32_e64 v3, v3, v12, s[0:1]
	v_cmp_gt_u32_e64 s[4:5], s17, v3
	v_cmp_ge_u32_e64 s[2:3], v4, v9
	s_waitcnt lgkmcnt(0)
	v_cndmask_b32_e64 v15, v10, v11, s[0:1]
	v_cndmask_b32_e64 v10, v7, v10, s[0:1]
	v_and_b32_e32 v12, v15, v2
	v_and_b32_e32 v16, v10, v2
	v_cmp_le_u16_sdwa s[8:9], v16, v12 src0_sel:BYTE_0 src1_sel:BYTE_0
	s_and_b64 s[4:5], s[4:5], s[8:9]
	s_or_b64 s[2:3], s[2:3], s[4:5]
	v_cndmask_b32_e64 v12, v4, v3, s[2:3]
	v_cndmask_b32_e64 v6, v9, v6, s[2:3]
	v_add_u32_e32 v16, 1, v12
	v_add_u32_e32 v6, -1, v6
	v_min_u32_e32 v6, v16, v6
	ds_read_u8 v17, v6
	v_cndmask_b32_e32 v1, v5, v1, vcc
	v_cndmask_b32_e64 v6, v11, v7, s[0:1]
	v_cndmask_b32_e64 v7, v15, v10, s[2:3]
	;; [unrolled: 1-line block ×3, first 2 shown]
	s_waitcnt lgkmcnt(0)
	v_cndmask_b32_e64 v5, v17, v15, s[2:3]
	v_cndmask_b32_e64 v10, v10, v17, s[2:3]
	v_and_b32_e32 v11, v5, v2
	v_and_b32_e32 v2, v10, v2
	v_cndmask_b32_e64 v4, v16, v4, s[2:3]
	v_cmp_gt_u32_e64 s[0:1], s17, v3
	v_cmp_le_u16_sdwa s[2:3], v2, v11 src0_sel:BYTE_0 src1_sel:BYTE_0
	v_cmp_ge_u32_e32 vcc, v4, v9
	s_and_b64 s[0:1], s[0:1], s[2:3]
	s_or_b64 vcc, vcc, s[0:1]
	v_cndmask_b32_e32 v11, v4, v3, vcc
	v_cndmask_b32_e32 v10, v5, v10, vcc
.LBB177_23:
	s_or_b64 exec, exec, s[6:7]
	s_lshl_b64 s[0:1], s[22:23], 3
	s_add_u32 s19, s12, s0
	s_addc_u32 s26, s13, s1
	s_lshl_b64 s[0:1], s[24:25], 3
	s_add_u32 s28, s12, s0
	v_cndmask_b32_e64 v2, 0, 1, s[20:21]
	s_addc_u32 s29, s13, s1
	v_cmp_gt_u32_e64 s[4:5], s17, v0
	v_cmp_ne_u32_e64 s[0:1], 1, v2
	s_andn2_b64 vcc, exec, s[20:21]
	v_cmp_le_u32_e64 s[2:3], s17, v0
	s_barrier
	s_cbranch_vccnz .LBB177_25
; %bb.24:
	v_subrev_u32_e32 v2, s17, v0
	v_mov_b32_e32 v3, 0
	v_lshlrev_b64 v[4:5], 3, v[2:3]
	v_mov_b32_e32 v2, s29
	v_add_co_u32_e32 v4, vcc, s28, v4
	v_addc_co_u32_e32 v2, vcc, v2, v5, vcc
	v_lshlrev_b32_e32 v20, 3, v0
	v_mov_b32_e32 v5, s26
	v_add_co_u32_e32 v21, vcc, s19, v20
	v_addc_co_u32_e32 v22, vcc, 0, v5, vcc
	v_cndmask_b32_e64 v5, v2, v22, s[4:5]
	v_cndmask_b32_e64 v4, v4, v21, s[4:5]
	v_or_b32_e32 v15, 0x100, v0
	s_movk_i32 s4, 0x800
	v_add_co_u32_e32 v18, vcc, s4, v21
	v_subrev_u32_e32 v2, s17, v15
	v_addc_co_u32_e32 v19, vcc, 0, v22, vcc
	v_lshlrev_b64 v[16:17], 3, v[2:3]
	v_mov_b32_e32 v2, s29
	v_add_co_u32_e32 v16, vcc, s28, v16
	v_addc_co_u32_e32 v2, vcc, v2, v17, vcc
	v_cmp_gt_u32_e32 vcc, s17, v15
	v_or_b32_e32 v15, 0x200, v0
	s_movk_i32 s4, 0x1000
	v_cndmask_b32_e32 v17, v2, v19, vcc
	v_cndmask_b32_e32 v16, v16, v18, vcc
	v_add_co_u32_e32 v23, vcc, s4, v21
	v_subrev_u32_e32 v2, s17, v15
	v_addc_co_u32_e32 v24, vcc, 0, v22, vcc
	v_lshlrev_b64 v[18:19], 3, v[2:3]
	v_mov_b32_e32 v2, s29
	v_add_co_u32_e32 v18, vcc, s28, v18
	v_addc_co_u32_e32 v2, vcc, v2, v19, vcc
	v_cmp_gt_u32_e32 vcc, s17, v15
	global_load_dwordx2 v[4:5], v[4:5], off
	v_cndmask_b32_e32 v19, v2, v24, vcc
	global_load_dwordx2 v[16:17], v[16:17], off
	v_cndmask_b32_e32 v18, v18, v23, vcc
	global_load_dwordx2 v[18:19], v[18:19], off
	v_or_b32_e32 v23, 0x300, v0
	s_movk_i32 s4, 0x1800
	v_add_co_u32_e32 v21, vcc, s4, v21
	v_subrev_u32_e32 v2, s17, v23
	v_addc_co_u32_e32 v22, vcc, 0, v22, vcc
	v_lshlrev_b64 v[2:3], 3, v[2:3]
	v_mov_b32_e32 v24, s29
	v_add_co_u32_e32 v2, vcc, s28, v2
	v_addc_co_u32_e32 v3, vcc, v24, v3, vcc
	v_cmp_gt_u32_e32 vcc, s17, v23
	v_or_b32_e32 v15, 0x1800, v20
	v_cndmask_b32_e32 v3, v3, v22, vcc
	v_cndmask_b32_e32 v2, v2, v21, vcc
	s_mov_b64 s[4:5], -1
	s_waitcnt vmcnt(1)
	ds_write2st64_b64 v20, v[4:5], v[16:17] offset1:4
	s_waitcnt vmcnt(0)
	ds_write_b64 v20, v[18:19] offset:4096
	s_cbranch_execz .LBB177_26
	s_branch .LBB177_47
.LBB177_25:
	s_mov_b64 s[4:5], 0
                                        ; implicit-def: $vgpr15
                                        ; implicit-def: $vgpr2_vgpr3
.LBB177_26:
	s_mov_b64 s[6:7], 0
                                        ; implicit-def: $vgpr2_vgpr3
	s_and_saveexec_b64 s[8:9], s[2:3]
	s_xor_b64 s[2:3], exec, s[8:9]
	s_cbranch_execz .LBB177_51
; %bb.27:
	v_subrev_u32_e32 v4, s17, v0
	v_cmp_gt_u32_e32 vcc, s27, v4
                                        ; implicit-def: $vgpr2_vgpr3
	s_and_saveexec_b64 s[8:9], vcc
	s_xor_b64 s[8:9], exec, s[8:9]
; %bb.28:
	v_mov_b32_e32 v5, 0
	v_lshlrev_b64 v[2:3], 3, v[4:5]
	v_mov_b32_e32 v4, s29
	v_add_co_u32_e32 v2, vcc, s28, v2
	s_mov_b64 s[6:7], exec
	v_addc_co_u32_e32 v3, vcc, v4, v3, vcc
; %bb.29:
	s_or_b64 exec, exec, s[8:9]
	s_and_b64 s[6:7], s[6:7], exec
	s_andn2_saveexec_b64 s[2:3], s[2:3]
	s_cbranch_execnz .LBB177_52
.LBB177_30:
	s_or_b64 exec, exec, s[2:3]
	v_mad_u32_u24 v15, v0, 7, v0
	s_and_saveexec_b64 s[2:3], s[6:7]
	s_cbranch_execz .LBB177_32
.LBB177_31:
	global_load_dwordx2 v[2:3], v[2:3], off
	s_waitcnt vmcnt(0)
	ds_write_b64 v15, v[2:3]
.LBB177_32:
	s_or_b64 exec, exec, s[2:3]
	v_or_b32_e32 v2, 0x100, v0
	v_cmp_le_u32_e32 vcc, s17, v2
	s_mov_b64 s[6:7], -1
	v_pk_mov_b32 v[4:5], s[22:23], s[22:23] op_sel:[0,1]
	s_and_saveexec_b64 s[2:3], vcc
; %bb.33:
	v_subrev_u32_e32 v2, s17, v2
	v_cmp_gt_u32_e32 vcc, s27, v2
	v_pk_mov_b32 v[4:5], s[24:25], s[24:25] op_sel:[0,1]
	s_orn2_b64 s[6:7], vcc, exec
; %bb.34:
	s_or_b64 exec, exec, s[2:3]
	s_and_saveexec_b64 s[2:3], s[6:7]
	s_cbranch_execz .LBB177_36
; %bb.35:
	v_lshlrev_b64 v[4:5], 3, v[4:5]
	v_mov_b32_e32 v3, s13
	v_add_co_u32_e32 v4, vcc, s12, v4
	v_addc_co_u32_e32 v5, vcc, v3, v5, vcc
	v_mov_b32_e32 v3, 0
	v_lshlrev_b64 v[2:3], 3, v[2:3]
	v_add_co_u32_e32 v2, vcc, v4, v2
	v_addc_co_u32_e32 v3, vcc, v5, v3, vcc
	global_load_dwordx2 v[2:3], v[2:3], off
	s_waitcnt vmcnt(0)
	ds_write_b64 v15, v[2:3] offset:2048
.LBB177_36:
	s_or_b64 exec, exec, s[2:3]
	v_or_b32_e32 v2, 0x200, v0
	v_cmp_le_u32_e32 vcc, s17, v2
	s_mov_b64 s[6:7], -1
	v_pk_mov_b32 v[4:5], s[22:23], s[22:23] op_sel:[0,1]
	s_and_saveexec_b64 s[2:3], vcc
; %bb.37:
	v_subrev_u32_e32 v2, s17, v2
	v_cmp_gt_u32_e32 vcc, s27, v2
	v_pk_mov_b32 v[4:5], s[24:25], s[24:25] op_sel:[0,1]
	s_orn2_b64 s[6:7], vcc, exec
; %bb.38:
	s_or_b64 exec, exec, s[2:3]
	s_and_saveexec_b64 s[2:3], s[6:7]
	s_cbranch_execz .LBB177_40
; %bb.39:
	v_lshlrev_b64 v[4:5], 3, v[4:5]
	v_mov_b32_e32 v3, s13
	v_add_co_u32_e32 v4, vcc, s12, v4
	v_addc_co_u32_e32 v5, vcc, v3, v5, vcc
	v_mov_b32_e32 v3, 0
	v_lshlrev_b64 v[2:3], 3, v[2:3]
	v_add_co_u32_e32 v2, vcc, v4, v2
	v_addc_co_u32_e32 v3, vcc, v5, v3, vcc
	global_load_dwordx2 v[2:3], v[2:3], off
	s_waitcnt vmcnt(0)
	ds_write_b64 v15, v[2:3] offset:4096
.LBB177_40:
	s_or_b64 exec, exec, s[2:3]
	v_or_b32_e32 v4, 0x300, v0
	v_cmp_le_u32_e32 vcc, s17, v4
                                        ; implicit-def: $vgpr15
                                        ; implicit-def: $vgpr2_vgpr3
	s_and_saveexec_b64 s[2:3], vcc
	s_xor_b64 s[2:3], exec, s[2:3]
	s_cbranch_execz .LBB177_44
; %bb.41:
	v_subrev_u32_e32 v4, s17, v4
	v_cmp_gt_u32_e32 vcc, s27, v4
	s_mov_b64 s[8:9], s[4:5]
                                        ; implicit-def: $vgpr15
                                        ; implicit-def: $vgpr2_vgpr3
	s_and_saveexec_b64 s[6:7], vcc
; %bb.42:
	v_mul_u32_u24_e32 v2, 7, v0
	s_movk_i32 s8, 0x1800
	v_mov_b32_e32 v5, 0
	v_add3_u32 v15, v0, v2, s8
	v_lshlrev_b64 v[2:3], 3, v[4:5]
	v_mov_b32_e32 v4, s29
	v_add_co_u32_e32 v2, vcc, s28, v2
	v_addc_co_u32_e32 v3, vcc, v4, v3, vcc
	s_or_b64 s[8:9], s[4:5], exec
; %bb.43:
	s_or_b64 exec, exec, s[6:7]
	s_andn2_b64 s[4:5], s[4:5], exec
	s_and_b64 s[6:7], s[8:9], exec
	s_or_b64 s[4:5], s[4:5], s[6:7]
                                        ; implicit-def: $vgpr4
.LBB177_44:
	s_andn2_saveexec_b64 s[2:3], s[2:3]
; %bb.45:
	v_lshlrev_b32_e32 v2, 3, v4
	v_mov_b32_e32 v3, s26
	v_add_co_u32_e32 v2, vcc, s19, v2
	v_mul_u32_u24_e32 v4, 7, v0
	s_movk_i32 s6, 0x1800
	v_addc_co_u32_e32 v3, vcc, 0, v3, vcc
	v_add3_u32 v15, v0, v4, s6
	s_or_b64 s[4:5], s[4:5], exec
; %bb.46:
	s_or_b64 exec, exec, s[2:3]
.LBB177_47:
	s_and_saveexec_b64 s[2:3], s[4:5]
	s_cbranch_execz .LBB177_49
; %bb.48:
	global_load_dwordx2 v[2:3], v[2:3], off
	s_waitcnt vmcnt(0)
	ds_write_b64 v15, v[2:3]
.LBB177_49:
	s_or_b64 exec, exec, s[2:3]
	s_and_b64 vcc, exec, s[0:1]
	v_add_u32_e32 v2, s18, v8
	s_waitcnt lgkmcnt(0)
	s_barrier
	s_cbranch_vccnz .LBB177_53
; %bb.50:
	v_lshlrev_b32_e32 v15, 3, v14
	v_lshlrev_b32_e32 v18, 3, v13
	;; [unrolled: 1-line block ×3, first 2 shown]
	ds_read_b64 v[16:17], v15
	ds_read_b64 v[18:19], v18
	;; [unrolled: 1-line block ×3, first 2 shown]
	v_mov_b32_e32 v3, 0
	v_lshlrev_b64 v[4:5], 3, v[2:3]
	v_mov_b32_e32 v22, s15
	v_add_co_u32_e32 v4, vcc, s14, v4
	v_addc_co_u32_e32 v5, vcc, v22, v5, vcc
	s_mov_b64 s[0:1], -1
	s_waitcnt lgkmcnt(1)
	global_store_dwordx4 v[4:5], v[16:19], off
	s_waitcnt lgkmcnt(0)
	global_store_dwordx2 v[4:5], v[20:21], off offset:16
	s_cbranch_execz .LBB177_54
	s_branch .LBB177_63
.LBB177_51:
	s_andn2_saveexec_b64 s[2:3], s[2:3]
	s_cbranch_execz .LBB177_30
.LBB177_52:
	v_lshlrev_b32_e32 v2, 3, v0
	v_mov_b32_e32 v3, s26
	v_add_co_u32_e32 v2, vcc, s19, v2
	v_addc_co_u32_e32 v3, vcc, 0, v3, vcc
	s_or_b64 s[6:7], s[6:7], exec
	s_or_b64 exec, exec, s[2:3]
	v_mad_u32_u24 v15, v0, 7, v0
	s_and_saveexec_b64 s[2:3], s[6:7]
	s_cbranch_execnz .LBB177_31
	s_branch .LBB177_32
.LBB177_53:
	s_mov_b64 s[0:1], 0
.LBB177_54:
	v_cmp_lt_u32_e32 vcc, v8, v9
	s_and_saveexec_b64 s[2:3], vcc
	s_cbranch_execz .LBB177_56
; %bb.55:
	v_lshlrev_b32_e32 v14, 3, v14
	ds_read_b64 v[14:15], v14
	v_mov_b32_e32 v3, 0
	v_lshlrev_b64 v[4:5], 3, v[2:3]
	v_mov_b32_e32 v3, s15
	v_add_co_u32_e32 v4, vcc, s14, v4
	v_addc_co_u32_e32 v5, vcc, v3, v5, vcc
	s_waitcnt lgkmcnt(0)
	global_store_dwordx2 v[4:5], v[14:15], off
.LBB177_56:
	s_or_b64 exec, exec, s[2:3]
	v_or_b32_e32 v3, 1, v8
	v_cmp_lt_u32_e32 vcc, v3, v9
	s_and_saveexec_b64 s[2:3], vcc
	s_cbranch_execz .LBB177_58
; %bb.57:
	v_lshlrev_b32_e32 v13, 3, v13
	ds_read_b64 v[14:15], v13
	v_mov_b32_e32 v3, 0
	v_lshlrev_b64 v[4:5], 3, v[2:3]
	v_mov_b32_e32 v3, s15
	v_add_co_u32_e32 v4, vcc, s14, v4
	v_addc_co_u32_e32 v5, vcc, v3, v5, vcc
	s_waitcnt lgkmcnt(0)
	global_store_dwordx2 v[4:5], v[14:15], off offset:8
.LBB177_58:
	s_or_b64 exec, exec, s[2:3]
	v_or_b32_e32 v3, 2, v8
	v_cmp_lt_u32_e32 vcc, v3, v9
	s_and_saveexec_b64 s[2:3], vcc
	s_cbranch_execz .LBB177_60
; %bb.59:
	v_lshlrev_b32_e32 v12, 3, v12
	ds_read_b64 v[12:13], v12
	v_mov_b32_e32 v3, 0
	v_lshlrev_b64 v[4:5], 3, v[2:3]
	v_mov_b32_e32 v3, s15
	v_add_co_u32_e32 v4, vcc, s14, v4
	v_addc_co_u32_e32 v5, vcc, v3, v5, vcc
	s_waitcnt lgkmcnt(0)
	global_store_dwordx2 v[4:5], v[12:13], off offset:16
.LBB177_60:
	s_or_b64 exec, exec, s[2:3]
	v_or_b32_e32 v3, 3, v8
	v_cmp_lt_u32_e32 vcc, v3, v9
	s_and_saveexec_b64 s[2:3], vcc
; %bb.61:
	v_mov_b32_e32 v3, 0
	s_or_b64 s[0:1], s[0:1], exec
; %bb.62:
	s_or_b64 exec, exec, s[2:3]
.LBB177_63:
	s_and_saveexec_b64 s[2:3], s[0:1]
	s_cbranch_execz .LBB177_65
; %bb.64:
	v_lshlrev_b32_e32 v4, 3, v11
	ds_read_b64 v[4:5], v4
	v_lshlrev_b64 v[2:3], 3, v[2:3]
	v_mov_b32_e32 v9, s15
	v_add_co_u32_e32 v2, vcc, s14, v2
	v_addc_co_u32_e32 v3, vcc, v9, v3, vcc
	s_waitcnt lgkmcnt(0)
	global_store_dwordx2 v[2:3], v[4:5], off offset:24
.LBB177_65:
	s_or_b64 exec, exec, s[2:3]
	v_lshlrev_b16_e32 v3, 8, v6
	v_lshrrev_b32_e32 v2, 3, v0
	v_or_b32_sdwa v1, v1, v3 dst_sel:DWORD dst_unused:UNUSED_PAD src0_sel:BYTE_0 src1_sel:DWORD
	v_lshlrev_b16_e32 v3, 8, v10
	v_and_b32_e32 v2, 28, v2
	v_or_b32_sdwa v3, v7, v3 dst_sel:WORD_1 dst_unused:UNUSED_PAD src0_sel:BYTE_0 src1_sel:DWORD
	v_add_u32_e32 v2, v2, v8
	v_or_b32_sdwa v1, v1, v3 dst_sel:DWORD dst_unused:UNUSED_PAD src0_sel:WORD_0 src1_sel:DWORD
	s_barrier
	s_barrier
	ds_write_b32 v2, v1
	v_lshrrev_b32_e32 v1, 5, v0
	v_or_b32_e32 v5, 0x100, v0
	v_and_b32_e32 v6, 4, v1
	v_lshrrev_b32_e32 v1, 5, v5
	v_or_b32_e32 v4, 0x200, v0
	v_and_b32_e32 v7, 12, v1
	v_lshrrev_b32_e32 v1, 5, v4
	s_add_u32 s0, s10, s18
	v_and_b32_e32 v9, 20, v1
	v_or_b32_e32 v1, 0x300, v0
	s_addc_u32 s1, s11, 0
	v_lshrrev_b32_e32 v2, 5, v1
	v_and_b32_e32 v10, 28, v2
	v_mov_b32_e32 v3, s1
	v_add_co_u32_e32 v2, vcc, s0, v0
	v_addc_co_u32_e32 v3, vcc, 0, v3, vcc
	s_and_b64 vcc, exec, s[20:21]
	v_add_u32_e32 v8, v0, v7
	v_add_u32_e32 v9, v0, v9
	;; [unrolled: 1-line block ×3, first 2 shown]
	s_waitcnt lgkmcnt(0)
	s_cbranch_vccz .LBB177_67
; %bb.66:
	v_add_u32_e32 v7, v0, v6
	s_barrier
	ds_read_u8 v11, v7
	ds_read_u8 v12, v8 offset:256
	ds_read_u8 v13, v9 offset:512
	;; [unrolled: 1-line block ×3, first 2 shown]
	s_waitcnt lgkmcnt(3)
	global_store_byte v[2:3], v11, off
	s_waitcnt lgkmcnt(2)
	global_store_byte v[2:3], v12, off offset:256
	s_waitcnt lgkmcnt(1)
	global_store_byte v[2:3], v13, off offset:512
	s_mov_b64 s[0:1], -1
	s_cbranch_execz .LBB177_68
	s_branch .LBB177_73
.LBB177_67:
	s_mov_b64 s[0:1], 0
                                        ; implicit-def: $vgpr7
.LBB177_68:
	s_barrier
	s_waitcnt lgkmcnt(0)
	ds_read_u8 v11, v8 offset:256
	ds_read_u8 v8, v9 offset:512
	;; [unrolled: 1-line block ×3, first 2 shown]
	s_sub_i32 s2, s16, s18
	v_cmp_gt_u32_e32 vcc, s2, v0
	s_and_saveexec_b64 s[0:1], vcc
	s_cbranch_execz .LBB177_76
; %bb.69:
	v_add_u32_e32 v0, v0, v6
	ds_read_u8 v0, v0
	s_waitcnt lgkmcnt(0)
	global_store_byte v[2:3], v0, off
	s_or_b64 exec, exec, s[0:1]
	v_cmp_gt_u32_e32 vcc, s2, v5
	s_and_saveexec_b64 s[0:1], vcc
	s_cbranch_execnz .LBB177_77
.LBB177_70:
	s_or_b64 exec, exec, s[0:1]
	v_cmp_gt_u32_e32 vcc, s2, v4
	s_and_saveexec_b64 s[0:1], vcc
	s_cbranch_execz .LBB177_72
.LBB177_71:
	s_waitcnt lgkmcnt(1)
	global_store_byte v[2:3], v8, off offset:512
.LBB177_72:
	s_or_b64 exec, exec, s[0:1]
	v_cmp_gt_u32_e64 s[0:1], s2, v1
.LBB177_73:
	s_and_saveexec_b64 s[2:3], s[0:1]
	s_cbranch_execz .LBB177_75
; %bb.74:
	s_waitcnt lgkmcnt(0)
	global_store_byte v[2:3], v7, off offset:768
.LBB177_75:
	s_endpgm
.LBB177_76:
	s_or_b64 exec, exec, s[0:1]
	v_cmp_gt_u32_e32 vcc, s2, v5
	s_and_saveexec_b64 s[0:1], vcc
	s_cbranch_execz .LBB177_70
.LBB177_77:
	s_waitcnt lgkmcnt(2)
	global_store_byte v[2:3], v11, off offset:256
	s_or_b64 exec, exec, s[0:1]
	v_cmp_gt_u32_e32 vcc, s2, v4
	s_and_saveexec_b64 s[0:1], vcc
	s_cbranch_execnz .LBB177_71
	s_branch .LBB177_72
	.section	.rodata,"a",@progbits
	.p2align	6, 0x0
	.amdhsa_kernel _ZN7rocprim17ROCPRIM_304000_NS6detail35device_block_merge_mergepath_kernelINS1_37wrapped_merge_sort_block_merge_configINS0_14default_configEbN2at4cuda3cub6detail10OpaqueTypeILi8EEEEEPbSC_PSA_SD_jNS1_19radix_merge_compareILb0ELb1EbNS0_19identity_decomposerEEEEEvT0_T1_T2_T3_T4_SL_jT5_PKSL_NS1_7vsmem_tE
		.amdhsa_group_segment_fixed_size 8208
		.amdhsa_private_segment_fixed_size 0
		.amdhsa_kernarg_size 320
		.amdhsa_user_sgpr_count 6
		.amdhsa_user_sgpr_private_segment_buffer 1
		.amdhsa_user_sgpr_dispatch_ptr 0
		.amdhsa_user_sgpr_queue_ptr 0
		.amdhsa_user_sgpr_kernarg_segment_ptr 1
		.amdhsa_user_sgpr_dispatch_id 0
		.amdhsa_user_sgpr_flat_scratch_init 0
		.amdhsa_user_sgpr_kernarg_preload_length 0
		.amdhsa_user_sgpr_kernarg_preload_offset 0
		.amdhsa_user_sgpr_private_segment_size 0
		.amdhsa_uses_dynamic_stack 0
		.amdhsa_system_sgpr_private_segment_wavefront_offset 0
		.amdhsa_system_sgpr_workgroup_id_x 1
		.amdhsa_system_sgpr_workgroup_id_y 1
		.amdhsa_system_sgpr_workgroup_id_z 1
		.amdhsa_system_sgpr_workgroup_info 0
		.amdhsa_system_vgpr_workitem_id 0
		.amdhsa_next_free_vgpr 25
		.amdhsa_next_free_sgpr 30
		.amdhsa_accum_offset 28
		.amdhsa_reserve_vcc 1
		.amdhsa_reserve_flat_scratch 0
		.amdhsa_float_round_mode_32 0
		.amdhsa_float_round_mode_16_64 0
		.amdhsa_float_denorm_mode_32 3
		.amdhsa_float_denorm_mode_16_64 3
		.amdhsa_dx10_clamp 1
		.amdhsa_ieee_mode 1
		.amdhsa_fp16_overflow 0
		.amdhsa_tg_split 0
		.amdhsa_exception_fp_ieee_invalid_op 0
		.amdhsa_exception_fp_denorm_src 0
		.amdhsa_exception_fp_ieee_div_zero 0
		.amdhsa_exception_fp_ieee_overflow 0
		.amdhsa_exception_fp_ieee_underflow 0
		.amdhsa_exception_fp_ieee_inexact 0
		.amdhsa_exception_int_div_zero 0
	.end_amdhsa_kernel
	.section	.text._ZN7rocprim17ROCPRIM_304000_NS6detail35device_block_merge_mergepath_kernelINS1_37wrapped_merge_sort_block_merge_configINS0_14default_configEbN2at4cuda3cub6detail10OpaqueTypeILi8EEEEEPbSC_PSA_SD_jNS1_19radix_merge_compareILb0ELb1EbNS0_19identity_decomposerEEEEEvT0_T1_T2_T3_T4_SL_jT5_PKSL_NS1_7vsmem_tE,"axG",@progbits,_ZN7rocprim17ROCPRIM_304000_NS6detail35device_block_merge_mergepath_kernelINS1_37wrapped_merge_sort_block_merge_configINS0_14default_configEbN2at4cuda3cub6detail10OpaqueTypeILi8EEEEEPbSC_PSA_SD_jNS1_19radix_merge_compareILb0ELb1EbNS0_19identity_decomposerEEEEEvT0_T1_T2_T3_T4_SL_jT5_PKSL_NS1_7vsmem_tE,comdat
.Lfunc_end177:
	.size	_ZN7rocprim17ROCPRIM_304000_NS6detail35device_block_merge_mergepath_kernelINS1_37wrapped_merge_sort_block_merge_configINS0_14default_configEbN2at4cuda3cub6detail10OpaqueTypeILi8EEEEEPbSC_PSA_SD_jNS1_19radix_merge_compareILb0ELb1EbNS0_19identity_decomposerEEEEEvT0_T1_T2_T3_T4_SL_jT5_PKSL_NS1_7vsmem_tE, .Lfunc_end177-_ZN7rocprim17ROCPRIM_304000_NS6detail35device_block_merge_mergepath_kernelINS1_37wrapped_merge_sort_block_merge_configINS0_14default_configEbN2at4cuda3cub6detail10OpaqueTypeILi8EEEEEPbSC_PSA_SD_jNS1_19radix_merge_compareILb0ELb1EbNS0_19identity_decomposerEEEEEvT0_T1_T2_T3_T4_SL_jT5_PKSL_NS1_7vsmem_tE
                                        ; -- End function
	.section	.AMDGPU.csdata,"",@progbits
; Kernel info:
; codeLenInByte = 3288
; NumSgprs: 34
; NumVgprs: 25
; NumAgprs: 0
; TotalNumVgprs: 25
; ScratchSize: 0
; MemoryBound: 1
; FloatMode: 240
; IeeeMode: 1
; LDSByteSize: 8208 bytes/workgroup (compile time only)
; SGPRBlocks: 4
; VGPRBlocks: 3
; NumSGPRsForWavesPerEU: 34
; NumVGPRsForWavesPerEU: 25
; AccumOffset: 28
; Occupancy: 7
; WaveLimiterHint : 1
; COMPUTE_PGM_RSRC2:SCRATCH_EN: 0
; COMPUTE_PGM_RSRC2:USER_SGPR: 6
; COMPUTE_PGM_RSRC2:TRAP_HANDLER: 0
; COMPUTE_PGM_RSRC2:TGID_X_EN: 1
; COMPUTE_PGM_RSRC2:TGID_Y_EN: 1
; COMPUTE_PGM_RSRC2:TGID_Z_EN: 1
; COMPUTE_PGM_RSRC2:TIDIG_COMP_CNT: 0
; COMPUTE_PGM_RSRC3_GFX90A:ACCUM_OFFSET: 6
; COMPUTE_PGM_RSRC3_GFX90A:TG_SPLIT: 0
	.section	.text._ZN7rocprim17ROCPRIM_304000_NS6detail33device_block_merge_oddeven_kernelINS1_37wrapped_merge_sort_block_merge_configINS0_14default_configEbN2at4cuda3cub6detail10OpaqueTypeILi8EEEEEPbSC_PSA_SD_jNS1_19radix_merge_compareILb0ELb1EbNS0_19identity_decomposerEEEEEvT0_T1_T2_T3_T4_SL_T5_,"axG",@progbits,_ZN7rocprim17ROCPRIM_304000_NS6detail33device_block_merge_oddeven_kernelINS1_37wrapped_merge_sort_block_merge_configINS0_14default_configEbN2at4cuda3cub6detail10OpaqueTypeILi8EEEEEPbSC_PSA_SD_jNS1_19radix_merge_compareILb0ELb1EbNS0_19identity_decomposerEEEEEvT0_T1_T2_T3_T4_SL_T5_,comdat
	.protected	_ZN7rocprim17ROCPRIM_304000_NS6detail33device_block_merge_oddeven_kernelINS1_37wrapped_merge_sort_block_merge_configINS0_14default_configEbN2at4cuda3cub6detail10OpaqueTypeILi8EEEEEPbSC_PSA_SD_jNS1_19radix_merge_compareILb0ELb1EbNS0_19identity_decomposerEEEEEvT0_T1_T2_T3_T4_SL_T5_ ; -- Begin function _ZN7rocprim17ROCPRIM_304000_NS6detail33device_block_merge_oddeven_kernelINS1_37wrapped_merge_sort_block_merge_configINS0_14default_configEbN2at4cuda3cub6detail10OpaqueTypeILi8EEEEEPbSC_PSA_SD_jNS1_19radix_merge_compareILb0ELb1EbNS0_19identity_decomposerEEEEEvT0_T1_T2_T3_T4_SL_T5_
	.globl	_ZN7rocprim17ROCPRIM_304000_NS6detail33device_block_merge_oddeven_kernelINS1_37wrapped_merge_sort_block_merge_configINS0_14default_configEbN2at4cuda3cub6detail10OpaqueTypeILi8EEEEEPbSC_PSA_SD_jNS1_19radix_merge_compareILb0ELb1EbNS0_19identity_decomposerEEEEEvT0_T1_T2_T3_T4_SL_T5_
	.p2align	8
	.type	_ZN7rocprim17ROCPRIM_304000_NS6detail33device_block_merge_oddeven_kernelINS1_37wrapped_merge_sort_block_merge_configINS0_14default_configEbN2at4cuda3cub6detail10OpaqueTypeILi8EEEEEPbSC_PSA_SD_jNS1_19radix_merge_compareILb0ELb1EbNS0_19identity_decomposerEEEEEvT0_T1_T2_T3_T4_SL_T5_,@function
_ZN7rocprim17ROCPRIM_304000_NS6detail33device_block_merge_oddeven_kernelINS1_37wrapped_merge_sort_block_merge_configINS0_14default_configEbN2at4cuda3cub6detail10OpaqueTypeILi8EEEEEPbSC_PSA_SD_jNS1_19radix_merge_compareILb0ELb1EbNS0_19identity_decomposerEEEEEvT0_T1_T2_T3_T4_SL_T5_: ; @_ZN7rocprim17ROCPRIM_304000_NS6detail33device_block_merge_oddeven_kernelINS1_37wrapped_merge_sort_block_merge_configINS0_14default_configEbN2at4cuda3cub6detail10OpaqueTypeILi8EEEEEPbSC_PSA_SD_jNS1_19radix_merge_compareILb0ELb1EbNS0_19identity_decomposerEEEEEvT0_T1_T2_T3_T4_SL_T5_
; %bb.0:
	s_load_dwordx4 s[16:19], s[4:5], 0x20
	s_waitcnt lgkmcnt(0)
	s_lshr_b32 s2, s16, 8
	s_cmp_lg_u32 s6, s2
	s_cselect_b64 s[0:1], -1, 0
	s_cmp_eq_u32 s6, s2
	s_cselect_b64 s[20:21], -1, 0
	s_lshl_b32 s22, s6, 8
	s_sub_i32 s2, s16, s22
	v_cmp_gt_u32_e64 s[2:3], s2, v0
	s_or_b64 s[0:1], s[0:1], s[2:3]
	s_and_saveexec_b64 s[8:9], s[0:1]
	s_cbranch_execz .LBB178_26
; %bb.1:
	s_load_dwordx8 s[8:15], s[4:5], 0x0
	s_mov_b32 s23, 0
	v_lshlrev_b32_e32 v1, 3, v0
	v_add_u32_e32 v4, s22, v0
	s_waitcnt lgkmcnt(0)
	s_add_u32 s0, s8, s22
	s_addc_u32 s1, s9, 0
	s_lshl_b64 s[4:5], s[22:23], 3
	s_add_u32 s4, s12, s4
	s_addc_u32 s5, s13, s5
	global_load_dwordx2 v[2:3], v1, s[4:5]
	global_load_ubyte v6, v0, s[0:1]
	s_lshr_b32 s0, s17, 8
	s_sub_i32 s1, 0, s0
	s_and_b32 s1, s6, s1
	s_and_b32 s0, s1, s0
	s_lshl_b32 s23, s1, 8
	s_sub_i32 s6, 0, s17
	s_cmp_eq_u32 s0, 0
	s_cselect_b64 s[0:1], -1, 0
	s_and_b64 s[4:5], s[0:1], exec
	s_cselect_b32 s19, s17, s6
	s_add_i32 s19, s19, s23
	s_cmp_lt_u32 s19, s16
	s_cbranch_scc1 .LBB178_6
; %bb.2:
	s_and_b64 vcc, exec, s[20:21]
	s_cbranch_vccz .LBB178_7
; %bb.3:
	v_cmp_gt_u32_e32 vcc, s16, v4
	s_mov_b64 s[6:7], 0
	s_mov_b64 s[4:5], 0
                                        ; implicit-def: $vgpr0_vgpr1
	s_and_saveexec_b64 s[12:13], vcc
	s_cbranch_execz .LBB178_5
; %bb.4:
	v_mov_b32_e32 v5, 0
	v_lshlrev_b64 v[0:1], 3, v[4:5]
	v_mov_b32_e32 v5, s15
	v_add_co_u32_e32 v0, vcc, s14, v0
	s_mov_b64 s[4:5], exec
	v_addc_co_u32_e32 v1, vcc, v5, v1, vcc
	s_waitcnt vmcnt(0)
	global_store_byte v4, v6, s[10:11]
.LBB178_5:
	s_or_b64 exec, exec, s[12:13]
	s_and_b64 vcc, exec, s[6:7]
	s_cbranch_vccnz .LBB178_8
	s_branch .LBB178_9
.LBB178_6:
	s_mov_b64 s[4:5], 0
                                        ; implicit-def: $vgpr0_vgpr1
	s_cbranch_execnz .LBB178_10
	s_branch .LBB178_24
.LBB178_7:
	s_mov_b64 s[4:5], 0
                                        ; implicit-def: $vgpr0_vgpr1
	s_cbranch_execz .LBB178_9
.LBB178_8:
	v_mov_b32_e32 v5, 0
	v_lshlrev_b64 v[0:1], 3, v[4:5]
	v_mov_b32_e32 v5, s15
	v_add_co_u32_e32 v0, vcc, s14, v0
	v_addc_co_u32_e32 v1, vcc, v5, v1, vcc
	s_or_b64 s[4:5], s[4:5], exec
	s_waitcnt vmcnt(0)
	global_store_byte v4, v6, s[10:11]
.LBB178_9:
	s_branch .LBB178_24
.LBB178_10:
	s_min_u32 s12, s19, s16
	s_add_i32 s6, s12, s17
	s_min_u32 s13, s6, s16
	s_min_u32 s6, s23, s12
	s_add_i32 s23, s23, s12
	v_subrev_u32_e32 v0, s23, v4
	v_and_b32_e64 v5, s18, 1
	v_add_u32_e32 v4, s6, v0
	s_and_b64 vcc, exec, s[20:21]
	s_cbranch_vccz .LBB178_18
; %bb.11:
                                        ; implicit-def: $vgpr0_vgpr1
	s_and_saveexec_b64 s[6:7], s[2:3]
	s_cbranch_execz .LBB178_17
; %bb.12:
	s_cmp_ge_u32 s19, s13
	v_mov_b32_e32 v0, s12
	s_cbranch_scc1 .LBB178_16
; %bb.13:
	s_waitcnt vmcnt(0)
	v_and_b32_e32 v1, v6, v5
	s_mov_b64 s[2:3], 0
	v_mov_b32_e32 v7, s13
	v_mov_b32_e32 v0, s12
.LBB178_14:                             ; =>This Inner Loop Header: Depth=1
	v_add_u32_e32 v8, v0, v7
	v_lshrrev_b32_e32 v8, 1, v8
	global_load_ubyte v9, v8, s[8:9]
	v_add_u32_e32 v10, 1, v8
	s_waitcnt vmcnt(0)
	v_and_b32_e32 v9, v9, v5
	v_cmp_gt_u16_e32 vcc, v1, v9
	v_cndmask_b32_e64 v11, 0, 1, vcc
	v_cmp_le_u16_e32 vcc, v9, v1
	v_cndmask_b32_e64 v9, 0, 1, vcc
	v_cndmask_b32_e64 v9, v9, v11, s[0:1]
	v_and_b32_e32 v9, 1, v9
	v_cmp_eq_u32_e32 vcc, 1, v9
	v_cndmask_b32_e32 v7, v8, v7, vcc
	v_cndmask_b32_e32 v0, v0, v10, vcc
	v_cmp_ge_u32_e32 vcc, v0, v7
	s_or_b64 s[2:3], vcc, s[2:3]
	s_andn2_b64 exec, exec, s[2:3]
	s_cbranch_execnz .LBB178_14
; %bb.15:
	s_or_b64 exec, exec, s[2:3]
.LBB178_16:
	v_add_u32_e32 v0, v0, v4
	v_mov_b32_e32 v1, 0
	s_waitcnt vmcnt(0)
	global_store_byte v0, v6, s[10:11]
	v_lshlrev_b64 v[0:1], 3, v[0:1]
	v_mov_b32_e32 v7, s15
	v_add_co_u32_e32 v0, vcc, s14, v0
	v_addc_co_u32_e32 v1, vcc, v7, v1, vcc
	s_or_b64 s[4:5], s[4:5], exec
.LBB178_17:
	s_or_b64 exec, exec, s[6:7]
	s_branch .LBB178_24
.LBB178_18:
                                        ; implicit-def: $vgpr0_vgpr1
	s_cbranch_execz .LBB178_24
; %bb.19:
	s_cmp_ge_u32 s19, s13
	v_mov_b32_e32 v0, s12
	s_cbranch_scc1 .LBB178_23
; %bb.20:
	s_waitcnt vmcnt(0)
	v_and_b32_e32 v1, v6, v5
	s_mov_b64 s[2:3], 0
	v_mov_b32_e32 v7, s13
	v_mov_b32_e32 v0, s12
.LBB178_21:                             ; =>This Inner Loop Header: Depth=1
	v_add_u32_e32 v8, v0, v7
	v_lshrrev_b32_e32 v8, 1, v8
	global_load_ubyte v9, v8, s[8:9]
	v_add_u32_e32 v10, 1, v8
	s_waitcnt vmcnt(0)
	v_and_b32_e32 v9, v9, v5
	v_cmp_gt_u16_e32 vcc, v1, v9
	v_cndmask_b32_e64 v11, 0, 1, vcc
	v_cmp_le_u16_e32 vcc, v9, v1
	v_cndmask_b32_e64 v9, 0, 1, vcc
	v_cndmask_b32_e64 v9, v9, v11, s[0:1]
	v_and_b32_e32 v9, 1, v9
	v_cmp_eq_u32_e32 vcc, 1, v9
	v_cndmask_b32_e32 v7, v8, v7, vcc
	v_cndmask_b32_e32 v0, v0, v10, vcc
	v_cmp_ge_u32_e32 vcc, v0, v7
	s_or_b64 s[2:3], vcc, s[2:3]
	s_andn2_b64 exec, exec, s[2:3]
	s_cbranch_execnz .LBB178_21
; %bb.22:
	s_or_b64 exec, exec, s[2:3]
.LBB178_23:
	v_add_u32_e32 v0, v0, v4
	v_mov_b32_e32 v1, 0
	s_waitcnt vmcnt(0)
	global_store_byte v0, v6, s[10:11]
	v_lshlrev_b64 v[0:1], 3, v[0:1]
	v_mov_b32_e32 v4, s15
	v_add_co_u32_e32 v0, vcc, s14, v0
	v_addc_co_u32_e32 v1, vcc, v4, v1, vcc
	s_mov_b64 s[4:5], -1
.LBB178_24:
	s_and_b64 exec, exec, s[4:5]
	s_cbranch_execz .LBB178_26
; %bb.25:
	s_waitcnt vmcnt(1)
	global_store_dwordx2 v[0:1], v[2:3], off
.LBB178_26:
	s_endpgm
	.section	.rodata,"a",@progbits
	.p2align	6, 0x0
	.amdhsa_kernel _ZN7rocprim17ROCPRIM_304000_NS6detail33device_block_merge_oddeven_kernelINS1_37wrapped_merge_sort_block_merge_configINS0_14default_configEbN2at4cuda3cub6detail10OpaqueTypeILi8EEEEEPbSC_PSA_SD_jNS1_19radix_merge_compareILb0ELb1EbNS0_19identity_decomposerEEEEEvT0_T1_T2_T3_T4_SL_T5_
		.amdhsa_group_segment_fixed_size 0
		.amdhsa_private_segment_fixed_size 0
		.amdhsa_kernarg_size 44
		.amdhsa_user_sgpr_count 6
		.amdhsa_user_sgpr_private_segment_buffer 1
		.amdhsa_user_sgpr_dispatch_ptr 0
		.amdhsa_user_sgpr_queue_ptr 0
		.amdhsa_user_sgpr_kernarg_segment_ptr 1
		.amdhsa_user_sgpr_dispatch_id 0
		.amdhsa_user_sgpr_flat_scratch_init 0
		.amdhsa_user_sgpr_kernarg_preload_length 0
		.amdhsa_user_sgpr_kernarg_preload_offset 0
		.amdhsa_user_sgpr_private_segment_size 0
		.amdhsa_uses_dynamic_stack 0
		.amdhsa_system_sgpr_private_segment_wavefront_offset 0
		.amdhsa_system_sgpr_workgroup_id_x 1
		.amdhsa_system_sgpr_workgroup_id_y 0
		.amdhsa_system_sgpr_workgroup_id_z 0
		.amdhsa_system_sgpr_workgroup_info 0
		.amdhsa_system_vgpr_workitem_id 0
		.amdhsa_next_free_vgpr 12
		.amdhsa_next_free_sgpr 24
		.amdhsa_accum_offset 12
		.amdhsa_reserve_vcc 1
		.amdhsa_reserve_flat_scratch 0
		.amdhsa_float_round_mode_32 0
		.amdhsa_float_round_mode_16_64 0
		.amdhsa_float_denorm_mode_32 3
		.amdhsa_float_denorm_mode_16_64 3
		.amdhsa_dx10_clamp 1
		.amdhsa_ieee_mode 1
		.amdhsa_fp16_overflow 0
		.amdhsa_tg_split 0
		.amdhsa_exception_fp_ieee_invalid_op 0
		.amdhsa_exception_fp_denorm_src 0
		.amdhsa_exception_fp_ieee_div_zero 0
		.amdhsa_exception_fp_ieee_overflow 0
		.amdhsa_exception_fp_ieee_underflow 0
		.amdhsa_exception_fp_ieee_inexact 0
		.amdhsa_exception_int_div_zero 0
	.end_amdhsa_kernel
	.section	.text._ZN7rocprim17ROCPRIM_304000_NS6detail33device_block_merge_oddeven_kernelINS1_37wrapped_merge_sort_block_merge_configINS0_14default_configEbN2at4cuda3cub6detail10OpaqueTypeILi8EEEEEPbSC_PSA_SD_jNS1_19radix_merge_compareILb0ELb1EbNS0_19identity_decomposerEEEEEvT0_T1_T2_T3_T4_SL_T5_,"axG",@progbits,_ZN7rocprim17ROCPRIM_304000_NS6detail33device_block_merge_oddeven_kernelINS1_37wrapped_merge_sort_block_merge_configINS0_14default_configEbN2at4cuda3cub6detail10OpaqueTypeILi8EEEEEPbSC_PSA_SD_jNS1_19radix_merge_compareILb0ELb1EbNS0_19identity_decomposerEEEEEvT0_T1_T2_T3_T4_SL_T5_,comdat
.Lfunc_end178:
	.size	_ZN7rocprim17ROCPRIM_304000_NS6detail33device_block_merge_oddeven_kernelINS1_37wrapped_merge_sort_block_merge_configINS0_14default_configEbN2at4cuda3cub6detail10OpaqueTypeILi8EEEEEPbSC_PSA_SD_jNS1_19radix_merge_compareILb0ELb1EbNS0_19identity_decomposerEEEEEvT0_T1_T2_T3_T4_SL_T5_, .Lfunc_end178-_ZN7rocprim17ROCPRIM_304000_NS6detail33device_block_merge_oddeven_kernelINS1_37wrapped_merge_sort_block_merge_configINS0_14default_configEbN2at4cuda3cub6detail10OpaqueTypeILi8EEEEEPbSC_PSA_SD_jNS1_19radix_merge_compareILb0ELb1EbNS0_19identity_decomposerEEEEEvT0_T1_T2_T3_T4_SL_T5_
                                        ; -- End function
	.section	.AMDGPU.csdata,"",@progbits
; Kernel info:
; codeLenInByte = 752
; NumSgprs: 28
; NumVgprs: 12
; NumAgprs: 0
; TotalNumVgprs: 12
; ScratchSize: 0
; MemoryBound: 0
; FloatMode: 240
; IeeeMode: 1
; LDSByteSize: 0 bytes/workgroup (compile time only)
; SGPRBlocks: 3
; VGPRBlocks: 1
; NumSGPRsForWavesPerEU: 28
; NumVGPRsForWavesPerEU: 12
; AccumOffset: 12
; Occupancy: 8
; WaveLimiterHint : 0
; COMPUTE_PGM_RSRC2:SCRATCH_EN: 0
; COMPUTE_PGM_RSRC2:USER_SGPR: 6
; COMPUTE_PGM_RSRC2:TRAP_HANDLER: 0
; COMPUTE_PGM_RSRC2:TGID_X_EN: 1
; COMPUTE_PGM_RSRC2:TGID_Y_EN: 0
; COMPUTE_PGM_RSRC2:TGID_Z_EN: 0
; COMPUTE_PGM_RSRC2:TIDIG_COMP_CNT: 0
; COMPUTE_PGM_RSRC3_GFX90A:ACCUM_OFFSET: 2
; COMPUTE_PGM_RSRC3_GFX90A:TG_SPLIT: 0
	.section	.text._ZN7rocprim17ROCPRIM_304000_NS6detail26onesweep_histograms_kernelINS1_34wrapped_radix_sort_onesweep_configINS0_14default_configEbN2at4cuda3cub6detail10OpaqueTypeILi8EEEEELb0EPKbmNS0_19identity_decomposerEEEvT1_PT2_SG_SG_T3_jj,"axG",@progbits,_ZN7rocprim17ROCPRIM_304000_NS6detail26onesweep_histograms_kernelINS1_34wrapped_radix_sort_onesweep_configINS0_14default_configEbN2at4cuda3cub6detail10OpaqueTypeILi8EEEEELb0EPKbmNS0_19identity_decomposerEEEvT1_PT2_SG_SG_T3_jj,comdat
	.protected	_ZN7rocprim17ROCPRIM_304000_NS6detail26onesweep_histograms_kernelINS1_34wrapped_radix_sort_onesweep_configINS0_14default_configEbN2at4cuda3cub6detail10OpaqueTypeILi8EEEEELb0EPKbmNS0_19identity_decomposerEEEvT1_PT2_SG_SG_T3_jj ; -- Begin function _ZN7rocprim17ROCPRIM_304000_NS6detail26onesweep_histograms_kernelINS1_34wrapped_radix_sort_onesweep_configINS0_14default_configEbN2at4cuda3cub6detail10OpaqueTypeILi8EEEEELb0EPKbmNS0_19identity_decomposerEEEvT1_PT2_SG_SG_T3_jj
	.globl	_ZN7rocprim17ROCPRIM_304000_NS6detail26onesweep_histograms_kernelINS1_34wrapped_radix_sort_onesweep_configINS0_14default_configEbN2at4cuda3cub6detail10OpaqueTypeILi8EEEEELb0EPKbmNS0_19identity_decomposerEEEvT1_PT2_SG_SG_T3_jj
	.p2align	8
	.type	_ZN7rocprim17ROCPRIM_304000_NS6detail26onesweep_histograms_kernelINS1_34wrapped_radix_sort_onesweep_configINS0_14default_configEbN2at4cuda3cub6detail10OpaqueTypeILi8EEEEELb0EPKbmNS0_19identity_decomposerEEEvT1_PT2_SG_SG_T3_jj,@function
_ZN7rocprim17ROCPRIM_304000_NS6detail26onesweep_histograms_kernelINS1_34wrapped_radix_sort_onesweep_configINS0_14default_configEbN2at4cuda3cub6detail10OpaqueTypeILi8EEEEELb0EPKbmNS0_19identity_decomposerEEEvT1_PT2_SG_SG_T3_jj: ; @_ZN7rocprim17ROCPRIM_304000_NS6detail26onesweep_histograms_kernelINS1_34wrapped_radix_sort_onesweep_configINS0_14default_configEbN2at4cuda3cub6detail10OpaqueTypeILi8EEEEELb0EPKbmNS0_19identity_decomposerEEEvT1_PT2_SG_SG_T3_jj
; %bb.0:
	s_load_dwordx8 s[8:15], s[4:5], 0x0
	s_load_dwordx2 s[16:17], s[4:5], 0x24
	s_mov_b32 s7, 0
	s_mul_i32 s1, s6, 0xc00
	s_mul_hi_u32 s0, s6, 0xc00
	s_waitcnt lgkmcnt(0)
	v_pk_mov_b32 v[2:3], s[14:15], s[14:15] op_sel:[0,1]
	v_cmp_ge_u64_e32 vcc, s[6:7], v[2:3]
	s_add_u32 s18, s8, s1
	s_addc_u32 s19, s9, s0
	s_mov_b64 s[0:1], -1
	s_cbranch_vccz .LBB179_50
; %bb.1:
	s_mulk_i32 s14, 0xf400
	s_add_i32 s14, s14, s12
	v_mov_b32_e32 v1, s19
	v_add_co_u32_e32 v2, vcc, s18, v0
	v_mov_b32_e32 v6, 0
	v_addc_co_u32_e32 v3, vcc, 0, v1, vcc
	v_cmp_gt_u32_e64 s[8:9], s14, v0
	v_mov_b32_e32 v8, 0
	s_and_saveexec_b64 s[0:1], s[8:9]
	s_cbranch_execz .LBB179_3
; %bb.2:
	global_load_ubyte v8, v[2:3], off
.LBB179_3:
	s_or_b64 exec, exec, s[0:1]
	v_or_b32_e32 v1, 0x200, v0
	v_cmp_gt_u32_e64 s[6:7], s14, v1
	s_and_saveexec_b64 s[0:1], s[6:7]
	s_cbranch_execz .LBB179_5
; %bb.4:
	global_load_ubyte v6, v[2:3], off offset:512
.LBB179_5:
	s_or_b64 exec, exec, s[0:1]
	v_or_b32_e32 v1, 0x400, v0
	v_cmp_gt_u32_e64 s[4:5], s14, v1
	v_mov_b32_e32 v5, 0
	v_mov_b32_e32 v7, 0
	s_and_saveexec_b64 s[0:1], s[4:5]
	s_cbranch_execz .LBB179_7
; %bb.6:
	global_load_ubyte v7, v[2:3], off offset:1024
.LBB179_7:
	s_or_b64 exec, exec, s[0:1]
	v_or_b32_e32 v1, 0x600, v0
	v_cmp_gt_u32_e64 s[2:3], s14, v1
	s_and_saveexec_b64 s[0:1], s[2:3]
	s_cbranch_execz .LBB179_9
; %bb.8:
	global_load_ubyte v5, v[2:3], off offset:1536
.LBB179_9:
	s_or_b64 exec, exec, s[0:1]
	v_or_b32_e32 v1, 0x800, v0
	v_cmp_gt_u32_e64 s[0:1], s14, v1
	v_mov_b32_e32 v1, 0
	v_mov_b32_e32 v4, 0
	s_and_saveexec_b64 s[12:13], s[0:1]
	s_cbranch_execz .LBB179_11
; %bb.10:
	global_load_ubyte v4, v[2:3], off offset:2048
.LBB179_11:
	s_or_b64 exec, exec, s[12:13]
	v_or_b32_e32 v9, 0xa00, v0
	v_cmp_gt_u32_e32 vcc, s14, v9
	s_and_saveexec_b64 s[12:13], vcc
	s_cbranch_execz .LBB179_13
; %bb.12:
	global_load_ubyte v1, v[2:3], off offset:2560
.LBB179_13:
	s_or_b64 exec, exec, s[12:13]
	v_lshlrev_b32_e32 v2, 2, v0
	s_mov_b32 s22, 0
	s_mov_b64 s[12:13], 0
	v_mov_b32_e32 v3, 0
	s_branch .LBB179_15
.LBB179_14:                             ;   in Loop: Header=BB179_15 Depth=1
	s_or_b64 exec, exec, s[20:21]
	s_add_i32 s22, s22, 2
	v_cmp_eq_u32_e64 s[14:15], 2, s22
	s_or_b64 s[12:13], s[14:15], s[12:13]
	v_add_u32_e32 v2, 0x1000, v2
	s_andn2_b64 exec, exec, s[12:13]
	s_cbranch_execz .LBB179_19
.LBB179_15:                             ; =>This Inner Loop Header: Depth=1
	s_or_b32 s14, s22, 1
	v_cmp_le_u32_e64 s[14:15], s14, 1
	v_cmp_le_u32_e64 s[24:25], s22, 1
	s_and_saveexec_b64 s[20:21], s[24:25]
	s_cbranch_execz .LBB179_17
; %bb.16:                               ;   in Loop: Header=BB179_15 Depth=1
	ds_write_b32 v2, v3
.LBB179_17:                             ;   in Loop: Header=BB179_15 Depth=1
	s_or_b64 exec, exec, s[20:21]
	s_and_saveexec_b64 s[20:21], s[14:15]
	s_cbranch_execz .LBB179_14
; %bb.18:                               ;   in Loop: Header=BB179_15 Depth=1
	ds_write_b32 v2, v3 offset:2048
	s_branch .LBB179_14
.LBB179_19:
	s_or_b64 exec, exec, s[12:13]
	s_cmp_gt_u32 s17, s16
	s_cselect_b64 s[12:13], -1, 0
	s_cmp_le_u32 s17, s16
	s_waitcnt lgkmcnt(0)
	s_barrier
	s_cbranch_scc1 .LBB179_44
; %bb.20:
	v_and_b32_e32 v2, 3, v0
	v_lshlrev_b32_e32 v2, 2, v2
	s_sub_i32 s20, s17, s16
	v_mov_b32_e32 v3, 1
	s_mov_b32 s21, s20
	v_mov_b32_e32 v9, v2
	s_mov_b32 s22, s16
	s_branch .LBB179_22
.LBB179_21:                             ;   in Loop: Header=BB179_22 Depth=1
	s_or_b64 exec, exec, s[14:15]
	s_add_i32 s22, s22, 8
	s_add_i32 s21, s21, -8
	s_cmp_lt_u32 s22, s17
	v_add_u32_e32 v9, 0x1000, v9
	s_cbranch_scc0 .LBB179_24
.LBB179_22:                             ; =>This Inner Loop Header: Depth=1
	s_and_saveexec_b64 s[14:15], s[8:9]
	s_cbranch_execz .LBB179_21
; %bb.23:                               ;   in Loop: Header=BB179_22 Depth=1
	s_min_u32 s23, s21, 8
	s_waitcnt vmcnt(0)
	v_lshrrev_b32_e32 v10, s22, v8
	v_bfe_u32 v10, v10, 0, s23
	v_lshl_add_u32 v10, v10, 4, v9
	ds_add_u32 v10, v3
	s_branch .LBB179_21
.LBB179_24:
	v_mov_b32_e32 v3, 1
	s_mov_b32 s14, s20
	s_waitcnt vmcnt(0)
	v_mov_b32_e32 v8, v2
	s_mov_b32 s15, s16
	s_branch .LBB179_26
.LBB179_25:                             ;   in Loop: Header=BB179_26 Depth=1
	s_or_b64 exec, exec, s[8:9]
	s_add_i32 s15, s15, 8
	s_add_i32 s14, s14, -8
	s_cmp_lt_u32 s15, s17
	v_add_u32_e32 v8, 0x1000, v8
	s_cbranch_scc0 .LBB179_28
.LBB179_26:                             ; =>This Inner Loop Header: Depth=1
	s_and_saveexec_b64 s[8:9], s[6:7]
	s_cbranch_execz .LBB179_25
; %bb.27:                               ;   in Loop: Header=BB179_26 Depth=1
	s_min_u32 s21, s14, 8
	v_lshrrev_b32_e32 v9, s15, v6
	v_bfe_u32 v9, v9, 0, s21
	v_lshl_add_u32 v9, v9, 4, v8
	ds_add_u32 v9, v3
	s_branch .LBB179_25
.LBB179_28:
	v_mov_b32_e32 v3, 1
	s_mov_b32 s8, s20
	v_mov_b32_e32 v6, v2
	s_mov_b32 s9, s16
	s_branch .LBB179_30
.LBB179_29:                             ;   in Loop: Header=BB179_30 Depth=1
	s_or_b64 exec, exec, s[6:7]
	s_add_i32 s9, s9, 8
	s_add_i32 s8, s8, -8
	s_cmp_lt_u32 s9, s17
	v_add_u32_e32 v6, 0x1000, v6
	s_cbranch_scc0 .LBB179_32
.LBB179_30:                             ; =>This Inner Loop Header: Depth=1
	s_and_saveexec_b64 s[6:7], s[4:5]
	s_cbranch_execz .LBB179_29
; %bb.31:                               ;   in Loop: Header=BB179_30 Depth=1
	s_min_u32 s14, s8, 8
	v_lshrrev_b32_e32 v8, s9, v7
	v_bfe_u32 v8, v8, 0, s14
	v_lshl_add_u32 v8, v8, 4, v6
	ds_add_u32 v8, v3
	s_branch .LBB179_29
.LBB179_32:
	v_mov_b32_e32 v3, 1
	s_mov_b32 s6, s20
	;; [unrolled: 23-line block ×4, first 2 shown]
	s_branch .LBB179_42
.LBB179_41:                             ;   in Loop: Header=BB179_42 Depth=1
	s_or_b64 exec, exec, s[0:1]
	s_add_i32 s2, s2, 8
	s_add_i32 s20, s20, -8
	s_cmp_lt_u32 s2, s17
	v_add_u32_e32 v2, 0x1000, v2
	s_cbranch_scc0 .LBB179_44
.LBB179_42:                             ; =>This Inner Loop Header: Depth=1
	s_and_saveexec_b64 s[0:1], vcc
	s_cbranch_execz .LBB179_41
; %bb.43:                               ;   in Loop: Header=BB179_42 Depth=1
	s_min_u32 s3, s20, 8
	v_lshrrev_b32_e32 v4, s2, v1
	v_bfe_u32 v4, v4, 0, s3
	v_lshl_add_u32 v4, v4, 4, v2
	ds_add_u32 v4, v3
	s_branch .LBB179_41
.LBB179_44:
	s_and_b64 vcc, exec, s[12:13]
	s_waitcnt lgkmcnt(0)
	s_barrier
	s_cbranch_vccz .LBB179_49
; %bb.45:
	s_movk_i32 s0, 0x100
	v_cmp_gt_u32_e32 vcc, s0, v0
	s_waitcnt vmcnt(0)
	v_lshlrev_b32_e32 v1, 4, v0
	v_mov_b32_e32 v3, 0
	v_mov_b32_e32 v2, v0
	s_mov_b32 s4, s16
	s_branch .LBB179_47
.LBB179_46:                             ;   in Loop: Header=BB179_47 Depth=1
	s_or_b64 exec, exec, s[2:3]
	s_add_i32 s4, s4, 8
	v_add_u32_e32 v2, 0x100, v2
	s_cmp_lt_u32 s4, s17
	v_add_u32_e32 v1, 0x1000, v1
	s_cbranch_scc0 .LBB179_49
.LBB179_47:                             ; =>This Inner Loop Header: Depth=1
	s_and_saveexec_b64 s[2:3], vcc
	s_cbranch_execz .LBB179_46
; %bb.48:                               ;   in Loop: Header=BB179_47 Depth=1
	ds_read2_b32 v[4:5], v1 offset1:1
	ds_read2_b32 v[6:7], v1 offset0:2 offset1:3
	v_lshlrev_b64 v[8:9], 3, v[2:3]
	v_mov_b32_e32 v10, s11
	s_waitcnt lgkmcnt(1)
	v_add_u32_e32 v4, v5, v4
	s_waitcnt lgkmcnt(0)
	v_add3_u32 v4, v4, v6, v7
	v_add_co_u32_e64 v6, s[0:1], s10, v8
	v_addc_co_u32_e64 v7, s[0:1], v10, v9, s[0:1]
	v_mov_b32_e32 v5, v3
	global_atomic_add_x2 v[6:7], v[4:5], off
	s_branch .LBB179_46
.LBB179_49:
	s_mov_b64 s[0:1], 0
.LBB179_50:
	s_and_b64 vcc, exec, s[0:1]
	s_cbranch_vccz .LBB179_86
; %bb.51:
	global_load_ubyte v9, v0, s[18:19]
	global_load_ubyte v8, v0, s[18:19] offset:512
	global_load_ubyte v7, v0, s[18:19] offset:1024
	;; [unrolled: 1-line block ×5, first 2 shown]
	s_cmp_eq_u32 s16, 0
	s_cselect_b64 s[0:1], -1, 0
	s_cmp_eq_u32 s17, 8
	s_cselect_b64 s[2:3], -1, 0
	s_and_b64 s[2:3], s[0:1], s[2:3]
	s_mov_b32 s6, 0
	v_mov_b32_e32 v2, 0
	s_mov_b64 s[0:1], -1
	s_and_b64 vcc, exec, s[2:3]
	s_waitcnt vmcnt(6)
	v_lshlrev_b32_e32 v1, 2, v0
	s_cbranch_vccnz .LBB179_77
; %bb.52:
	v_lshlrev_b32_e32 v3, 2, v0
	s_mov_b64 s[0:1], 0
	s_branch .LBB179_54
.LBB179_53:                             ;   in Loop: Header=BB179_54 Depth=1
	s_or_b64 exec, exec, s[4:5]
	s_add_i32 s6, s6, 2
	v_cmp_eq_u32_e64 s[2:3], 2, s6
	s_or_b64 s[0:1], s[2:3], s[0:1]
	v_add_u32_e32 v3, 0x1000, v3
	s_andn2_b64 exec, exec, s[0:1]
	s_cbranch_execz .LBB179_58
.LBB179_54:                             ; =>This Inner Loop Header: Depth=1
	s_or_b32 s2, s6, 1
	v_cmp_le_u32_e64 s[2:3], s2, 1
	v_cmp_le_u32_e64 s[8:9], s6, 1
	s_and_saveexec_b64 s[4:5], s[8:9]
	s_cbranch_execz .LBB179_56
; %bb.55:                               ;   in Loop: Header=BB179_54 Depth=1
	ds_write_b32 v3, v2
.LBB179_56:                             ;   in Loop: Header=BB179_54 Depth=1
	s_or_b64 exec, exec, s[4:5]
	s_and_saveexec_b64 s[4:5], s[2:3]
	s_cbranch_execz .LBB179_53
; %bb.57:                               ;   in Loop: Header=BB179_54 Depth=1
	ds_write_b32 v3, v2 offset:2048
	s_branch .LBB179_53
.LBB179_58:
	s_or_b64 exec, exec, s[0:1]
	s_cmp_gt_u32 s17, s16
	s_cselect_b64 s[0:1], -1, 0
	s_cmp_le_u32 s17, s16
	s_waitcnt lgkmcnt(0)
	s_barrier
	s_cbranch_scc1 .LBB179_71
; %bb.59:
	v_and_b32_e32 v2, 3, v0
	v_lshlrev_b32_e32 v2, 2, v2
	s_sub_i32 s2, s17, s16
	v_mov_b32_e32 v3, 1
	s_mov_b32 s3, s2
	v_mov_b32_e32 v10, v2
	s_mov_b32 s4, s16
.LBB179_60:                             ; =>This Inner Loop Header: Depth=1
	s_min_u32 s5, s3, 8
	s_waitcnt vmcnt(5)
	v_lshrrev_b32_sdwa v11, s4, v9 dst_sel:DWORD dst_unused:UNUSED_PAD src0_sel:DWORD src1_sel:BYTE_0
	v_bfe_u32 v11, v11, 0, s5
	v_lshl_add_u32 v11, v11, 4, v10
	ds_add_u32 v11, v3
	s_add_i32 s4, s4, 8
	s_add_i32 s3, s3, -8
	s_cmp_ge_u32 s4, s17
	v_add_u32_e32 v10, 0x1000, v10
	s_cbranch_scc0 .LBB179_60
; %bb.61:
	v_mov_b32_e32 v3, 1
	s_mov_b32 s3, s2
	v_mov_b32_e32 v10, v2
	s_mov_b32 s4, s16
.LBB179_62:                             ; =>This Inner Loop Header: Depth=1
	s_min_u32 s5, s3, 8
	s_waitcnt vmcnt(4)
	v_lshrrev_b32_sdwa v11, s4, v8 dst_sel:DWORD dst_unused:UNUSED_PAD src0_sel:DWORD src1_sel:BYTE_0
	v_bfe_u32 v11, v11, 0, s5
	v_lshl_add_u32 v11, v11, 4, v10
	ds_add_u32 v11, v3
	s_add_i32 s4, s4, 8
	s_add_i32 s3, s3, -8
	s_cmp_lt_u32 s4, s17
	v_add_u32_e32 v10, 0x1000, v10
	s_cbranch_scc1 .LBB179_62
; %bb.63:
	v_mov_b32_e32 v3, 1
	s_mov_b32 s3, s2
	v_mov_b32_e32 v10, v2
	s_mov_b32 s4, s16
.LBB179_64:                             ; =>This Inner Loop Header: Depth=1
	s_min_u32 s5, s3, 8
	s_waitcnt vmcnt(3)
	v_lshrrev_b32_sdwa v11, s4, v7 dst_sel:DWORD dst_unused:UNUSED_PAD src0_sel:DWORD src1_sel:BYTE_0
	v_bfe_u32 v11, v11, 0, s5
	v_lshl_add_u32 v11, v11, 4, v10
	ds_add_u32 v11, v3
	s_add_i32 s4, s4, 8
	s_add_i32 s3, s3, -8
	s_cmp_lt_u32 s4, s17
	v_add_u32_e32 v10, 0x1000, v10
	s_cbranch_scc1 .LBB179_64
	;; [unrolled: 17-line block ×4, first 2 shown]
; %bb.69:
	v_mov_b32_e32 v3, 1
	s_mov_b32 s3, s16
.LBB179_70:                             ; =>This Inner Loop Header: Depth=1
	s_min_u32 s4, s2, 8
	s_waitcnt vmcnt(0)
	v_lshrrev_b32_sdwa v10, s3, v4 dst_sel:DWORD dst_unused:UNUSED_PAD src0_sel:DWORD src1_sel:BYTE_0
	v_bfe_u32 v10, v10, 0, s4
	v_lshl_add_u32 v10, v10, 4, v2
	ds_add_u32 v10, v3
	s_add_i32 s3, s3, 8
	s_add_i32 s2, s2, -8
	s_cmp_lt_u32 s3, s17
	v_add_u32_e32 v2, 0x1000, v2
	s_cbranch_scc1 .LBB179_70
.LBB179_71:
	s_and_b64 vcc, exec, s[0:1]
	s_waitcnt lgkmcnt(0)
	s_barrier
	s_cbranch_vccz .LBB179_76
; %bb.72:
	s_movk_i32 s0, 0x100
	v_cmp_gt_u32_e32 vcc, s0, v0
	v_lshlrev_b32_e32 v10, 4, v0
	v_mov_b32_e32 v3, 0
	v_mov_b32_e32 v2, v0
	s_branch .LBB179_74
.LBB179_73:                             ;   in Loop: Header=BB179_74 Depth=1
	s_or_b64 exec, exec, s[2:3]
	s_add_i32 s16, s16, 8
	v_add_u32_e32 v2, 0x100, v2
	s_cmp_ge_u32 s16, s17
	v_add_u32_e32 v10, 0x1000, v10
	s_cbranch_scc1 .LBB179_76
.LBB179_74:                             ; =>This Inner Loop Header: Depth=1
	s_and_saveexec_b64 s[2:3], vcc
	s_cbranch_execz .LBB179_73
; %bb.75:                               ;   in Loop: Header=BB179_74 Depth=1
	ds_read2_b32 v[12:13], v10 offset1:1
	ds_read2_b32 v[14:15], v10 offset0:2 offset1:3
	v_lshlrev_b64 v[16:17], 3, v[2:3]
	v_mov_b32_e32 v11, s11
	s_waitcnt lgkmcnt(1)
	v_add_u32_e32 v12, v13, v12
	s_waitcnt lgkmcnt(0)
	v_add3_u32 v12, v12, v14, v15
	v_add_co_u32_e64 v14, s[0:1], s10, v16
	v_addc_co_u32_e64 v15, s[0:1], v11, v17, s[0:1]
	v_mov_b32_e32 v13, v3
	global_atomic_add_x2 v[14:15], v[12:13], off
	s_branch .LBB179_73
.LBB179_76:
	s_mov_b64 s[0:1], 0
.LBB179_77:
	s_and_b64 vcc, exec, s[0:1]
	s_cbranch_vccz .LBB179_86
; %bb.78:
	s_mov_b32 s6, 0
	s_mov_b64 s[0:1], 0
	v_mov_b32_e32 v2, 0
	v_mov_b32_e32 v3, v1
	s_branch .LBB179_80
.LBB179_79:                             ;   in Loop: Header=BB179_80 Depth=1
	s_or_b64 exec, exec, s[4:5]
	s_add_i32 s6, s6, 2
	v_cmp_eq_u32_e64 s[2:3], 2, s6
	s_or_b64 s[0:1], s[2:3], s[0:1]
	v_add_u32_e32 v3, 0x1000, v3
	s_andn2_b64 exec, exec, s[0:1]
	s_cbranch_execz .LBB179_84
.LBB179_80:                             ; =>This Inner Loop Header: Depth=1
	s_or_b32 s2, s6, 1
	v_cmp_le_u32_e64 s[2:3], s2, 1
	v_cmp_le_u32_e64 s[8:9], s6, 1
	s_and_saveexec_b64 s[4:5], s[8:9]
	s_cbranch_execz .LBB179_82
; %bb.81:                               ;   in Loop: Header=BB179_80 Depth=1
	ds_write_b32 v3, v2
.LBB179_82:                             ;   in Loop: Header=BB179_80 Depth=1
	s_or_b64 exec, exec, s[4:5]
	s_and_saveexec_b64 s[4:5], s[2:3]
	s_cbranch_execz .LBB179_79
; %bb.83:                               ;   in Loop: Header=BB179_80 Depth=1
	ds_write_b32 v3, v2 offset:2048
	s_branch .LBB179_79
.LBB179_84:
	s_or_b64 exec, exec, s[0:1]
	v_and_b32_e32 v2, 3, v0
	s_waitcnt vmcnt(5)
	v_lshlrev_b16_e32 v3, 2, v9
	s_movk_i32 s0, 0xfc
	v_and_or_b32 v3, v3, s0, v2
	v_lshlrev_b32_e32 v3, 2, v3
	v_mov_b32_e32 v9, 1
	s_waitcnt lgkmcnt(0)
	s_barrier
	ds_add_u32 v3, v9
	s_waitcnt vmcnt(4)
	v_lshlrev_b16_e32 v3, 2, v8
	v_and_or_b32 v3, v3, s0, v2
	v_lshlrev_b32_e32 v3, 2, v3
	ds_add_u32 v3, v9
	s_waitcnt vmcnt(3)
	v_lshlrev_b16_e32 v3, 2, v7
	v_and_or_b32 v3, v3, s0, v2
	v_lshlrev_b32_e32 v3, 2, v3
	;; [unrolled: 5-line block ×5, first 2 shown]
	ds_add_u32 v2, v9
	s_movk_i32 s0, 0x100
	v_cmp_gt_u32_e32 vcc, s0, v0
	s_waitcnt lgkmcnt(0)
	s_barrier
	s_and_saveexec_b64 s[0:1], vcc
	s_cbranch_execz .LBB179_86
; %bb.85:
	v_lshlrev_b32_e32 v1, 2, v1
	ds_read2_b32 v[2:3], v1 offset1:1
	ds_read2_b32 v[4:5], v1 offset0:2 offset1:3
	v_lshlrev_b32_e32 v6, 3, v0
	v_mov_b32_e32 v1, 0
	s_waitcnt lgkmcnt(1)
	v_add_u32_e32 v0, v3, v2
	s_waitcnt lgkmcnt(0)
	v_add3_u32 v0, v0, v4, v5
	global_atomic_add_x2 v6, v[0:1], s[10:11]
.LBB179_86:
	s_endpgm
	.section	.rodata,"a",@progbits
	.p2align	6, 0x0
	.amdhsa_kernel _ZN7rocprim17ROCPRIM_304000_NS6detail26onesweep_histograms_kernelINS1_34wrapped_radix_sort_onesweep_configINS0_14default_configEbN2at4cuda3cub6detail10OpaqueTypeILi8EEEEELb0EPKbmNS0_19identity_decomposerEEEvT1_PT2_SG_SG_T3_jj
		.amdhsa_group_segment_fixed_size 4096
		.amdhsa_private_segment_fixed_size 0
		.amdhsa_kernarg_size 44
		.amdhsa_user_sgpr_count 6
		.amdhsa_user_sgpr_private_segment_buffer 1
		.amdhsa_user_sgpr_dispatch_ptr 0
		.amdhsa_user_sgpr_queue_ptr 0
		.amdhsa_user_sgpr_kernarg_segment_ptr 1
		.amdhsa_user_sgpr_dispatch_id 0
		.amdhsa_user_sgpr_flat_scratch_init 0
		.amdhsa_user_sgpr_kernarg_preload_length 0
		.amdhsa_user_sgpr_kernarg_preload_offset 0
		.amdhsa_user_sgpr_private_segment_size 0
		.amdhsa_uses_dynamic_stack 0
		.amdhsa_system_sgpr_private_segment_wavefront_offset 0
		.amdhsa_system_sgpr_workgroup_id_x 1
		.amdhsa_system_sgpr_workgroup_id_y 0
		.amdhsa_system_sgpr_workgroup_id_z 0
		.amdhsa_system_sgpr_workgroup_info 0
		.amdhsa_system_vgpr_workitem_id 0
		.amdhsa_next_free_vgpr 18
		.amdhsa_next_free_sgpr 26
		.amdhsa_accum_offset 20
		.amdhsa_reserve_vcc 1
		.amdhsa_reserve_flat_scratch 0
		.amdhsa_float_round_mode_32 0
		.amdhsa_float_round_mode_16_64 0
		.amdhsa_float_denorm_mode_32 3
		.amdhsa_float_denorm_mode_16_64 3
		.amdhsa_dx10_clamp 1
		.amdhsa_ieee_mode 1
		.amdhsa_fp16_overflow 0
		.amdhsa_tg_split 0
		.amdhsa_exception_fp_ieee_invalid_op 0
		.amdhsa_exception_fp_denorm_src 0
		.amdhsa_exception_fp_ieee_div_zero 0
		.amdhsa_exception_fp_ieee_overflow 0
		.amdhsa_exception_fp_ieee_underflow 0
		.amdhsa_exception_fp_ieee_inexact 0
		.amdhsa_exception_int_div_zero 0
	.end_amdhsa_kernel
	.section	.text._ZN7rocprim17ROCPRIM_304000_NS6detail26onesweep_histograms_kernelINS1_34wrapped_radix_sort_onesweep_configINS0_14default_configEbN2at4cuda3cub6detail10OpaqueTypeILi8EEEEELb0EPKbmNS0_19identity_decomposerEEEvT1_PT2_SG_SG_T3_jj,"axG",@progbits,_ZN7rocprim17ROCPRIM_304000_NS6detail26onesweep_histograms_kernelINS1_34wrapped_radix_sort_onesweep_configINS0_14default_configEbN2at4cuda3cub6detail10OpaqueTypeILi8EEEEELb0EPKbmNS0_19identity_decomposerEEEvT1_PT2_SG_SG_T3_jj,comdat
.Lfunc_end179:
	.size	_ZN7rocprim17ROCPRIM_304000_NS6detail26onesweep_histograms_kernelINS1_34wrapped_radix_sort_onesweep_configINS0_14default_configEbN2at4cuda3cub6detail10OpaqueTypeILi8EEEEELb0EPKbmNS0_19identity_decomposerEEEvT1_PT2_SG_SG_T3_jj, .Lfunc_end179-_ZN7rocprim17ROCPRIM_304000_NS6detail26onesweep_histograms_kernelINS1_34wrapped_radix_sort_onesweep_configINS0_14default_configEbN2at4cuda3cub6detail10OpaqueTypeILi8EEEEELb0EPKbmNS0_19identity_decomposerEEEvT1_PT2_SG_SG_T3_jj
                                        ; -- End function
	.section	.AMDGPU.csdata,"",@progbits
; Kernel info:
; codeLenInByte = 2484
; NumSgprs: 30
; NumVgprs: 18
; NumAgprs: 0
; TotalNumVgprs: 18
; ScratchSize: 0
; MemoryBound: 0
; FloatMode: 240
; IeeeMode: 1
; LDSByteSize: 4096 bytes/workgroup (compile time only)
; SGPRBlocks: 3
; VGPRBlocks: 2
; NumSGPRsForWavesPerEU: 30
; NumVGPRsForWavesPerEU: 18
; AccumOffset: 20
; Occupancy: 8
; WaveLimiterHint : 1
; COMPUTE_PGM_RSRC2:SCRATCH_EN: 0
; COMPUTE_PGM_RSRC2:USER_SGPR: 6
; COMPUTE_PGM_RSRC2:TRAP_HANDLER: 0
; COMPUTE_PGM_RSRC2:TGID_X_EN: 1
; COMPUTE_PGM_RSRC2:TGID_Y_EN: 0
; COMPUTE_PGM_RSRC2:TGID_Z_EN: 0
; COMPUTE_PGM_RSRC2:TIDIG_COMP_CNT: 0
; COMPUTE_PGM_RSRC3_GFX90A:ACCUM_OFFSET: 4
; COMPUTE_PGM_RSRC3_GFX90A:TG_SPLIT: 0
	.section	.text._ZN7rocprim17ROCPRIM_304000_NS6detail25onesweep_iteration_kernelINS1_34wrapped_radix_sort_onesweep_configINS0_14default_configEbN2at4cuda3cub6detail10OpaqueTypeILi8EEEEELb0EPKbPbPKSA_PSA_mNS0_19identity_decomposerEEEvT1_T2_T3_T4_jPT5_SO_PNS1_23onesweep_lookback_stateET6_jjj,"axG",@progbits,_ZN7rocprim17ROCPRIM_304000_NS6detail25onesweep_iteration_kernelINS1_34wrapped_radix_sort_onesweep_configINS0_14default_configEbN2at4cuda3cub6detail10OpaqueTypeILi8EEEEELb0EPKbPbPKSA_PSA_mNS0_19identity_decomposerEEEvT1_T2_T3_T4_jPT5_SO_PNS1_23onesweep_lookback_stateET6_jjj,comdat
	.protected	_ZN7rocprim17ROCPRIM_304000_NS6detail25onesweep_iteration_kernelINS1_34wrapped_radix_sort_onesweep_configINS0_14default_configEbN2at4cuda3cub6detail10OpaqueTypeILi8EEEEELb0EPKbPbPKSA_PSA_mNS0_19identity_decomposerEEEvT1_T2_T3_T4_jPT5_SO_PNS1_23onesweep_lookback_stateET6_jjj ; -- Begin function _ZN7rocprim17ROCPRIM_304000_NS6detail25onesweep_iteration_kernelINS1_34wrapped_radix_sort_onesweep_configINS0_14default_configEbN2at4cuda3cub6detail10OpaqueTypeILi8EEEEELb0EPKbPbPKSA_PSA_mNS0_19identity_decomposerEEEvT1_T2_T3_T4_jPT5_SO_PNS1_23onesweep_lookback_stateET6_jjj
	.globl	_ZN7rocprim17ROCPRIM_304000_NS6detail25onesweep_iteration_kernelINS1_34wrapped_radix_sort_onesweep_configINS0_14default_configEbN2at4cuda3cub6detail10OpaqueTypeILi8EEEEELb0EPKbPbPKSA_PSA_mNS0_19identity_decomposerEEEvT1_T2_T3_T4_jPT5_SO_PNS1_23onesweep_lookback_stateET6_jjj
	.p2align	8
	.type	_ZN7rocprim17ROCPRIM_304000_NS6detail25onesweep_iteration_kernelINS1_34wrapped_radix_sort_onesweep_configINS0_14default_configEbN2at4cuda3cub6detail10OpaqueTypeILi8EEEEELb0EPKbPbPKSA_PSA_mNS0_19identity_decomposerEEEvT1_T2_T3_T4_jPT5_SO_PNS1_23onesweep_lookback_stateET6_jjj,@function
_ZN7rocprim17ROCPRIM_304000_NS6detail25onesweep_iteration_kernelINS1_34wrapped_radix_sort_onesweep_configINS0_14default_configEbN2at4cuda3cub6detail10OpaqueTypeILi8EEEEELb0EPKbPbPKSA_PSA_mNS0_19identity_decomposerEEEvT1_T2_T3_T4_jPT5_SO_PNS1_23onesweep_lookback_stateET6_jjj: ; @_ZN7rocprim17ROCPRIM_304000_NS6detail25onesweep_iteration_kernelINS1_34wrapped_radix_sort_onesweep_configINS0_14default_configEbN2at4cuda3cub6detail10OpaqueTypeILi8EEEEELb0EPKbPbPKSA_PSA_mNS0_19identity_decomposerEEEvT1_T2_T3_T4_jPT5_SO_PNS1_23onesweep_lookback_stateET6_jjj
; %bb.0:
	s_load_dwordx4 s[48:51], s[4:5], 0x44
	s_load_dwordx8 s[36:43], s[4:5], 0x0
	s_load_dwordx4 s[44:47], s[4:5], 0x28
	s_load_dwordx2 s[34:35], s[4:5], 0x38
	s_mul_i32 s30, s6, 0xc00
	s_waitcnt lgkmcnt(0)
	s_cmp_ge_u32 s6, s50
	v_mbcnt_lo_u32_b32 v1, -1, 0
	s_cbranch_scc0 .LBB180_86
; %bb.1:
	s_load_dword s0, s[4:5], 0x20
	s_mulk_i32 s50, 0xf400
	v_and_b32_e32 v2, 0x3ff, v0
	v_mbcnt_hi_u32_b32 v6, -1, v1
	v_and_b32_e32 v15, 0x1c0, v2
	s_waitcnt lgkmcnt(0)
	s_add_i32 s50, s50, s0
	s_add_u32 s0, s36, s30
	s_addc_u32 s1, s37, 0
	v_mov_b32_e32 v3, s1
	v_add_co_u32_e32 v5, vcc, s0, v6
	v_mul_u32_u24_e32 v4, 6, v15
	v_addc_co_u32_e32 v3, vcc, 0, v3, vcc
	v_add_co_u32_e32 v8, vcc, v5, v4
	v_addc_co_u32_e32 v9, vcc, 0, v3, vcc
	v_or_b32_e32 v10, v6, v4
	s_mov_b32 s31, 0
	v_cmp_gt_u32_e32 vcc, s50, v10
	v_mov_b32_e32 v3, 1
	v_mov_b32_e32 v5, 1
	s_and_saveexec_b64 s[0:1], vcc
	s_cbranch_execz .LBB180_3
; %bb.2:
	global_load_ubyte v5, v[8:9], off
.LBB180_3:
	s_or_b64 exec, exec, s[0:1]
	v_add_u32_e32 v7, 64, v10
	v_cmp_gt_u32_e64 s[0:1], s50, v7
	s_and_saveexec_b64 s[2:3], s[0:1]
	s_cbranch_execz .LBB180_5
; %bb.4:
	global_load_ubyte v3, v[8:9], off offset:64
.LBB180_5:
	s_or_b64 exec, exec, s[2:3]
	v_add_u32_e32 v7, 0x80, v10
	v_cmp_gt_u32_e64 s[2:3], s50, v7
	v_mov_b32_e32 v7, 1
	v_mov_b32_e32 v12, 1
	s_and_saveexec_b64 s[8:9], s[2:3]
	s_cbranch_execz .LBB180_7
; %bb.6:
	global_load_ubyte v12, v[8:9], off offset:128
.LBB180_7:
	s_or_b64 exec, exec, s[8:9]
	v_add_u32_e32 v11, 0xc0, v10
	v_cmp_gt_u32_e64 s[26:27], s50, v11
	s_and_saveexec_b64 s[8:9], s[26:27]
	s_cbranch_execz .LBB180_9
; %bb.8:
	global_load_ubyte v7, v[8:9], off offset:192
.LBB180_9:
	s_or_b64 exec, exec, s[8:9]
	v_add_u32_e32 v11, 0x100, v10
	v_cmp_gt_u32_e64 s[8:9], s50, v11
	v_mov_b32_e32 v13, 1
	v_mov_b32_e32 v14, 1
	s_and_saveexec_b64 s[10:11], s[8:9]
	s_cbranch_execz .LBB180_11
; %bb.10:
	global_load_ubyte v14, v[8:9], off offset:256
.LBB180_11:
	s_or_b64 exec, exec, s[10:11]
	v_add_u32_e32 v10, 0x140, v10
	v_cmp_gt_u32_e64 s[10:11], s50, v10
	s_and_saveexec_b64 s[12:13], s[10:11]
	s_cbranch_execz .LBB180_13
; %bb.12:
	global_load_ubyte v13, v[8:9], off offset:320
.LBB180_13:
	s_or_b64 exec, exec, s[12:13]
	s_load_dword s12, s[4:5], 0x5c
	s_load_dword s7, s[4:5], 0x50
	s_add_u32 s13, s4, 0x50
	s_addc_u32 s14, s5, 0
	v_mov_b32_e32 v8, 0
	s_waitcnt lgkmcnt(0)
	s_lshr_b32 s15, s12, 16
	s_cmp_lt_u32 s6, s7
	s_cselect_b32 s12, 12, 18
	s_add_u32 s12, s13, s12
	s_addc_u32 s13, s14, 0
	global_load_ushort v10, v8, s[12:13]
	v_mul_u32_u24_e32 v16, 5, v2
	s_lshl_b32 s12, -1, s49
	s_waitcnt vmcnt(1)
	v_lshrrev_b32_sdwa v18, s48, v5 dst_sel:DWORD dst_unused:UNUSED_PAD src0_sel:DWORD src1_sel:BYTE_0
	v_lshlrev_b32_e32 v17, 2, v16
	s_not_b32 s33, s12
	v_bfe_u32 v9, v0, 10, 10
	v_bfe_u32 v11, v0, 20, 10
	ds_write2_b32 v17, v8, v8 offset0:8 offset1:9
	ds_write2_b32 v17, v8, v8 offset0:10 offset1:11
	ds_write_b32 v17, v8 offset:48
	v_and_b32_e32 v8, s33, v18
	v_mad_u32_u24 v11, v11, s15, v9
	v_mul_u32_u24_e32 v18, 9, v8
	v_cmp_ne_u32_e64 s[12:13], 0, v8
	v_add_co_u32_e64 v8, s[14:15], -1, v8
	v_addc_co_u32_e64 v9, s[14:15], 0, -1, s[14:15]
	v_xor_b32_e32 v8, s12, v8
	v_xor_b32_e32 v9, s13, v9
	v_and_b32_e32 v8, exec_lo, v8
	v_and_b32_e32 v9, exec_hi, v9
	v_mbcnt_lo_u32_b32 v16, v8, 0
	v_mbcnt_hi_u32_b32 v16, v9, v16
	v_cmp_ne_u64_e64 s[12:13], 0, v[8:9]
	v_cmp_eq_u32_e64 s[14:15], 0, v16
	s_and_b64 s[14:15], s[12:13], s[14:15]
	s_waitcnt lgkmcnt(0)
	s_barrier
	s_waitcnt lgkmcnt(0)
	; wave barrier
	s_waitcnt vmcnt(0)
	v_mad_u64_u32 v[10:11], s[16:17], v11, v10, v[2:3]
	v_lshrrev_b32_e32 v10, 6, v10
	v_add_lshl_u32 v20, v10, v18, 2
	s_and_saveexec_b64 s[12:13], s[14:15]
	s_cbranch_execz .LBB180_15
; %bb.14:
	v_bcnt_u32_b32 v8, v8, 0
	v_bcnt_u32_b32 v8, v9, v8
	ds_write_b32 v20, v8 offset:32
.LBB180_15:
	s_or_b64 exec, exec, s[12:13]
	v_lshrrev_b32_sdwa v8, s48, v3 dst_sel:DWORD dst_unused:UNUSED_PAD src0_sel:DWORD src1_sel:BYTE_0
	v_and_b32_e32 v8, s33, v8
	v_mul_u32_u24_e32 v9, 9, v8
	v_cmp_ne_u32_e64 s[12:13], 0, v8
	v_add_co_u32_e64 v8, s[14:15], -1, v8
	v_add_lshl_u32 v22, v10, v9, 2
	v_addc_co_u32_e64 v9, s[14:15], 0, -1, s[14:15]
	v_xor_b32_e32 v8, s12, v8
	; wave barrier
	ds_read_b32 v18, v22 offset:32
	v_xor_b32_e32 v9, s13, v9
	v_and_b32_e32 v8, exec_lo, v8
	v_and_b32_e32 v9, exec_hi, v9
	v_mbcnt_lo_u32_b32 v11, v8, 0
	v_mbcnt_hi_u32_b32 v19, v9, v11
	v_cmp_eq_u32_e64 s[12:13], 0, v19
	v_cmp_ne_u64_e64 s[14:15], 0, v[8:9]
	s_and_b64 s[14:15], s[14:15], s[12:13]
	; wave barrier
	s_and_saveexec_b64 s[12:13], s[14:15]
	s_cbranch_execz .LBB180_17
; %bb.16:
	v_bcnt_u32_b32 v8, v8, 0
	v_bcnt_u32_b32 v8, v9, v8
	s_waitcnt lgkmcnt(0)
	v_add_u32_e32 v8, v18, v8
	ds_write_b32 v22, v8 offset:32
.LBB180_17:
	s_or_b64 exec, exec, s[12:13]
	v_lshrrev_b32_sdwa v8, s48, v12 dst_sel:DWORD dst_unused:UNUSED_PAD src0_sel:DWORD src1_sel:BYTE_0
	v_and_b32_e32 v8, s33, v8
	v_mul_u32_u24_e32 v9, 9, v8
	v_cmp_ne_u32_e64 s[12:13], 0, v8
	v_add_co_u32_e64 v8, s[14:15], -1, v8
	v_add_lshl_u32 v24, v10, v9, 2
	v_addc_co_u32_e64 v9, s[14:15], 0, -1, s[14:15]
	v_xor_b32_e32 v8, s12, v8
	; wave barrier
	ds_read_b32 v21, v24 offset:32
	v_xor_b32_e32 v9, s13, v9
	v_and_b32_e32 v8, exec_lo, v8
	v_and_b32_e32 v9, exec_hi, v9
	v_mbcnt_lo_u32_b32 v11, v8, 0
	v_mbcnt_hi_u32_b32 v23, v9, v11
	v_cmp_eq_u32_e64 s[12:13], 0, v23
	v_cmp_ne_u64_e64 s[14:15], 0, v[8:9]
	s_and_b64 s[14:15], s[14:15], s[12:13]
	; wave barrier
	s_and_saveexec_b64 s[12:13], s[14:15]
	s_cbranch_execz .LBB180_19
; %bb.18:
	v_bcnt_u32_b32 v8, v8, 0
	v_bcnt_u32_b32 v8, v9, v8
	s_waitcnt lgkmcnt(0)
	v_add_u32_e32 v8, v21, v8
	ds_write_b32 v24, v8 offset:32
.LBB180_19:
	;; [unrolled: 29-line block ×4, first 2 shown]
	s_or_b64 exec, exec, s[12:13]
	v_lshrrev_b32_sdwa v8, s48, v13 dst_sel:DWORD dst_unused:UNUSED_PAD src0_sel:DWORD src1_sel:BYTE_0
	v_and_b32_e32 v8, s33, v8
	v_mul_u32_u24_e32 v9, 9, v8
	v_cmp_ne_u32_e64 s[12:13], 0, v8
	v_add_co_u32_e64 v8, s[14:15], -1, v8
	v_add_lshl_u32 v33, v10, v9, 2
	v_addc_co_u32_e64 v9, s[14:15], 0, -1, s[14:15]
	v_xor_b32_e32 v8, s12, v8
	; wave barrier
	ds_read_b32 v31, v33 offset:32
	v_xor_b32_e32 v9, s13, v9
	v_and_b32_e32 v8, exec_lo, v8
	v_and_b32_e32 v9, exec_hi, v9
	v_mbcnt_lo_u32_b32 v10, v8, 0
	v_mbcnt_hi_u32_b32 v32, v9, v10
	v_cmp_eq_u32_e64 s[12:13], 0, v32
	v_cmp_ne_u64_e64 s[14:15], 0, v[8:9]
	v_add_u32_e32 v34, 32, v17
	s_and_b64 s[14:15], s[14:15], s[12:13]
	; wave barrier
	s_and_saveexec_b64 s[12:13], s[14:15]
	s_cbranch_execz .LBB180_25
; %bb.24:
	v_bcnt_u32_b32 v8, v8, 0
	v_bcnt_u32_b32 v8, v9, v8
	s_waitcnt lgkmcnt(0)
	v_add_u32_e32 v8, v31, v8
	ds_write_b32 v33, v8 offset:32
.LBB180_25:
	s_or_b64 exec, exec, s[12:13]
	; wave barrier
	s_waitcnt lgkmcnt(0)
	s_barrier
	ds_read2_b32 v[10:11], v17 offset0:8 offset1:9
	ds_read2_b32 v[8:9], v34 offset0:2 offset1:3
	ds_read_b32 v35, v34 offset:16
	v_min_u32_e32 v15, 0x1c0, v15
	v_or_b32_e32 v15, 63, v15
	s_waitcnt lgkmcnt(1)
	v_add3_u32 v36, v11, v10, v8
	s_waitcnt lgkmcnt(0)
	v_add3_u32 v35, v36, v9, v35
	v_and_b32_e32 v36, 15, v6
	v_cmp_ne_u32_e64 s[12:13], 0, v36
	v_mov_b32_dpp v37, v35 row_shr:1 row_mask:0xf bank_mask:0xf
	v_cndmask_b32_e64 v37, 0, v37, s[12:13]
	v_add_u32_e32 v35, v37, v35
	v_cmp_lt_u32_e64 s[12:13], 1, v36
	s_nop 0
	v_mov_b32_dpp v37, v35 row_shr:2 row_mask:0xf bank_mask:0xf
	v_cndmask_b32_e64 v37, 0, v37, s[12:13]
	v_add_u32_e32 v35, v35, v37
	v_cmp_lt_u32_e64 s[12:13], 3, v36
	s_nop 0
	;; [unrolled: 5-line block ×3, first 2 shown]
	v_mov_b32_dpp v37, v35 row_shr:8 row_mask:0xf bank_mask:0xf
	v_cndmask_b32_e64 v36, 0, v37, s[12:13]
	v_add_u32_e32 v35, v35, v36
	v_bfe_i32 v37, v6, 4, 1
	v_cmp_lt_u32_e64 s[12:13], 31, v6
	v_mov_b32_dpp v36, v35 row_bcast:15 row_mask:0xf bank_mask:0xf
	v_and_b32_e32 v36, v37, v36
	v_add_u32_e32 v35, v35, v36
	s_nop 1
	v_mov_b32_dpp v36, v35 row_bcast:31 row_mask:0xf bank_mask:0xf
	v_cndmask_b32_e64 v36, 0, v36, s[12:13]
	v_add_u32_e32 v35, v35, v36
	v_lshrrev_b32_e32 v36, 6, v2
	v_cmp_eq_u32_e64 s[12:13], v15, v2
	s_and_saveexec_b64 s[14:15], s[12:13]
	s_cbranch_execz .LBB180_27
; %bb.26:
	v_lshlrev_b32_e32 v15, 2, v36
	ds_write_b32 v15, v35
.LBB180_27:
	s_or_b64 exec, exec, s[14:15]
	v_cmp_gt_u32_e64 s[12:13], 8, v2
	s_waitcnt lgkmcnt(0)
	s_barrier
	s_and_saveexec_b64 s[14:15], s[12:13]
	s_cbranch_execz .LBB180_29
; %bb.28:
	v_lshlrev_b32_e32 v15, 2, v2
	ds_read_b32 v37, v15
	v_and_b32_e32 v38, 7, v6
	v_cmp_ne_u32_e64 s[12:13], 0, v38
	s_waitcnt lgkmcnt(0)
	v_mov_b32_dpp v39, v37 row_shr:1 row_mask:0xf bank_mask:0xf
	v_cndmask_b32_e64 v39, 0, v39, s[12:13]
	v_add_u32_e32 v37, v39, v37
	v_cmp_lt_u32_e64 s[12:13], 1, v38
	s_nop 0
	v_mov_b32_dpp v39, v37 row_shr:2 row_mask:0xf bank_mask:0xf
	v_cndmask_b32_e64 v39, 0, v39, s[12:13]
	v_add_u32_e32 v37, v37, v39
	v_cmp_lt_u32_e64 s[12:13], 3, v38
	s_nop 0
	v_mov_b32_dpp v39, v37 row_shr:4 row_mask:0xf bank_mask:0xf
	v_cndmask_b32_e64 v38, 0, v39, s[12:13]
	v_add_u32_e32 v37, v37, v38
	ds_write_b32 v15, v37
.LBB180_29:
	s_or_b64 exec, exec, s[14:15]
	v_cmp_lt_u32_e64 s[12:13], 63, v2
	v_mov_b32_e32 v15, 0
	s_waitcnt lgkmcnt(0)
	s_barrier
	s_and_saveexec_b64 s[14:15], s[12:13]
	s_cbranch_execz .LBB180_31
; %bb.30:
	v_lshl_add_u32 v15, v36, 2, -4
	ds_read_b32 v15, v15
.LBB180_31:
	s_or_b64 exec, exec, s[14:15]
	v_add_u32_e32 v36, -1, v6
	v_and_b32_e32 v37, 64, v6
	v_cmp_lt_i32_e64 s[12:13], v36, v37
	v_cndmask_b32_e64 v36, v36, v6, s[12:13]
	s_waitcnt lgkmcnt(0)
	v_add_u32_e32 v35, v15, v35
	v_lshlrev_b32_e32 v36, 2, v36
	ds_bpermute_b32 v35, v36, v35
	v_cmp_eq_u32_e64 s[12:13], 0, v6
	s_waitcnt lgkmcnt(0)
	v_cndmask_b32_e64 v15, v35, v15, s[12:13]
	v_cmp_ne_u32_e64 s[12:13], 0, v2
	v_cndmask_b32_e64 v15, 0, v15, s[12:13]
	v_add_u32_e32 v10, v15, v10
	v_add_u32_e32 v11, v10, v11
	v_add_u32_e32 v8, v11, v8
	v_add_u32_e32 v9, v8, v9
	ds_write2_b32 v17, v15, v10 offset0:8 offset1:9
	ds_write2_b32 v34, v11, v8 offset0:2 offset1:3
	ds_write_b32 v34, v9 offset:16
	s_waitcnt lgkmcnt(0)
	s_barrier
	ds_read_b32 v10, v20 offset:32
	ds_read_b32 v11, v22 offset:32
	;; [unrolled: 1-line block ×6, first 2 shown]
	s_movk_i32 s12, 0x100
	v_cmp_gt_u32_e64 s[12:13], s12, v2
	v_pk_mov_b32 v[8:9], 0, 0
                                        ; implicit-def: $vgpr20
	s_and_saveexec_b64 s[16:17], s[12:13]
	s_cbranch_execz .LBB180_35
; %bb.32:
	v_mul_u32_u24_e32 v8, 9, v2
	v_lshlrev_b32_e32 v20, 2, v8
	ds_read_b32 v8, v20 offset:32
	s_movk_i32 s14, 0xff
	v_cmp_ne_u32_e64 s[14:15], s14, v2
	v_mov_b32_e32 v9, 0xc00
	s_and_saveexec_b64 s[18:19], s[14:15]
	s_cbranch_execz .LBB180_34
; %bb.33:
	ds_read_b32 v9, v20 offset:68
.LBB180_34:
	s_or_b64 exec, exec, s[18:19]
	s_waitcnt lgkmcnt(0)
	v_sub_u32_e32 v20, v9, v8
	v_mov_b32_e32 v9, 0
.LBB180_35:
	s_or_b64 exec, exec, s[16:17]
	s_waitcnt lgkmcnt(5)
	v_add_u32_e32 v26, v10, v16
	s_waitcnt lgkmcnt(4)
	v_add3_u32 v25, v19, v18, v11
	s_waitcnt lgkmcnt(3)
	v_add3_u32 v24, v23, v21, v15
	;; [unrolled: 2-line block ×5, first 2 shown]
	s_barrier
	ds_write_b8 v26, v5 offset:2048
	ds_write_b8 v25, v3 offset:2048
	;; [unrolled: 1-line block ×6, first 2 shown]
	s_waitcnt lgkmcnt(0)
	s_barrier
	s_and_saveexec_b64 s[16:17], s[12:13]
	s_cbranch_execz .LBB180_45
; %bb.36:
	v_lshl_or_b32 v10, s6, 8, v2
	v_mov_b32_e32 v11, 0
	v_lshlrev_b64 v[12:13], 2, v[10:11]
	v_mov_b32_e32 v3, s35
	v_add_co_u32_e64 v12, s[14:15], s34, v12
	v_addc_co_u32_e64 v13, s[14:15], v3, v13, s[14:15]
	v_or_b32_e32 v5, 2.0, v20
	global_store_dword v[12:13], v5, off
	s_mov_b64 s[18:19], 0
	s_brev_b32 s24, 1
	s_mov_b32 s25, s6
	v_mov_b32_e32 v5, 0
                                        ; implicit-def: $sgpr14_sgpr15
	s_branch .LBB180_38
.LBB180_37:                             ;   in Loop: Header=BB180_38 Depth=1
	s_or_b64 exec, exec, s[20:21]
	v_and_b32_e32 v10, 0x3fffffff, v10
	v_add_u32_e32 v5, v10, v5
	v_cmp_eq_u32_e64 s[14:15], s24, v7
	s_and_b64 s[20:21], exec, s[14:15]
	s_or_b64 s[18:19], s[20:21], s[18:19]
	s_andn2_b64 exec, exec, s[18:19]
	s_cbranch_execz .LBB180_44
.LBB180_38:                             ; =>This Loop Header: Depth=1
                                        ;     Child Loop BB180_41 Depth 2
	s_or_b64 s[14:15], s[14:15], exec
	s_cmp_eq_u32 s25, 0
	s_cbranch_scc1 .LBB180_43
; %bb.39:                               ;   in Loop: Header=BB180_38 Depth=1
	s_add_i32 s25, s25, -1
	v_lshl_or_b32 v10, s25, 8, v2
	v_lshlrev_b64 v[14:15], 2, v[10:11]
	v_add_co_u32_e64 v14, s[14:15], s34, v14
	v_addc_co_u32_e64 v15, s[14:15], v3, v15, s[14:15]
	global_load_dword v10, v[14:15], off glc
	s_waitcnt vmcnt(0)
	v_and_b32_e32 v7, -2.0, v10
	v_cmp_eq_u32_e64 s[14:15], 0, v7
	s_and_saveexec_b64 s[20:21], s[14:15]
	s_cbranch_execz .LBB180_37
; %bb.40:                               ;   in Loop: Header=BB180_38 Depth=1
	s_mov_b64 s[22:23], 0
.LBB180_41:                             ;   Parent Loop BB180_38 Depth=1
                                        ; =>  This Inner Loop Header: Depth=2
	global_load_dword v10, v[14:15], off glc
	s_waitcnt vmcnt(0)
	v_and_b32_e32 v7, -2.0, v10
	v_cmp_ne_u32_e64 s[14:15], 0, v7
	s_or_b64 s[22:23], s[14:15], s[22:23]
	s_andn2_b64 exec, exec, s[22:23]
	s_cbranch_execnz .LBB180_41
; %bb.42:                               ;   in Loop: Header=BB180_38 Depth=1
	s_or_b64 exec, exec, s[22:23]
	s_branch .LBB180_37
.LBB180_43:                             ;   in Loop: Header=BB180_38 Depth=1
                                        ; implicit-def: $sgpr25
	s_and_b64 s[20:21], exec, s[14:15]
	s_or_b64 s[18:19], s[20:21], s[18:19]
	s_andn2_b64 exec, exec, s[18:19]
	s_cbranch_execnz .LBB180_38
.LBB180_44:
	s_or_b64 exec, exec, s[18:19]
	v_add_u32_e32 v3, v5, v20
	v_or_b32_e32 v3, 0x80000000, v3
	global_store_dword v[12:13], v3, off
	v_lshlrev_b32_e32 v3, 3, v2
	global_load_dwordx2 v[10:11], v3, s[44:45]
	v_sub_co_u32_e64 v5, s[14:15], v5, v8
	v_subb_co_u32_e64 v7, s[14:15], 0, v9, s[14:15]
	s_waitcnt vmcnt(0)
	v_add_co_u32_e64 v10, s[14:15], v5, v10
	v_addc_co_u32_e64 v11, s[14:15], v7, v11, s[14:15]
	ds_write_b64 v3, v[10:11]
.LBB180_45:
	s_or_b64 exec, exec, s[16:17]
	v_cmp_gt_u32_e64 s[14:15], s50, v2
	s_waitcnt lgkmcnt(0)
	s_barrier
	s_and_saveexec_b64 s[18:19], s[14:15]
	s_cbranch_execz .LBB180_47
; %bb.46:
	ds_read_u8 v3, v2 offset:2048
	s_waitcnt lgkmcnt(0)
	v_and_b32_e32 v5, 1, v3
	v_lshrrev_b32_e32 v5, s48, v5
	v_and_b32_e32 v5, s33, v5
	v_lshlrev_b32_e32 v5, 3, v5
	ds_read_b64 v[10:11], v5
	v_mov_b32_e32 v5, s39
	s_waitcnt lgkmcnt(0)
	v_add_co_u32_e64 v7, s[16:17], s38, v10
	v_addc_co_u32_e64 v5, s[16:17], v5, v11, s[16:17]
	v_add_co_u32_e64 v10, s[16:17], v7, v2
	v_addc_co_u32_e64 v11, s[16:17], 0, v5, s[16:17]
	global_store_byte v[10:11], v3, off
.LBB180_47:
	s_or_b64 exec, exec, s[18:19]
	v_add_u32_e32 v3, 0x200, v2
	v_cmp_gt_u32_e64 s[16:17], s50, v3
	s_and_saveexec_b64 s[20:21], s[16:17]
	s_cbranch_execz .LBB180_49
; %bb.48:
	ds_read_u8 v5, v2 offset:2560
	s_waitcnt lgkmcnt(0)
	v_and_b32_e32 v7, 1, v5
	v_lshrrev_b32_e32 v7, s48, v7
	v_and_b32_e32 v7, s33, v7
	v_lshlrev_b32_e32 v7, 3, v7
	ds_read_b64 v[10:11], v7
	v_mov_b32_e32 v7, s39
	s_waitcnt lgkmcnt(0)
	v_add_co_u32_e64 v10, s[18:19], s38, v10
	v_addc_co_u32_e64 v7, s[18:19], v7, v11, s[18:19]
	v_add_co_u32_e64 v10, s[18:19], v10, v2
	v_addc_co_u32_e64 v11, s[18:19], 0, v7, s[18:19]
	global_store_byte v[10:11], v5, off offset:512
.LBB180_49:
	s_or_b64 exec, exec, s[20:21]
	v_or_b32_e32 v27, 0x400, v2
	v_cmp_gt_u32_e64 s[18:19], s50, v27
	s_and_saveexec_b64 s[22:23], s[18:19]
	s_cbranch_execz .LBB180_51
; %bb.50:
	ds_read_u8 v5, v2 offset:3072
	s_waitcnt lgkmcnt(0)
	v_and_b32_e32 v7, 1, v5
	v_lshrrev_b32_e32 v7, s48, v7
	v_and_b32_e32 v7, s33, v7
	v_lshlrev_b32_e32 v7, 3, v7
	ds_read_b64 v[10:11], v7
	v_mov_b32_e32 v7, s39
	s_waitcnt lgkmcnt(0)
	v_add_co_u32_e64 v10, s[20:21], s38, v10
	v_addc_co_u32_e64 v7, s[20:21], v7, v11, s[20:21]
	v_add_co_u32_e64 v10, s[20:21], v10, v2
	v_addc_co_u32_e64 v11, s[20:21], 0, v7, s[20:21]
	global_store_byte v[10:11], v5, off offset:1024
.LBB180_51:
	s_or_b64 exec, exec, s[22:23]
	v_add_u32_e32 v28, 0x600, v2
	v_cmp_gt_u32_e64 s[20:21], s50, v28
	s_and_saveexec_b64 s[24:25], s[20:21]
	s_cbranch_execz .LBB180_53
; %bb.52:
	ds_read_u8 v5, v2 offset:3584
	s_waitcnt lgkmcnt(0)
	v_and_b32_e32 v7, 1, v5
	v_lshrrev_b32_e32 v7, s48, v7
	v_and_b32_e32 v7, s33, v7
	v_lshlrev_b32_e32 v7, 3, v7
	ds_read_b64 v[10:11], v7
	v_mov_b32_e32 v7, s39
	s_waitcnt lgkmcnt(0)
	v_add_co_u32_e64 v10, s[22:23], s38, v10
	v_addc_co_u32_e64 v7, s[22:23], v7, v11, s[22:23]
	v_add_co_u32_e64 v10, s[22:23], v10, v2
	v_addc_co_u32_e64 v11, s[22:23], 0, v7, s[22:23]
	global_store_byte v[10:11], v5, off offset:1536
.LBB180_53:
	s_or_b64 exec, exec, s[24:25]
	v_or_b32_e32 v29, 0x800, v2
	v_cmp_gt_u32_e64 s[22:23], s50, v29
	s_and_saveexec_b64 s[28:29], s[22:23]
	s_cbranch_execz .LBB180_55
; %bb.54:
	ds_read_u8 v5, v2 offset:4096
	s_waitcnt lgkmcnt(0)
	v_and_b32_e32 v7, 1, v5
	v_lshrrev_b32_e32 v7, s48, v7
	v_and_b32_e32 v7, s33, v7
	v_lshlrev_b32_e32 v7, 3, v7
	ds_read_b64 v[10:11], v7
	v_mov_b32_e32 v7, s39
	s_waitcnt lgkmcnt(0)
	v_add_co_u32_e64 v10, s[24:25], s38, v10
	v_addc_co_u32_e64 v7, s[24:25], v7, v11, s[24:25]
	v_add_co_u32_e64 v10, s[24:25], v10, v2
	v_addc_co_u32_e64 v11, s[24:25], 0, v7, s[24:25]
	global_store_byte v[10:11], v5, off offset:2048
.LBB180_55:
	s_or_b64 exec, exec, s[28:29]
	v_add_u32_e32 v30, 0xa00, v2
	v_cmp_gt_u32_e64 s[24:25], s50, v30
	s_and_saveexec_b64 s[50:51], s[24:25]
	s_cbranch_execz .LBB180_57
; %bb.56:
	ds_read_u8 v5, v2 offset:4608
	s_waitcnt lgkmcnt(0)
	v_and_b32_e32 v7, 1, v5
	v_lshrrev_b32_e32 v7, s48, v7
	v_and_b32_e32 v7, s33, v7
	v_lshlrev_b32_e32 v7, 3, v7
	ds_read_b64 v[10:11], v7
	v_mov_b32_e32 v7, s39
	s_waitcnt lgkmcnt(0)
	v_add_co_u32_e64 v10, s[28:29], s38, v10
	v_addc_co_u32_e64 v7, s[28:29], v7, v11, s[28:29]
	v_add_co_u32_e64 v10, s[28:29], v10, v2
	v_addc_co_u32_e64 v11, s[28:29], 0, v7, s[28:29]
	global_store_byte v[10:11], v5, off offset:2560
.LBB180_57:
	s_or_b64 exec, exec, s[50:51]
	s_lshl_b64 s[28:29], s[30:31], 3
	s_add_u32 s28, s40, s28
	s_addc_u32 s29, s41, s29
	v_lshlrev_b32_e32 v5, 3, v6
	v_mov_b32_e32 v6, s29
	v_add_co_u32_e64 v5, s[28:29], s28, v5
	v_addc_co_u32_e64 v6, s[28:29], 0, v6, s[28:29]
	v_lshlrev_b32_e32 v4, 3, v4
	v_add_co_u32_e64 v18, s[28:29], v5, v4
	v_addc_co_u32_e64 v19, s[28:29], 0, v6, s[28:29]
                                        ; implicit-def: $vgpr4_vgpr5
	s_and_saveexec_b64 s[28:29], vcc
	s_xor_b64 s[28:29], exec, s[28:29]
	s_cbranch_execnz .LBB180_127
; %bb.58:
	s_or_b64 exec, exec, s[28:29]
                                        ; implicit-def: $vgpr6_vgpr7
	s_and_saveexec_b64 s[28:29], s[0:1]
	s_cbranch_execnz .LBB180_128
.LBB180_59:
	s_or_b64 exec, exec, s[28:29]
                                        ; implicit-def: $vgpr10_vgpr11
	s_and_saveexec_b64 s[0:1], s[2:3]
	s_cbranch_execnz .LBB180_129
.LBB180_60:
	s_or_b64 exec, exec, s[0:1]
                                        ; implicit-def: $vgpr12_vgpr13
	s_and_saveexec_b64 s[0:1], s[26:27]
	s_cbranch_execnz .LBB180_130
.LBB180_61:
	s_or_b64 exec, exec, s[0:1]
                                        ; implicit-def: $vgpr14_vgpr15
	s_and_saveexec_b64 s[0:1], s[8:9]
	s_cbranch_execnz .LBB180_131
.LBB180_62:
	s_or_b64 exec, exec, s[0:1]
                                        ; implicit-def: $vgpr16_vgpr17
	s_and_saveexec_b64 s[0:1], s[10:11]
	s_cbranch_execz .LBB180_64
.LBB180_63:
	global_load_dwordx2 v[16:17], v[18:19], off offset:2560
.LBB180_64:
	s_or_b64 exec, exec, s[0:1]
	v_mov_b32_e32 v32, 0
	v_mov_b32_e32 v34, 0
	s_and_saveexec_b64 s[0:1], s[14:15]
	s_cbranch_execz .LBB180_66
; %bb.65:
	ds_read_u8 v18, v2 offset:2048
	s_waitcnt lgkmcnt(0)
	v_lshrrev_b32_e32 v18, s48, v18
	v_and_b32_e32 v34, s33, v18
.LBB180_66:
	s_or_b64 exec, exec, s[0:1]
	s_and_saveexec_b64 s[0:1], s[16:17]
	s_cbranch_execz .LBB180_68
; %bb.67:
	ds_read_u8 v18, v2 offset:2560
	s_waitcnt lgkmcnt(0)
	v_lshrrev_b32_e32 v18, s48, v18
	v_and_b32_e32 v32, s33, v18
.LBB180_68:
	s_or_b64 exec, exec, s[0:1]
	v_mov_b32_e32 v19, 0
	v_mov_b32_e32 v33, 0
	s_and_saveexec_b64 s[0:1], s[18:19]
	s_cbranch_execz .LBB180_70
; %bb.69:
	ds_read_u8 v18, v2 offset:3072
	s_waitcnt lgkmcnt(0)
	v_lshrrev_b32_e32 v18, s48, v18
	v_and_b32_e32 v33, s33, v18
.LBB180_70:
	s_or_b64 exec, exec, s[0:1]
	s_and_saveexec_b64 s[0:1], s[20:21]
	s_cbranch_execz .LBB180_72
; %bb.71:
	ds_read_u8 v18, v2 offset:3584
	s_waitcnt lgkmcnt(0)
	v_lshrrev_b32_e32 v18, s48, v18
	v_and_b32_e32 v19, s33, v18
.LBB180_72:
	;; [unrolled: 20-line block ×3, first 2 shown]
	s_or_b64 exec, exec, s[0:1]
	v_lshlrev_b32_e32 v26, 3, v26
	s_barrier
	s_waitcnt vmcnt(0)
	ds_write_b64 v26, v[4:5] offset:2048
	v_lshlrev_b32_e32 v4, 3, v25
	ds_write_b64 v4, v[6:7] offset:2048
	v_lshlrev_b32_e32 v4, 3, v24
	;; [unrolled: 2-line block ×6, first 2 shown]
	s_waitcnt lgkmcnt(0)
	s_barrier
	s_and_saveexec_b64 s[0:1], s[14:15]
	s_cbranch_execnz .LBB180_132
; %bb.77:
	s_or_b64 exec, exec, s[0:1]
	s_and_saveexec_b64 s[0:1], s[16:17]
	s_cbranch_execnz .LBB180_133
.LBB180_78:
	s_or_b64 exec, exec, s[0:1]
	s_and_saveexec_b64 s[0:1], s[18:19]
	s_cbranch_execnz .LBB180_134
.LBB180_79:
	s_or_b64 exec, exec, s[0:1]
	s_and_saveexec_b64 s[0:1], s[20:21]
	s_cbranch_execnz .LBB180_135
.LBB180_80:
	s_or_b64 exec, exec, s[0:1]
	s_and_saveexec_b64 s[0:1], s[22:23]
	s_cbranch_execnz .LBB180_136
.LBB180_81:
	s_or_b64 exec, exec, s[0:1]
	s_and_saveexec_b64 s[0:1], s[24:25]
	s_cbranch_execz .LBB180_83
.LBB180_82:
	v_lshlrev_b32_e32 v3, 3, v18
	ds_read_b64 v[6:7], v3
	ds_read_b64 v[4:5], v4 offset:22528
	v_mov_b32_e32 v3, s43
	s_waitcnt lgkmcnt(1)
	v_lshlrev_b64 v[6:7], 3, v[6:7]
	v_add_co_u32_e32 v6, vcc, s42, v6
	v_addc_co_u32_e32 v3, vcc, v3, v7, vcc
	v_lshlrev_b32_e32 v7, 3, v30
	v_add_co_u32_e32 v6, vcc, v6, v7
	v_addc_co_u32_e32 v7, vcc, 0, v3, vcc
	s_waitcnt lgkmcnt(0)
	global_store_dwordx2 v[6:7], v[4:5], off
.LBB180_83:
	s_or_b64 exec, exec, s[0:1]
	s_add_i32 s7, s7, -1
	s_cmp_eq_u32 s6, s7
	s_cselect_b64 s[0:1], -1, 0
	s_and_b64 s[2:3], s[12:13], s[0:1]
	s_mov_b64 s[0:1], 0
	s_mov_b64 s[8:9], 0
                                        ; implicit-def: $vgpr4_vgpr5
	s_and_saveexec_b64 s[10:11], s[2:3]
	s_xor_b64 s[2:3], exec, s[10:11]
; %bb.84:
	v_add_co_u32_e32 v4, vcc, v8, v20
	s_mov_b64 s[8:9], exec
	v_mov_b32_e32 v3, 0
	v_addc_co_u32_e32 v5, vcc, 0, v9, vcc
; %bb.85:
	s_or_b64 exec, exec, s[2:3]
	s_and_b64 vcc, exec, s[0:1]
	s_cbranch_vccnz .LBB180_87
	s_branch .LBB180_124
.LBB180_86:
	s_mov_b64 s[8:9], 0
                                        ; implicit-def: $vgpr4_vgpr5
                                        ; implicit-def: $vgpr2_vgpr3
	s_cbranch_execz .LBB180_124
.LBB180_87:
	s_add_u32 s0, s36, s30
	v_and_b32_e32 v2, 0x3ff, v0
	s_addc_u32 s1, s37, 0
	v_mbcnt_hi_u32_b32 v6, -1, v1
	v_and_b32_e32 v16, 0x1c0, v2
	v_mov_b32_e32 v1, s1
	v_add_co_u32_e32 v3, vcc, s0, v6
	v_mul_u32_u24_e32 v4, 6, v16
	v_addc_co_u32_e32 v1, vcc, 0, v1, vcc
	v_add_co_u32_e32 v8, vcc, v3, v4
	v_addc_co_u32_e32 v9, vcc, 0, v1, vcc
	global_load_ubyte v3, v[8:9], off
	s_load_dword s0, s[4:5], 0x5c
	s_load_dword s7, s[4:5], 0x50
	s_add_u32 s1, s4, 0x50
	s_addc_u32 s2, s5, 0
	v_mov_b32_e32 v1, 0
	s_waitcnt lgkmcnt(0)
	s_lshr_b32 s3, s0, 16
	s_cmp_lt_u32 s6, s7
	s_cselect_b32 s0, 12, 18
	s_add_u32 s0, s1, s0
	s_addc_u32 s1, s2, 0
	global_load_ushort v14, v1, s[0:1]
	global_load_ubyte v5, v[8:9], off offset:64
	global_load_ubyte v10, v[8:9], off offset:128
	;; [unrolled: 1-line block ×5, first 2 shown]
	v_mul_u32_u24_e32 v7, 5, v2
	v_lshlrev_b32_e32 v7, 2, v7
	ds_write2_b32 v7, v1, v1 offset0:8 offset1:9
	ds_write2_b32 v7, v1, v1 offset0:10 offset1:11
	ds_write_b32 v7, v1 offset:48
	s_lshl_b32 s0, -1, s49
	s_not_b32 s14, s0
	v_bfe_u32 v8, v0, 10, 10
	v_bfe_u32 v0, v0, 20, 10
	v_mad_u32_u24 v0, v0, s3, v8
	s_mov_b32 s31, 0
	s_waitcnt lgkmcnt(0)
	s_barrier
	s_waitcnt lgkmcnt(0)
	; wave barrier
	s_waitcnt vmcnt(6)
	v_and_b32_e32 v1, 1, v3
	v_lshrrev_b32_e32 v1, s48, v1
	v_and_b32_e32 v1, s14, v1
	v_mul_u32_u24_e32 v15, 9, v1
	v_cmp_ne_u32_e32 vcc, 0, v1
	v_add_co_u32_e64 v1, s[0:1], -1, v1
	v_addc_co_u32_e64 v8, s[0:1], 0, -1, s[0:1]
	v_xor_b32_e32 v18, vcc_lo, v1
	v_xor_b32_e32 v17, vcc_hi, v8
	s_waitcnt vmcnt(5)
	v_mad_u64_u32 v[8:9], s[0:1], v0, v14, v[2:3]
	v_and_b32_e32 v0, exec_lo, v18
	v_and_b32_e32 v1, exec_hi, v17
	v_mbcnt_lo_u32_b32 v9, v0, 0
	v_mbcnt_hi_u32_b32 v14, v1, v9
	v_lshrrev_b32_e32 v8, 6, v8
	v_cmp_eq_u32_e32 vcc, 0, v14
	v_cmp_ne_u64_e64 s[0:1], 0, v[0:1]
	v_add_lshl_u32 v18, v8, v15, 2
	s_and_b64 s[2:3], s[0:1], vcc
	s_and_saveexec_b64 s[0:1], s[2:3]
	s_cbranch_execz .LBB180_89
; %bb.88:
	v_bcnt_u32_b32 v0, v0, 0
	v_bcnt_u32_b32 v0, v1, v0
	ds_write_b32 v18, v0 offset:32
.LBB180_89:
	s_or_b64 exec, exec, s[0:1]
	s_waitcnt vmcnt(4)
	v_lshrrev_b32_sdwa v0, s48, v5 dst_sel:DWORD dst_unused:UNUSED_PAD src0_sel:DWORD src1_sel:BYTE_0
	v_and_b32_e32 v0, s14, v0
	v_mul_u32_u24_e32 v1, 9, v0
	v_cmp_ne_u32_e32 vcc, 0, v0
	v_add_co_u32_e64 v0, s[0:1], -1, v0
	v_add_lshl_u32 v19, v8, v1, 2
	v_addc_co_u32_e64 v1, s[0:1], 0, -1, s[0:1]
	v_xor_b32_e32 v0, vcc_lo, v0
	; wave barrier
	ds_read_b32 v15, v19 offset:32
	v_xor_b32_e32 v1, vcc_hi, v1
	v_and_b32_e32 v0, exec_lo, v0
	v_and_b32_e32 v1, exec_hi, v1
	v_mbcnt_lo_u32_b32 v9, v0, 0
	v_mbcnt_hi_u32_b32 v17, v1, v9
	v_cmp_eq_u32_e32 vcc, 0, v17
	v_cmp_ne_u64_e64 s[0:1], 0, v[0:1]
	s_and_b64 s[2:3], s[0:1], vcc
	; wave barrier
	s_and_saveexec_b64 s[0:1], s[2:3]
	s_cbranch_execz .LBB180_91
; %bb.90:
	v_bcnt_u32_b32 v0, v0, 0
	v_bcnt_u32_b32 v0, v1, v0
	s_waitcnt lgkmcnt(0)
	v_add_u32_e32 v0, v15, v0
	ds_write_b32 v19, v0 offset:32
.LBB180_91:
	s_or_b64 exec, exec, s[0:1]
	s_waitcnt vmcnt(3)
	v_lshrrev_b32_sdwa v0, s48, v10 dst_sel:DWORD dst_unused:UNUSED_PAD src0_sel:DWORD src1_sel:BYTE_0
	v_and_b32_e32 v0, s14, v0
	v_mul_u32_u24_e32 v1, 9, v0
	v_cmp_ne_u32_e32 vcc, 0, v0
	v_add_co_u32_e64 v0, s[0:1], -1, v0
	v_add_lshl_u32 v23, v8, v1, 2
	v_addc_co_u32_e64 v1, s[0:1], 0, -1, s[0:1]
	v_xor_b32_e32 v0, vcc_lo, v0
	; wave barrier
	ds_read_b32 v20, v23 offset:32
	v_xor_b32_e32 v1, vcc_hi, v1
	v_and_b32_e32 v0, exec_lo, v0
	v_and_b32_e32 v1, exec_hi, v1
	v_mbcnt_lo_u32_b32 v9, v0, 0
	v_mbcnt_hi_u32_b32 v21, v1, v9
	v_cmp_eq_u32_e32 vcc, 0, v21
	v_cmp_ne_u64_e64 s[0:1], 0, v[0:1]
	s_and_b64 s[2:3], s[0:1], vcc
	; wave barrier
	s_and_saveexec_b64 s[0:1], s[2:3]
	s_cbranch_execz .LBB180_93
; %bb.92:
	v_bcnt_u32_b32 v0, v0, 0
	v_bcnt_u32_b32 v0, v1, v0
	s_waitcnt lgkmcnt(0)
	v_add_u32_e32 v0, v20, v0
	ds_write_b32 v23, v0 offset:32
.LBB180_93:
	;; [unrolled: 30-line block ×4, first 2 shown]
	s_or_b64 exec, exec, s[0:1]
	s_waitcnt vmcnt(0)
	v_lshrrev_b32_sdwa v0, s48, v13 dst_sel:DWORD dst_unused:UNUSED_PAD src0_sel:DWORD src1_sel:BYTE_0
	v_and_b32_e32 v0, s14, v0
	v_mul_u32_u24_e32 v1, 9, v0
	v_cmp_ne_u32_e32 vcc, 0, v0
	v_add_co_u32_e64 v0, s[0:1], -1, v0
	v_add_lshl_u32 v31, v8, v1, 2
	v_addc_co_u32_e64 v1, s[0:1], 0, -1, s[0:1]
	v_xor_b32_e32 v0, vcc_lo, v0
	; wave barrier
	ds_read_b32 v28, v31 offset:32
	v_xor_b32_e32 v1, vcc_hi, v1
	v_and_b32_e32 v0, exec_lo, v0
	v_and_b32_e32 v1, exec_hi, v1
	v_mbcnt_lo_u32_b32 v8, v0, 0
	v_mbcnt_hi_u32_b32 v30, v1, v8
	v_cmp_eq_u32_e32 vcc, 0, v30
	v_cmp_ne_u64_e64 s[0:1], 0, v[0:1]
	v_add_u32_e32 v32, 32, v7
	s_and_b64 s[2:3], s[0:1], vcc
	; wave barrier
	s_and_saveexec_b64 s[0:1], s[2:3]
	s_cbranch_execz .LBB180_99
; %bb.98:
	v_bcnt_u32_b32 v0, v0, 0
	v_bcnt_u32_b32 v0, v1, v0
	s_waitcnt lgkmcnt(0)
	v_add_u32_e32 v0, v28, v0
	ds_write_b32 v31, v0 offset:32
.LBB180_99:
	s_or_b64 exec, exec, s[0:1]
	; wave barrier
	s_waitcnt lgkmcnt(0)
	s_barrier
	ds_read2_b32 v[8:9], v7 offset0:8 offset1:9
	ds_read2_b32 v[0:1], v32 offset0:2 offset1:3
	ds_read_b32 v33, v32 offset:16
	v_min_u32_e32 v16, 0x1c0, v16
	v_or_b32_e32 v16, 63, v16
	s_waitcnt lgkmcnt(1)
	v_add3_u32 v34, v9, v8, v0
	s_waitcnt lgkmcnt(0)
	v_add3_u32 v33, v34, v1, v33
	v_and_b32_e32 v34, 15, v6
	v_cmp_ne_u32_e32 vcc, 0, v34
	v_mov_b32_dpp v35, v33 row_shr:1 row_mask:0xf bank_mask:0xf
	v_cndmask_b32_e32 v35, 0, v35, vcc
	v_add_u32_e32 v33, v35, v33
	v_cmp_lt_u32_e32 vcc, 1, v34
	s_nop 0
	v_mov_b32_dpp v35, v33 row_shr:2 row_mask:0xf bank_mask:0xf
	v_cndmask_b32_e32 v35, 0, v35, vcc
	v_add_u32_e32 v33, v33, v35
	v_cmp_lt_u32_e32 vcc, 3, v34
	s_nop 0
	;; [unrolled: 5-line block ×3, first 2 shown]
	v_mov_b32_dpp v35, v33 row_shr:8 row_mask:0xf bank_mask:0xf
	v_cndmask_b32_e32 v34, 0, v35, vcc
	v_add_u32_e32 v33, v33, v34
	v_bfe_i32 v35, v6, 4, 1
	v_cmp_lt_u32_e32 vcc, 31, v6
	v_mov_b32_dpp v34, v33 row_bcast:15 row_mask:0xf bank_mask:0xf
	v_and_b32_e32 v34, v35, v34
	v_add_u32_e32 v33, v33, v34
	s_nop 1
	v_mov_b32_dpp v34, v33 row_bcast:31 row_mask:0xf bank_mask:0xf
	v_cndmask_b32_e32 v34, 0, v34, vcc
	v_add_u32_e32 v33, v33, v34
	v_lshrrev_b32_e32 v34, 6, v2
	v_cmp_eq_u32_e32 vcc, v16, v2
	s_and_saveexec_b64 s[0:1], vcc
	s_cbranch_execz .LBB180_101
; %bb.100:
	v_lshlrev_b32_e32 v16, 2, v34
	ds_write_b32 v16, v33
.LBB180_101:
	s_or_b64 exec, exec, s[0:1]
	v_cmp_gt_u32_e32 vcc, 8, v2
	s_waitcnt lgkmcnt(0)
	s_barrier
	s_and_saveexec_b64 s[0:1], vcc
	s_cbranch_execz .LBB180_103
; %bb.102:
	v_lshlrev_b32_e32 v16, 2, v2
	ds_read_b32 v35, v16
	v_and_b32_e32 v36, 7, v6
	v_cmp_ne_u32_e32 vcc, 0, v36
	s_waitcnt lgkmcnt(0)
	v_mov_b32_dpp v37, v35 row_shr:1 row_mask:0xf bank_mask:0xf
	v_cndmask_b32_e32 v37, 0, v37, vcc
	v_add_u32_e32 v35, v37, v35
	v_cmp_lt_u32_e32 vcc, 1, v36
	s_nop 0
	v_mov_b32_dpp v37, v35 row_shr:2 row_mask:0xf bank_mask:0xf
	v_cndmask_b32_e32 v37, 0, v37, vcc
	v_add_u32_e32 v35, v35, v37
	v_cmp_lt_u32_e32 vcc, 3, v36
	s_nop 0
	v_mov_b32_dpp v37, v35 row_shr:4 row_mask:0xf bank_mask:0xf
	v_cndmask_b32_e32 v36, 0, v37, vcc
	v_add_u32_e32 v35, v35, v36
	ds_write_b32 v16, v35
.LBB180_103:
	s_or_b64 exec, exec, s[0:1]
	v_cmp_lt_u32_e32 vcc, 63, v2
	v_mov_b32_e32 v16, 0
	s_waitcnt lgkmcnt(0)
	s_barrier
	s_and_saveexec_b64 s[0:1], vcc
	s_cbranch_execz .LBB180_105
; %bb.104:
	v_lshl_add_u32 v16, v34, 2, -4
	ds_read_b32 v16, v16
.LBB180_105:
	s_or_b64 exec, exec, s[0:1]
	v_add_u32_e32 v34, -1, v6
	v_and_b32_e32 v35, 64, v6
	v_cmp_lt_i32_e32 vcc, v34, v35
	v_cndmask_b32_e32 v34, v34, v6, vcc
	s_waitcnt lgkmcnt(0)
	v_add_u32_e32 v33, v16, v33
	v_lshlrev_b32_e32 v34, 2, v34
	ds_bpermute_b32 v33, v34, v33
	v_cmp_eq_u32_e32 vcc, 0, v6
	s_movk_i32 s2, 0xff
	s_movk_i32 s3, 0x100
	v_cmp_lt_u32_e64 s[0:1], s2, v2
	s_waitcnt lgkmcnt(0)
	v_cndmask_b32_e32 v16, v33, v16, vcc
	v_cmp_ne_u32_e32 vcc, 0, v2
	v_cndmask_b32_e32 v16, 0, v16, vcc
	v_add_u32_e32 v8, v16, v8
	v_add_u32_e32 v9, v8, v9
	;; [unrolled: 1-line block ×4, first 2 shown]
	ds_write2_b32 v7, v16, v8 offset0:8 offset1:9
	ds_write2_b32 v32, v9, v0 offset0:2 offset1:3
	ds_write_b32 v32, v1 offset:16
	s_waitcnt lgkmcnt(0)
	s_barrier
	ds_read_b32 v8, v18 offset:32
	ds_read_b32 v9, v19 offset:32
	;; [unrolled: 1-line block ×6, first 2 shown]
	v_cmp_gt_u32_e32 vcc, s3, v2
	v_pk_mov_b32 v[0:1], 0, 0
                                        ; implicit-def: $vgpr7
	s_and_saveexec_b64 s[4:5], vcc
	s_cbranch_execz .LBB180_109
; %bb.106:
	v_mul_u32_u24_e32 v0, 9, v2
	v_lshlrev_b32_e32 v7, 2, v0
	ds_read_b32 v0, v7 offset:32
	v_cmp_ne_u32_e64 s[2:3], s2, v2
	v_mov_b32_e32 v1, 0xc00
	s_and_saveexec_b64 s[10:11], s[2:3]
	s_cbranch_execz .LBB180_108
; %bb.107:
	ds_read_b32 v1, v7 offset:68
.LBB180_108:
	s_or_b64 exec, exec, s[10:11]
	s_waitcnt lgkmcnt(0)
	v_sub_u32_e32 v7, v1, v0
	v_mov_b32_e32 v1, 0
.LBB180_109:
	s_or_b64 exec, exec, s[4:5]
	s_waitcnt lgkmcnt(5)
	v_add_u32_e32 v19, v8, v14
	s_waitcnt lgkmcnt(4)
	v_add3_u32 v18, v17, v15, v9
	s_waitcnt lgkmcnt(3)
	v_add3_u32 v17, v21, v20, v16
	;; [unrolled: 2-line block ×5, first 2 shown]
	s_barrier
	ds_write_b8 v19, v3 offset:2048
	ds_write_b8 v18, v5 offset:2048
	;; [unrolled: 1-line block ×6, first 2 shown]
	s_waitcnt lgkmcnt(0)
	s_barrier
	s_and_saveexec_b64 s[2:3], s[0:1]
	s_xor_b64 s[0:1], exec, s[2:3]
; %bb.110:
	v_mov_b32_e32 v3, 0
; %bb.111:
	s_andn2_saveexec_b64 s[2:3], s[0:1]
	s_cbranch_execz .LBB180_121
; %bb.112:
	v_lshl_or_b32 v8, s6, 8, v2
	v_mov_b32_e32 v9, 0
	v_lshlrev_b64 v[10:11], 2, v[8:9]
	v_mov_b32_e32 v3, s35
	v_add_co_u32_e64 v10, s[0:1], s34, v10
	v_addc_co_u32_e64 v11, s[0:1], v3, v11, s[0:1]
	v_or_b32_e32 v5, 2.0, v7
	global_store_dword v[10:11], v5, off
	s_mov_b64 s[4:5], 0
	s_brev_b32 s15, 1
	s_mov_b32 s16, s6
	v_mov_b32_e32 v5, 0
                                        ; implicit-def: $sgpr0_sgpr1
	s_branch .LBB180_115
.LBB180_113:                            ;   in Loop: Header=BB180_115 Depth=1
	s_or_b64 exec, exec, s[12:13]
.LBB180_114:                            ;   in Loop: Header=BB180_115 Depth=1
	s_or_b64 exec, exec, s[10:11]
	v_and_b32_e32 v12, 0x3fffffff, v20
	v_add_u32_e32 v5, v12, v5
	v_cmp_eq_u32_e64 s[0:1], s15, v8
	s_and_b64 s[10:11], exec, s[0:1]
	s_or_b64 s[4:5], s[10:11], s[4:5]
	s_andn2_b64 exec, exec, s[4:5]
	s_cbranch_execz .LBB180_120
.LBB180_115:                            ; =>This Loop Header: Depth=1
                                        ;     Child Loop BB180_118 Depth 2
	s_or_b64 s[0:1], s[0:1], exec
	s_cmp_eq_u32 s16, 0
	s_cbranch_scc1 .LBB180_119
; %bb.116:                              ;   in Loop: Header=BB180_115 Depth=1
	s_add_i32 s16, s16, -1
	v_lshl_or_b32 v8, s16, 8, v2
	v_lshlrev_b64 v[12:13], 2, v[8:9]
	v_add_co_u32_e64 v12, s[0:1], s34, v12
	v_addc_co_u32_e64 v13, s[0:1], v3, v13, s[0:1]
	global_load_dword v20, v[12:13], off glc
	s_waitcnt vmcnt(0)
	v_and_b32_e32 v8, -2.0, v20
	v_cmp_eq_u32_e64 s[0:1], 0, v8
	s_and_saveexec_b64 s[10:11], s[0:1]
	s_cbranch_execz .LBB180_114
; %bb.117:                              ;   in Loop: Header=BB180_115 Depth=1
	s_mov_b64 s[12:13], 0
.LBB180_118:                            ;   Parent Loop BB180_115 Depth=1
                                        ; =>  This Inner Loop Header: Depth=2
	global_load_dword v20, v[12:13], off glc
	s_waitcnt vmcnt(0)
	v_and_b32_e32 v8, -2.0, v20
	v_cmp_ne_u32_e64 s[0:1], 0, v8
	s_or_b64 s[12:13], s[0:1], s[12:13]
	s_andn2_b64 exec, exec, s[12:13]
	s_cbranch_execnz .LBB180_118
	s_branch .LBB180_113
.LBB180_119:                            ;   in Loop: Header=BB180_115 Depth=1
                                        ; implicit-def: $sgpr16
	s_and_b64 s[10:11], exec, s[0:1]
	s_or_b64 s[4:5], s[10:11], s[4:5]
	s_andn2_b64 exec, exec, s[4:5]
	s_cbranch_execnz .LBB180_115
.LBB180_120:
	s_or_b64 exec, exec, s[4:5]
	v_add_u32_e32 v3, v5, v7
	v_or_b32_e32 v3, 0x80000000, v3
	global_store_dword v[10:11], v3, off
	v_lshlrev_b32_e32 v10, 3, v2
	global_load_dwordx2 v[8:9], v10, s[44:45]
	v_sub_co_u32_e64 v5, s[0:1], v5, v0
	v_subb_co_u32_e64 v11, s[0:1], 0, v1, s[0:1]
	v_mov_b32_e32 v3, 0
	s_waitcnt vmcnt(0)
	v_add_co_u32_e64 v8, s[0:1], v5, v8
	v_addc_co_u32_e64 v9, s[0:1], v11, v9, s[0:1]
	ds_write_b64 v10, v[8:9]
.LBB180_121:
	s_or_b64 exec, exec, s[2:3]
	s_waitcnt lgkmcnt(0)
	s_barrier
	ds_read_u8 v32, v2 offset:2048
	ds_read_u8 v33, v2 offset:2560
	;; [unrolled: 1-line block ×6, first 2 shown]
	s_waitcnt lgkmcnt(5)
	v_and_b32_e32 v5, 1, v32
	v_lshrrev_b32_e32 v5, s48, v5
	v_and_b32_e32 v5, s14, v5
	v_lshlrev_b32_e32 v38, 3, v5
	s_waitcnt lgkmcnt(4)
	v_and_b32_e32 v5, 1, v33
	v_lshrrev_b32_e32 v5, s48, v5
	v_and_b32_e32 v5, s14, v5
	v_lshlrev_b32_e32 v39, 3, v5
	;; [unrolled: 5-line block ×3, first 2 shown]
	s_waitcnt lgkmcnt(2)
	v_and_b32_e32 v5, 1, v35
	v_lshrrev_b32_e32 v5, s48, v5
	s_lshl_b64 s[0:1], s[30:31], 3
	v_and_b32_e32 v5, s14, v5
	s_add_u32 s0, s40, s0
	v_lshlrev_b32_e32 v41, 3, v5
	s_addc_u32 s1, s41, s1
	v_lshlrev_b32_e32 v5, 3, v6
	v_mov_b32_e32 v6, s1
	v_add_co_u32_e64 v5, s[0:1], s0, v5
	v_addc_co_u32_e64 v6, s[0:1], 0, v6, s[0:1]
	v_lshlrev_b32_e32 v4, 3, v4
	v_add_co_u32_e64 v4, s[0:1], v5, v4
	v_addc_co_u32_e64 v5, s[0:1], 0, v6, s[0:1]
	ds_read_b64 v[8:9], v38
	ds_read_b64 v[10:11], v39
	;; [unrolled: 1-line block ×4, first 2 shown]
	global_load_dwordx2 v[22:23], v[4:5], off
	global_load_dwordx2 v[24:25], v[4:5], off offset:512
	global_load_dwordx2 v[26:27], v[4:5], off offset:1024
	v_mov_b32_e32 v28, s39
	s_waitcnt lgkmcnt(3)
	v_add_co_u32_e64 v6, s[0:1], s38, v8
	v_addc_co_u32_e64 v42, s[0:1], v28, v9, s[0:1]
	global_load_dwordx2 v[8:9], v[4:5], off offset:1536
	global_load_dwordx2 v[28:29], v[4:5], off offset:2048
	;; [unrolled: 1-line block ×3, first 2 shown]
	v_add_co_u32_e64 v4, s[0:1], v6, v2
	v_addc_co_u32_e64 v5, s[0:1], v42, v3, s[0:1]
	global_store_byte v[4:5], v32, off
	v_mov_b32_e32 v4, s39
	s_waitcnt lgkmcnt(2)
	v_add_co_u32_e64 v5, s[0:1], s38, v10
	v_addc_co_u32_e64 v10, s[0:1], v4, v11, s[0:1]
	v_add_co_u32_e64 v4, s[0:1], v5, v2
	v_addc_co_u32_e64 v5, s[0:1], v10, v3, s[0:1]
	global_store_byte v[4:5], v33, off offset:512
	v_mov_b32_e32 v4, s39
	s_waitcnt lgkmcnt(1)
	v_add_co_u32_e64 v5, s[0:1], s38, v12
	v_addc_co_u32_e64 v10, s[0:1], v4, v13, s[0:1]
	v_add_co_u32_e64 v4, s[0:1], v5, v2
	v_addc_co_u32_e64 v5, s[0:1], v10, v3, s[0:1]
	global_store_byte v[4:5], v34, off offset:1024
	v_mov_b32_e32 v4, s39
	s_waitcnt lgkmcnt(0)
	v_add_co_u32_e64 v5, s[0:1], s38, v20
	v_addc_co_u32_e64 v10, s[0:1], v4, v21, s[0:1]
	v_add_co_u32_e64 v4, s[0:1], v5, v2
	v_addc_co_u32_e64 v5, s[0:1], v10, v3, s[0:1]
	global_store_byte v[4:5], v35, off offset:1536
	v_and_b32_e32 v4, 1, v36
	v_lshrrev_b32_e32 v4, s48, v4
	v_and_b32_e32 v4, s14, v4
	v_lshlrev_b32_e32 v20, 3, v4
	v_and_b32_e32 v4, 1, v37
	v_lshrrev_b32_e32 v10, s48, v4
	ds_read_b64 v[4:5], v20
	v_and_b32_e32 v10, s14, v10
	v_lshlrev_b32_e32 v32, 3, v10
	ds_read_b64 v[10:11], v32
	v_mov_b32_e32 v12, s39
	s_waitcnt lgkmcnt(1)
	v_add_co_u32_e64 v4, s[0:1], s38, v4
	v_addc_co_u32_e64 v5, s[0:1], v12, v5, s[0:1]
	v_add_co_u32_e64 v4, s[0:1], v4, v2
	v_addc_co_u32_e64 v5, s[0:1], v5, v3, s[0:1]
	global_store_byte v[4:5], v36, off offset:2048
	v_mov_b32_e32 v4, s39
	s_waitcnt lgkmcnt(0)
	v_add_co_u32_e64 v5, s[0:1], s38, v10
	v_addc_co_u32_e64 v10, s[0:1], v4, v11, s[0:1]
	v_add_co_u32_e64 v4, s[0:1], v5, v2
	v_addc_co_u32_e64 v5, s[0:1], v10, v3, s[0:1]
	global_store_byte v[4:5], v37, off offset:2560
	v_lshlrev_b32_e32 v4, 3, v19
	s_barrier
	v_or_b32_e32 v6, 0x800, v2
	v_mad_u32_u24 v6, v2, 7, v6
	s_waitcnt vmcnt(11)
	ds_write_b64 v4, v[22:23] offset:2048
	v_lshlrev_b32_e32 v4, 3, v18
	s_waitcnt vmcnt(10)
	ds_write_b64 v4, v[24:25] offset:2048
	v_lshlrev_b32_e32 v4, 3, v17
	;; [unrolled: 3-line block ×5, first 2 shown]
	s_waitcnt vmcnt(6)
	ds_write_b64 v4, v[30:31] offset:2048
	s_waitcnt lgkmcnt(0)
	s_barrier
	ds_read_b64 v[4:5], v38
	v_mov_b32_e32 v9, s43
	v_lshlrev_b32_e32 v8, 3, v2
	ds_read_b64 v[12:13], v39
	ds_read_b64 v[14:15], v40
	ds_read_b64 v[16:17], v41
	v_lshlrev_b32_e32 v33, 3, v2
	s_waitcnt lgkmcnt(3)
	v_lshlrev_b64 v[4:5], 3, v[4:5]
	v_add_co_u32_e64 v10, s[0:1], s42, v4
	v_addc_co_u32_e64 v9, s[0:1], v9, v5, s[0:1]
	v_lshlrev_b64 v[4:5], 3, v[2:3]
	v_add_co_u32_e64 v4, s[0:1], v10, v4
	v_addc_co_u32_e64 v5, s[0:1], v9, v5, s[0:1]
	ds_read_b64 v[8:9], v8 offset:2048
	ds_read_b64 v[18:19], v20
	ds_read_b64 v[20:21], v6 offset:20480
	ds_read_b64 v[22:23], v32
	s_add_i32 s7, s7, -1
	s_cmp_eq_u32 s6, s7
	s_waitcnt lgkmcnt(3)
	global_store_dwordx2 v[4:5], v[8:9], off
	ds_read2st64_b64 v[8:11], v6 offset0:8 offset1:16
	v_lshlrev_b64 v[4:5], 3, v[12:13]
	v_mov_b32_e32 v12, s43
	v_add_co_u32_e64 v4, s[0:1], s42, v4
	v_addc_co_u32_e64 v5, s[0:1], v12, v5, s[0:1]
	v_add_u32_e32 v12, 0x1000, v33
	v_add_co_u32_e64 v4, s[0:1], v4, v12
	v_addc_co_u32_e64 v5, s[0:1], 0, v5, s[0:1]
	s_waitcnt lgkmcnt(0)
	global_store_dwordx2 v[4:5], v[8:9], off
	v_lshlrev_b64 v[4:5], 3, v[14:15]
	v_mov_b32_e32 v8, s43
	v_add_co_u32_e64 v4, s[0:1], s42, v4
	v_addc_co_u32_e64 v5, s[0:1], v8, v5, s[0:1]
	v_or_b32_e32 v8, 0x2000, v33
	v_add_co_u32_e64 v4, s[0:1], v4, v8
	v_addc_co_u32_e64 v5, s[0:1], 0, v5, s[0:1]
	global_store_dwordx2 v[4:5], v[10:11], off
	ds_read2st64_b64 v[8:11], v6 offset0:24 offset1:32
	v_lshlrev_b64 v[4:5], 3, v[16:17]
	v_mov_b32_e32 v6, s43
	v_add_co_u32_e64 v4, s[0:1], s42, v4
	v_addc_co_u32_e64 v5, s[0:1], v6, v5, s[0:1]
	v_add_u32_e32 v6, 0x3000, v33
	v_add_co_u32_e64 v4, s[0:1], v4, v6
	v_addc_co_u32_e64 v5, s[0:1], 0, v5, s[0:1]
	s_waitcnt lgkmcnt(0)
	global_store_dwordx2 v[4:5], v[8:9], off
	v_lshlrev_b64 v[4:5], 3, v[18:19]
	v_mov_b32_e32 v6, s43
	v_add_co_u32_e64 v4, s[0:1], s42, v4
	v_addc_co_u32_e64 v5, s[0:1], v6, v5, s[0:1]
	v_or_b32_e32 v6, 0x4000, v33
	v_add_co_u32_e64 v4, s[0:1], v4, v6
	v_addc_co_u32_e64 v5, s[0:1], 0, v5, s[0:1]
	global_store_dwordx2 v[4:5], v[10:11], off
	v_lshlrev_b64 v[4:5], 3, v[22:23]
	v_mov_b32_e32 v6, s43
	v_add_co_u32_e64 v4, s[0:1], s42, v4
	v_addc_co_u32_e64 v5, s[0:1], v6, v5, s[0:1]
	v_add_u32_e32 v6, 0x5000, v33
	v_add_co_u32_e64 v4, s[0:1], v4, v6
	v_addc_co_u32_e64 v5, s[0:1], 0, v5, s[0:1]
	s_cselect_b64 s[0:1], -1, 0
	s_and_b64 s[2:3], vcc, s[0:1]
	global_store_dwordx2 v[4:5], v[20:21], off
                                        ; implicit-def: $vgpr4_vgpr5
	s_and_saveexec_b64 s[0:1], s[2:3]
; %bb.122:
	v_add_co_u32_e32 v4, vcc, v0, v7
	v_addc_co_u32_e32 v5, vcc, 0, v1, vcc
	s_or_b64 s[8:9], s[8:9], exec
; %bb.123:
	s_or_b64 exec, exec, s[0:1]
.LBB180_124:
	s_and_saveexec_b64 s[0:1], s[8:9]
	s_cbranch_execnz .LBB180_126
; %bb.125:
	s_endpgm
.LBB180_126:
	v_lshlrev_b32_e32 v6, 3, v2
	v_lshlrev_b64 v[0:1], 3, v[2:3]
	ds_read_b64 v[2:3], v6
	v_mov_b32_e32 v7, s47
	v_add_co_u32_e32 v0, vcc, s46, v0
	v_addc_co_u32_e32 v1, vcc, v7, v1, vcc
	s_waitcnt lgkmcnt(0)
	v_add_co_u32_e32 v2, vcc, v2, v4
	v_addc_co_u32_e32 v3, vcc, v3, v5, vcc
	global_store_dwordx2 v[0:1], v[2:3], off
	s_endpgm
.LBB180_127:
	global_load_dwordx2 v[4:5], v[18:19], off
	s_or_b64 exec, exec, s[28:29]
                                        ; implicit-def: $vgpr6_vgpr7
	s_and_saveexec_b64 s[28:29], s[0:1]
	s_cbranch_execz .LBB180_59
.LBB180_128:
	global_load_dwordx2 v[6:7], v[18:19], off offset:512
	s_or_b64 exec, exec, s[28:29]
                                        ; implicit-def: $vgpr10_vgpr11
	s_and_saveexec_b64 s[0:1], s[2:3]
	s_cbranch_execz .LBB180_60
.LBB180_129:
	global_load_dwordx2 v[10:11], v[18:19], off offset:1024
	s_or_b64 exec, exec, s[0:1]
                                        ; implicit-def: $vgpr12_vgpr13
	s_and_saveexec_b64 s[0:1], s[26:27]
	s_cbranch_execz .LBB180_61
.LBB180_130:
	global_load_dwordx2 v[12:13], v[18:19], off offset:1536
	s_or_b64 exec, exec, s[0:1]
                                        ; implicit-def: $vgpr14_vgpr15
	s_and_saveexec_b64 s[0:1], s[8:9]
	s_cbranch_execz .LBB180_62
.LBB180_131:
	global_load_dwordx2 v[14:15], v[18:19], off offset:2048
	s_or_b64 exec, exec, s[0:1]
                                        ; implicit-def: $vgpr16_vgpr17
	s_and_saveexec_b64 s[0:1], s[10:11]
	s_cbranch_execnz .LBB180_63
	s_branch .LBB180_64
.LBB180_132:
	v_lshlrev_b32_e32 v5, 3, v34
	ds_read_b64 v[6:7], v5
	ds_read_b64 v[10:11], v4 offset:2048
	v_mov_b32_e32 v5, s43
	s_waitcnt lgkmcnt(1)
	v_lshlrev_b64 v[6:7], 3, v[6:7]
	v_add_co_u32_e32 v6, vcc, s42, v6
	v_addc_co_u32_e32 v5, vcc, v5, v7, vcc
	v_add_co_u32_e32 v6, vcc, v6, v4
	v_addc_co_u32_e32 v7, vcc, 0, v5, vcc
	s_waitcnt lgkmcnt(0)
	global_store_dwordx2 v[6:7], v[10:11], off
	s_or_b64 exec, exec, s[0:1]
	s_and_saveexec_b64 s[0:1], s[16:17]
	s_cbranch_execz .LBB180_78
.LBB180_133:
	v_lshlrev_b32_e32 v5, 3, v32
	ds_read_b64 v[6:7], v5
	ds_read_b64 v[10:11], v4 offset:6144
	v_mov_b32_e32 v5, s43
	v_lshlrev_b32_e32 v3, 3, v3
	s_waitcnt lgkmcnt(1)
	v_lshlrev_b64 v[6:7], 3, v[6:7]
	v_add_co_u32_e32 v6, vcc, s42, v6
	v_addc_co_u32_e32 v5, vcc, v5, v7, vcc
	v_add_co_u32_e32 v6, vcc, v6, v3
	v_addc_co_u32_e32 v7, vcc, 0, v5, vcc
	s_waitcnt lgkmcnt(0)
	global_store_dwordx2 v[6:7], v[10:11], off
	s_or_b64 exec, exec, s[0:1]
	s_and_saveexec_b64 s[0:1], s[18:19]
	s_cbranch_execz .LBB180_79
.LBB180_134:
	v_lshlrev_b32_e32 v3, 3, v33
	ds_read_b64 v[6:7], v3
	ds_read_b64 v[10:11], v4 offset:10240
	v_mov_b32_e32 v3, s43
	s_waitcnt lgkmcnt(1)
	v_lshlrev_b64 v[6:7], 3, v[6:7]
	v_add_co_u32_e32 v5, vcc, s42, v6
	v_addc_co_u32_e32 v3, vcc, v3, v7, vcc
	v_lshlrev_b32_e32 v6, 3, v27
	v_add_co_u32_e32 v6, vcc, v5, v6
	v_addc_co_u32_e32 v7, vcc, 0, v3, vcc
	s_waitcnt lgkmcnt(0)
	global_store_dwordx2 v[6:7], v[10:11], off
	s_or_b64 exec, exec, s[0:1]
	s_and_saveexec_b64 s[0:1], s[20:21]
	s_cbranch_execz .LBB180_80
.LBB180_135:
	v_lshlrev_b32_e32 v3, 3, v19
	ds_read_b64 v[6:7], v3
	ds_read_b64 v[10:11], v4 offset:14336
	v_mov_b32_e32 v3, s43
	s_waitcnt lgkmcnt(1)
	v_lshlrev_b64 v[6:7], 3, v[6:7]
	v_add_co_u32_e32 v5, vcc, s42, v6
	v_addc_co_u32_e32 v3, vcc, v3, v7, vcc
	v_lshlrev_b32_e32 v6, 3, v28
	v_add_co_u32_e32 v6, vcc, v5, v6
	v_addc_co_u32_e32 v7, vcc, 0, v3, vcc
	s_waitcnt lgkmcnt(0)
	global_store_dwordx2 v[6:7], v[10:11], off
	s_or_b64 exec, exec, s[0:1]
	s_and_saveexec_b64 s[0:1], s[22:23]
	s_cbranch_execz .LBB180_81
.LBB180_136:
	v_lshlrev_b32_e32 v3, 3, v31
	ds_read_b64 v[6:7], v3
	ds_read_b64 v[10:11], v4 offset:18432
	v_mov_b32_e32 v3, s43
	s_waitcnt lgkmcnt(1)
	v_lshlrev_b64 v[6:7], 3, v[6:7]
	v_add_co_u32_e32 v5, vcc, s42, v6
	v_addc_co_u32_e32 v3, vcc, v3, v7, vcc
	v_lshlrev_b32_e32 v6, 3, v29
	v_add_co_u32_e32 v6, vcc, v5, v6
	v_addc_co_u32_e32 v7, vcc, 0, v3, vcc
	s_waitcnt lgkmcnt(0)
	global_store_dwordx2 v[6:7], v[10:11], off
	s_or_b64 exec, exec, s[0:1]
	s_and_saveexec_b64 s[0:1], s[24:25]
	s_cbranch_execnz .LBB180_82
	s_branch .LBB180_83
	.section	.rodata,"a",@progbits
	.p2align	6, 0x0
	.amdhsa_kernel _ZN7rocprim17ROCPRIM_304000_NS6detail25onesweep_iteration_kernelINS1_34wrapped_radix_sort_onesweep_configINS0_14default_configEbN2at4cuda3cub6detail10OpaqueTypeILi8EEEEELb0EPKbPbPKSA_PSA_mNS0_19identity_decomposerEEEvT1_T2_T3_T4_jPT5_SO_PNS1_23onesweep_lookback_stateET6_jjj
		.amdhsa_group_segment_fixed_size 26624
		.amdhsa_private_segment_fixed_size 0
		.amdhsa_kernarg_size 336
		.amdhsa_user_sgpr_count 6
		.amdhsa_user_sgpr_private_segment_buffer 1
		.amdhsa_user_sgpr_dispatch_ptr 0
		.amdhsa_user_sgpr_queue_ptr 0
		.amdhsa_user_sgpr_kernarg_segment_ptr 1
		.amdhsa_user_sgpr_dispatch_id 0
		.amdhsa_user_sgpr_flat_scratch_init 0
		.amdhsa_user_sgpr_kernarg_preload_length 0
		.amdhsa_user_sgpr_kernarg_preload_offset 0
		.amdhsa_user_sgpr_private_segment_size 0
		.amdhsa_uses_dynamic_stack 0
		.amdhsa_system_sgpr_private_segment_wavefront_offset 0
		.amdhsa_system_sgpr_workgroup_id_x 1
		.amdhsa_system_sgpr_workgroup_id_y 0
		.amdhsa_system_sgpr_workgroup_id_z 0
		.amdhsa_system_sgpr_workgroup_info 0
		.amdhsa_system_vgpr_workitem_id 2
		.amdhsa_next_free_vgpr 43
		.amdhsa_next_free_sgpr 52
		.amdhsa_accum_offset 44
		.amdhsa_reserve_vcc 1
		.amdhsa_reserve_flat_scratch 0
		.amdhsa_float_round_mode_32 0
		.amdhsa_float_round_mode_16_64 0
		.amdhsa_float_denorm_mode_32 3
		.amdhsa_float_denorm_mode_16_64 3
		.amdhsa_dx10_clamp 1
		.amdhsa_ieee_mode 1
		.amdhsa_fp16_overflow 0
		.amdhsa_tg_split 0
		.amdhsa_exception_fp_ieee_invalid_op 0
		.amdhsa_exception_fp_denorm_src 0
		.amdhsa_exception_fp_ieee_div_zero 0
		.amdhsa_exception_fp_ieee_overflow 0
		.amdhsa_exception_fp_ieee_underflow 0
		.amdhsa_exception_fp_ieee_inexact 0
		.amdhsa_exception_int_div_zero 0
	.end_amdhsa_kernel
	.section	.text._ZN7rocprim17ROCPRIM_304000_NS6detail25onesweep_iteration_kernelINS1_34wrapped_radix_sort_onesweep_configINS0_14default_configEbN2at4cuda3cub6detail10OpaqueTypeILi8EEEEELb0EPKbPbPKSA_PSA_mNS0_19identity_decomposerEEEvT1_T2_T3_T4_jPT5_SO_PNS1_23onesweep_lookback_stateET6_jjj,"axG",@progbits,_ZN7rocprim17ROCPRIM_304000_NS6detail25onesweep_iteration_kernelINS1_34wrapped_radix_sort_onesweep_configINS0_14default_configEbN2at4cuda3cub6detail10OpaqueTypeILi8EEEEELb0EPKbPbPKSA_PSA_mNS0_19identity_decomposerEEEvT1_T2_T3_T4_jPT5_SO_PNS1_23onesweep_lookback_stateET6_jjj,comdat
.Lfunc_end180:
	.size	_ZN7rocprim17ROCPRIM_304000_NS6detail25onesweep_iteration_kernelINS1_34wrapped_radix_sort_onesweep_configINS0_14default_configEbN2at4cuda3cub6detail10OpaqueTypeILi8EEEEELb0EPKbPbPKSA_PSA_mNS0_19identity_decomposerEEEvT1_T2_T3_T4_jPT5_SO_PNS1_23onesweep_lookback_stateET6_jjj, .Lfunc_end180-_ZN7rocprim17ROCPRIM_304000_NS6detail25onesweep_iteration_kernelINS1_34wrapped_radix_sort_onesweep_configINS0_14default_configEbN2at4cuda3cub6detail10OpaqueTypeILi8EEEEELb0EPKbPbPKSA_PSA_mNS0_19identity_decomposerEEEvT1_T2_T3_T4_jPT5_SO_PNS1_23onesweep_lookback_stateET6_jjj
                                        ; -- End function
	.section	.AMDGPU.csdata,"",@progbits
; Kernel info:
; codeLenInByte = 8096
; NumSgprs: 56
; NumVgprs: 43
; NumAgprs: 0
; TotalNumVgprs: 43
; ScratchSize: 0
; MemoryBound: 0
; FloatMode: 240
; IeeeMode: 1
; LDSByteSize: 26624 bytes/workgroup (compile time only)
; SGPRBlocks: 6
; VGPRBlocks: 5
; NumSGPRsForWavesPerEU: 56
; NumVGPRsForWavesPerEU: 43
; AccumOffset: 44
; Occupancy: 4
; WaveLimiterHint : 1
; COMPUTE_PGM_RSRC2:SCRATCH_EN: 0
; COMPUTE_PGM_RSRC2:USER_SGPR: 6
; COMPUTE_PGM_RSRC2:TRAP_HANDLER: 0
; COMPUTE_PGM_RSRC2:TGID_X_EN: 1
; COMPUTE_PGM_RSRC2:TGID_Y_EN: 0
; COMPUTE_PGM_RSRC2:TGID_Z_EN: 0
; COMPUTE_PGM_RSRC2:TIDIG_COMP_CNT: 2
; COMPUTE_PGM_RSRC3_GFX90A:ACCUM_OFFSET: 10
; COMPUTE_PGM_RSRC3_GFX90A:TG_SPLIT: 0
	.section	.text._ZN7rocprim17ROCPRIM_304000_NS6detail25onesweep_iteration_kernelINS1_34wrapped_radix_sort_onesweep_configINS0_14default_configEbN2at4cuda3cub6detail10OpaqueTypeILi8EEEEELb0EPbSC_PSA_SD_mNS0_19identity_decomposerEEEvT1_T2_T3_T4_jPT5_SK_PNS1_23onesweep_lookback_stateET6_jjj,"axG",@progbits,_ZN7rocprim17ROCPRIM_304000_NS6detail25onesweep_iteration_kernelINS1_34wrapped_radix_sort_onesweep_configINS0_14default_configEbN2at4cuda3cub6detail10OpaqueTypeILi8EEEEELb0EPbSC_PSA_SD_mNS0_19identity_decomposerEEEvT1_T2_T3_T4_jPT5_SK_PNS1_23onesweep_lookback_stateET6_jjj,comdat
	.protected	_ZN7rocprim17ROCPRIM_304000_NS6detail25onesweep_iteration_kernelINS1_34wrapped_radix_sort_onesweep_configINS0_14default_configEbN2at4cuda3cub6detail10OpaqueTypeILi8EEEEELb0EPbSC_PSA_SD_mNS0_19identity_decomposerEEEvT1_T2_T3_T4_jPT5_SK_PNS1_23onesweep_lookback_stateET6_jjj ; -- Begin function _ZN7rocprim17ROCPRIM_304000_NS6detail25onesweep_iteration_kernelINS1_34wrapped_radix_sort_onesweep_configINS0_14default_configEbN2at4cuda3cub6detail10OpaqueTypeILi8EEEEELb0EPbSC_PSA_SD_mNS0_19identity_decomposerEEEvT1_T2_T3_T4_jPT5_SK_PNS1_23onesweep_lookback_stateET6_jjj
	.globl	_ZN7rocprim17ROCPRIM_304000_NS6detail25onesweep_iteration_kernelINS1_34wrapped_radix_sort_onesweep_configINS0_14default_configEbN2at4cuda3cub6detail10OpaqueTypeILi8EEEEELb0EPbSC_PSA_SD_mNS0_19identity_decomposerEEEvT1_T2_T3_T4_jPT5_SK_PNS1_23onesweep_lookback_stateET6_jjj
	.p2align	8
	.type	_ZN7rocprim17ROCPRIM_304000_NS6detail25onesweep_iteration_kernelINS1_34wrapped_radix_sort_onesweep_configINS0_14default_configEbN2at4cuda3cub6detail10OpaqueTypeILi8EEEEELb0EPbSC_PSA_SD_mNS0_19identity_decomposerEEEvT1_T2_T3_T4_jPT5_SK_PNS1_23onesweep_lookback_stateET6_jjj,@function
_ZN7rocprim17ROCPRIM_304000_NS6detail25onesweep_iteration_kernelINS1_34wrapped_radix_sort_onesweep_configINS0_14default_configEbN2at4cuda3cub6detail10OpaqueTypeILi8EEEEELb0EPbSC_PSA_SD_mNS0_19identity_decomposerEEEvT1_T2_T3_T4_jPT5_SK_PNS1_23onesweep_lookback_stateET6_jjj: ; @_ZN7rocprim17ROCPRIM_304000_NS6detail25onesweep_iteration_kernelINS1_34wrapped_radix_sort_onesweep_configINS0_14default_configEbN2at4cuda3cub6detail10OpaqueTypeILi8EEEEELb0EPbSC_PSA_SD_mNS0_19identity_decomposerEEEvT1_T2_T3_T4_jPT5_SK_PNS1_23onesweep_lookback_stateET6_jjj
; %bb.0:
	s_load_dwordx4 s[48:51], s[4:5], 0x44
	s_load_dwordx8 s[36:43], s[4:5], 0x0
	s_load_dwordx4 s[44:47], s[4:5], 0x28
	s_load_dwordx2 s[34:35], s[4:5], 0x38
	s_mul_i32 s30, s6, 0xc00
	s_waitcnt lgkmcnt(0)
	s_cmp_ge_u32 s6, s50
	v_mbcnt_lo_u32_b32 v1, -1, 0
	s_cbranch_scc0 .LBB181_86
; %bb.1:
	s_load_dword s0, s[4:5], 0x20
	s_mulk_i32 s50, 0xf400
	v_and_b32_e32 v2, 0x3ff, v0
	v_mbcnt_hi_u32_b32 v6, -1, v1
	v_and_b32_e32 v15, 0x1c0, v2
	s_waitcnt lgkmcnt(0)
	s_add_i32 s50, s50, s0
	s_add_u32 s0, s36, s30
	s_addc_u32 s1, s37, 0
	v_mov_b32_e32 v3, s1
	v_add_co_u32_e32 v5, vcc, s0, v6
	v_mul_u32_u24_e32 v4, 6, v15
	v_addc_co_u32_e32 v3, vcc, 0, v3, vcc
	v_add_co_u32_e32 v8, vcc, v5, v4
	v_addc_co_u32_e32 v9, vcc, 0, v3, vcc
	v_or_b32_e32 v10, v6, v4
	s_mov_b32 s31, 0
	v_cmp_gt_u32_e32 vcc, s50, v10
	v_mov_b32_e32 v3, 1
	v_mov_b32_e32 v5, 1
	s_and_saveexec_b64 s[0:1], vcc
	s_cbranch_execz .LBB181_3
; %bb.2:
	global_load_ubyte v5, v[8:9], off
.LBB181_3:
	s_or_b64 exec, exec, s[0:1]
	v_add_u32_e32 v7, 64, v10
	v_cmp_gt_u32_e64 s[0:1], s50, v7
	s_and_saveexec_b64 s[2:3], s[0:1]
	s_cbranch_execz .LBB181_5
; %bb.4:
	global_load_ubyte v3, v[8:9], off offset:64
.LBB181_5:
	s_or_b64 exec, exec, s[2:3]
	v_add_u32_e32 v7, 0x80, v10
	v_cmp_gt_u32_e64 s[2:3], s50, v7
	v_mov_b32_e32 v7, 1
	v_mov_b32_e32 v12, 1
	s_and_saveexec_b64 s[8:9], s[2:3]
	s_cbranch_execz .LBB181_7
; %bb.6:
	global_load_ubyte v12, v[8:9], off offset:128
.LBB181_7:
	s_or_b64 exec, exec, s[8:9]
	v_add_u32_e32 v11, 0xc0, v10
	v_cmp_gt_u32_e64 s[26:27], s50, v11
	s_and_saveexec_b64 s[8:9], s[26:27]
	s_cbranch_execz .LBB181_9
; %bb.8:
	global_load_ubyte v7, v[8:9], off offset:192
.LBB181_9:
	s_or_b64 exec, exec, s[8:9]
	v_add_u32_e32 v11, 0x100, v10
	v_cmp_gt_u32_e64 s[8:9], s50, v11
	v_mov_b32_e32 v13, 1
	v_mov_b32_e32 v14, 1
	s_and_saveexec_b64 s[10:11], s[8:9]
	s_cbranch_execz .LBB181_11
; %bb.10:
	global_load_ubyte v14, v[8:9], off offset:256
.LBB181_11:
	s_or_b64 exec, exec, s[10:11]
	v_add_u32_e32 v10, 0x140, v10
	v_cmp_gt_u32_e64 s[10:11], s50, v10
	s_and_saveexec_b64 s[12:13], s[10:11]
	s_cbranch_execz .LBB181_13
; %bb.12:
	global_load_ubyte v13, v[8:9], off offset:320
.LBB181_13:
	s_or_b64 exec, exec, s[12:13]
	s_load_dword s12, s[4:5], 0x5c
	s_load_dword s7, s[4:5], 0x50
	s_add_u32 s13, s4, 0x50
	s_addc_u32 s14, s5, 0
	v_mov_b32_e32 v8, 0
	s_waitcnt lgkmcnt(0)
	s_lshr_b32 s15, s12, 16
	s_cmp_lt_u32 s6, s7
	s_cselect_b32 s12, 12, 18
	s_add_u32 s12, s13, s12
	s_addc_u32 s13, s14, 0
	global_load_ushort v10, v8, s[12:13]
	v_mul_u32_u24_e32 v16, 5, v2
	s_lshl_b32 s12, -1, s49
	s_waitcnt vmcnt(1)
	v_lshrrev_b32_sdwa v18, s48, v5 dst_sel:DWORD dst_unused:UNUSED_PAD src0_sel:DWORD src1_sel:BYTE_0
	v_lshlrev_b32_e32 v17, 2, v16
	s_not_b32 s33, s12
	v_bfe_u32 v9, v0, 10, 10
	v_bfe_u32 v11, v0, 20, 10
	ds_write2_b32 v17, v8, v8 offset0:8 offset1:9
	ds_write2_b32 v17, v8, v8 offset0:10 offset1:11
	ds_write_b32 v17, v8 offset:48
	v_and_b32_e32 v8, s33, v18
	v_mad_u32_u24 v11, v11, s15, v9
	v_mul_u32_u24_e32 v18, 9, v8
	v_cmp_ne_u32_e64 s[12:13], 0, v8
	v_add_co_u32_e64 v8, s[14:15], -1, v8
	v_addc_co_u32_e64 v9, s[14:15], 0, -1, s[14:15]
	v_xor_b32_e32 v8, s12, v8
	v_xor_b32_e32 v9, s13, v9
	v_and_b32_e32 v8, exec_lo, v8
	v_and_b32_e32 v9, exec_hi, v9
	v_mbcnt_lo_u32_b32 v16, v8, 0
	v_mbcnt_hi_u32_b32 v16, v9, v16
	v_cmp_ne_u64_e64 s[12:13], 0, v[8:9]
	v_cmp_eq_u32_e64 s[14:15], 0, v16
	s_and_b64 s[14:15], s[12:13], s[14:15]
	s_waitcnt lgkmcnt(0)
	s_barrier
	s_waitcnt lgkmcnt(0)
	; wave barrier
	s_waitcnt vmcnt(0)
	v_mad_u64_u32 v[10:11], s[16:17], v11, v10, v[2:3]
	v_lshrrev_b32_e32 v10, 6, v10
	v_add_lshl_u32 v20, v10, v18, 2
	s_and_saveexec_b64 s[12:13], s[14:15]
	s_cbranch_execz .LBB181_15
; %bb.14:
	v_bcnt_u32_b32 v8, v8, 0
	v_bcnt_u32_b32 v8, v9, v8
	ds_write_b32 v20, v8 offset:32
.LBB181_15:
	s_or_b64 exec, exec, s[12:13]
	v_lshrrev_b32_sdwa v8, s48, v3 dst_sel:DWORD dst_unused:UNUSED_PAD src0_sel:DWORD src1_sel:BYTE_0
	v_and_b32_e32 v8, s33, v8
	v_mul_u32_u24_e32 v9, 9, v8
	v_cmp_ne_u32_e64 s[12:13], 0, v8
	v_add_co_u32_e64 v8, s[14:15], -1, v8
	v_add_lshl_u32 v22, v10, v9, 2
	v_addc_co_u32_e64 v9, s[14:15], 0, -1, s[14:15]
	v_xor_b32_e32 v8, s12, v8
	; wave barrier
	ds_read_b32 v18, v22 offset:32
	v_xor_b32_e32 v9, s13, v9
	v_and_b32_e32 v8, exec_lo, v8
	v_and_b32_e32 v9, exec_hi, v9
	v_mbcnt_lo_u32_b32 v11, v8, 0
	v_mbcnt_hi_u32_b32 v19, v9, v11
	v_cmp_eq_u32_e64 s[12:13], 0, v19
	v_cmp_ne_u64_e64 s[14:15], 0, v[8:9]
	s_and_b64 s[14:15], s[14:15], s[12:13]
	; wave barrier
	s_and_saveexec_b64 s[12:13], s[14:15]
	s_cbranch_execz .LBB181_17
; %bb.16:
	v_bcnt_u32_b32 v8, v8, 0
	v_bcnt_u32_b32 v8, v9, v8
	s_waitcnt lgkmcnt(0)
	v_add_u32_e32 v8, v18, v8
	ds_write_b32 v22, v8 offset:32
.LBB181_17:
	s_or_b64 exec, exec, s[12:13]
	v_lshrrev_b32_sdwa v8, s48, v12 dst_sel:DWORD dst_unused:UNUSED_PAD src0_sel:DWORD src1_sel:BYTE_0
	v_and_b32_e32 v8, s33, v8
	v_mul_u32_u24_e32 v9, 9, v8
	v_cmp_ne_u32_e64 s[12:13], 0, v8
	v_add_co_u32_e64 v8, s[14:15], -1, v8
	v_add_lshl_u32 v24, v10, v9, 2
	v_addc_co_u32_e64 v9, s[14:15], 0, -1, s[14:15]
	v_xor_b32_e32 v8, s12, v8
	; wave barrier
	ds_read_b32 v21, v24 offset:32
	v_xor_b32_e32 v9, s13, v9
	v_and_b32_e32 v8, exec_lo, v8
	v_and_b32_e32 v9, exec_hi, v9
	v_mbcnt_lo_u32_b32 v11, v8, 0
	v_mbcnt_hi_u32_b32 v23, v9, v11
	v_cmp_eq_u32_e64 s[12:13], 0, v23
	v_cmp_ne_u64_e64 s[14:15], 0, v[8:9]
	s_and_b64 s[14:15], s[14:15], s[12:13]
	; wave barrier
	s_and_saveexec_b64 s[12:13], s[14:15]
	s_cbranch_execz .LBB181_19
; %bb.18:
	v_bcnt_u32_b32 v8, v8, 0
	v_bcnt_u32_b32 v8, v9, v8
	s_waitcnt lgkmcnt(0)
	v_add_u32_e32 v8, v21, v8
	ds_write_b32 v24, v8 offset:32
.LBB181_19:
	;; [unrolled: 29-line block ×4, first 2 shown]
	s_or_b64 exec, exec, s[12:13]
	v_lshrrev_b32_sdwa v8, s48, v13 dst_sel:DWORD dst_unused:UNUSED_PAD src0_sel:DWORD src1_sel:BYTE_0
	v_and_b32_e32 v8, s33, v8
	v_mul_u32_u24_e32 v9, 9, v8
	v_cmp_ne_u32_e64 s[12:13], 0, v8
	v_add_co_u32_e64 v8, s[14:15], -1, v8
	v_add_lshl_u32 v33, v10, v9, 2
	v_addc_co_u32_e64 v9, s[14:15], 0, -1, s[14:15]
	v_xor_b32_e32 v8, s12, v8
	; wave barrier
	ds_read_b32 v31, v33 offset:32
	v_xor_b32_e32 v9, s13, v9
	v_and_b32_e32 v8, exec_lo, v8
	v_and_b32_e32 v9, exec_hi, v9
	v_mbcnt_lo_u32_b32 v10, v8, 0
	v_mbcnt_hi_u32_b32 v32, v9, v10
	v_cmp_eq_u32_e64 s[12:13], 0, v32
	v_cmp_ne_u64_e64 s[14:15], 0, v[8:9]
	v_add_u32_e32 v34, 32, v17
	s_and_b64 s[14:15], s[14:15], s[12:13]
	; wave barrier
	s_and_saveexec_b64 s[12:13], s[14:15]
	s_cbranch_execz .LBB181_25
; %bb.24:
	v_bcnt_u32_b32 v8, v8, 0
	v_bcnt_u32_b32 v8, v9, v8
	s_waitcnt lgkmcnt(0)
	v_add_u32_e32 v8, v31, v8
	ds_write_b32 v33, v8 offset:32
.LBB181_25:
	s_or_b64 exec, exec, s[12:13]
	; wave barrier
	s_waitcnt lgkmcnt(0)
	s_barrier
	ds_read2_b32 v[10:11], v17 offset0:8 offset1:9
	ds_read2_b32 v[8:9], v34 offset0:2 offset1:3
	ds_read_b32 v35, v34 offset:16
	v_min_u32_e32 v15, 0x1c0, v15
	v_or_b32_e32 v15, 63, v15
	s_waitcnt lgkmcnt(1)
	v_add3_u32 v36, v11, v10, v8
	s_waitcnt lgkmcnt(0)
	v_add3_u32 v35, v36, v9, v35
	v_and_b32_e32 v36, 15, v6
	v_cmp_ne_u32_e64 s[12:13], 0, v36
	v_mov_b32_dpp v37, v35 row_shr:1 row_mask:0xf bank_mask:0xf
	v_cndmask_b32_e64 v37, 0, v37, s[12:13]
	v_add_u32_e32 v35, v37, v35
	v_cmp_lt_u32_e64 s[12:13], 1, v36
	s_nop 0
	v_mov_b32_dpp v37, v35 row_shr:2 row_mask:0xf bank_mask:0xf
	v_cndmask_b32_e64 v37, 0, v37, s[12:13]
	v_add_u32_e32 v35, v35, v37
	v_cmp_lt_u32_e64 s[12:13], 3, v36
	s_nop 0
	;; [unrolled: 5-line block ×3, first 2 shown]
	v_mov_b32_dpp v37, v35 row_shr:8 row_mask:0xf bank_mask:0xf
	v_cndmask_b32_e64 v36, 0, v37, s[12:13]
	v_add_u32_e32 v35, v35, v36
	v_bfe_i32 v37, v6, 4, 1
	v_cmp_lt_u32_e64 s[12:13], 31, v6
	v_mov_b32_dpp v36, v35 row_bcast:15 row_mask:0xf bank_mask:0xf
	v_and_b32_e32 v36, v37, v36
	v_add_u32_e32 v35, v35, v36
	s_nop 1
	v_mov_b32_dpp v36, v35 row_bcast:31 row_mask:0xf bank_mask:0xf
	v_cndmask_b32_e64 v36, 0, v36, s[12:13]
	v_add_u32_e32 v35, v35, v36
	v_lshrrev_b32_e32 v36, 6, v2
	v_cmp_eq_u32_e64 s[12:13], v15, v2
	s_and_saveexec_b64 s[14:15], s[12:13]
	s_cbranch_execz .LBB181_27
; %bb.26:
	v_lshlrev_b32_e32 v15, 2, v36
	ds_write_b32 v15, v35
.LBB181_27:
	s_or_b64 exec, exec, s[14:15]
	v_cmp_gt_u32_e64 s[12:13], 8, v2
	s_waitcnt lgkmcnt(0)
	s_barrier
	s_and_saveexec_b64 s[14:15], s[12:13]
	s_cbranch_execz .LBB181_29
; %bb.28:
	v_lshlrev_b32_e32 v15, 2, v2
	ds_read_b32 v37, v15
	v_and_b32_e32 v38, 7, v6
	v_cmp_ne_u32_e64 s[12:13], 0, v38
	s_waitcnt lgkmcnt(0)
	v_mov_b32_dpp v39, v37 row_shr:1 row_mask:0xf bank_mask:0xf
	v_cndmask_b32_e64 v39, 0, v39, s[12:13]
	v_add_u32_e32 v37, v39, v37
	v_cmp_lt_u32_e64 s[12:13], 1, v38
	s_nop 0
	v_mov_b32_dpp v39, v37 row_shr:2 row_mask:0xf bank_mask:0xf
	v_cndmask_b32_e64 v39, 0, v39, s[12:13]
	v_add_u32_e32 v37, v37, v39
	v_cmp_lt_u32_e64 s[12:13], 3, v38
	s_nop 0
	v_mov_b32_dpp v39, v37 row_shr:4 row_mask:0xf bank_mask:0xf
	v_cndmask_b32_e64 v38, 0, v39, s[12:13]
	v_add_u32_e32 v37, v37, v38
	ds_write_b32 v15, v37
.LBB181_29:
	s_or_b64 exec, exec, s[14:15]
	v_cmp_lt_u32_e64 s[12:13], 63, v2
	v_mov_b32_e32 v15, 0
	s_waitcnt lgkmcnt(0)
	s_barrier
	s_and_saveexec_b64 s[14:15], s[12:13]
	s_cbranch_execz .LBB181_31
; %bb.30:
	v_lshl_add_u32 v15, v36, 2, -4
	ds_read_b32 v15, v15
.LBB181_31:
	s_or_b64 exec, exec, s[14:15]
	v_add_u32_e32 v36, -1, v6
	v_and_b32_e32 v37, 64, v6
	v_cmp_lt_i32_e64 s[12:13], v36, v37
	v_cndmask_b32_e64 v36, v36, v6, s[12:13]
	s_waitcnt lgkmcnt(0)
	v_add_u32_e32 v35, v15, v35
	v_lshlrev_b32_e32 v36, 2, v36
	ds_bpermute_b32 v35, v36, v35
	v_cmp_eq_u32_e64 s[12:13], 0, v6
	s_waitcnt lgkmcnt(0)
	v_cndmask_b32_e64 v15, v35, v15, s[12:13]
	v_cmp_ne_u32_e64 s[12:13], 0, v2
	v_cndmask_b32_e64 v15, 0, v15, s[12:13]
	v_add_u32_e32 v10, v15, v10
	v_add_u32_e32 v11, v10, v11
	;; [unrolled: 1-line block ×4, first 2 shown]
	ds_write2_b32 v17, v15, v10 offset0:8 offset1:9
	ds_write2_b32 v34, v11, v8 offset0:2 offset1:3
	ds_write_b32 v34, v9 offset:16
	s_waitcnt lgkmcnt(0)
	s_barrier
	ds_read_b32 v10, v20 offset:32
	ds_read_b32 v11, v22 offset:32
	;; [unrolled: 1-line block ×6, first 2 shown]
	s_movk_i32 s12, 0x100
	v_cmp_gt_u32_e64 s[12:13], s12, v2
	v_pk_mov_b32 v[8:9], 0, 0
                                        ; implicit-def: $vgpr20
	s_and_saveexec_b64 s[16:17], s[12:13]
	s_cbranch_execz .LBB181_35
; %bb.32:
	v_mul_u32_u24_e32 v8, 9, v2
	v_lshlrev_b32_e32 v20, 2, v8
	ds_read_b32 v8, v20 offset:32
	s_movk_i32 s14, 0xff
	v_cmp_ne_u32_e64 s[14:15], s14, v2
	v_mov_b32_e32 v9, 0xc00
	s_and_saveexec_b64 s[18:19], s[14:15]
	s_cbranch_execz .LBB181_34
; %bb.33:
	ds_read_b32 v9, v20 offset:68
.LBB181_34:
	s_or_b64 exec, exec, s[18:19]
	s_waitcnt lgkmcnt(0)
	v_sub_u32_e32 v20, v9, v8
	v_mov_b32_e32 v9, 0
.LBB181_35:
	s_or_b64 exec, exec, s[16:17]
	s_waitcnt lgkmcnt(5)
	v_add_u32_e32 v26, v10, v16
	s_waitcnt lgkmcnt(4)
	v_add3_u32 v25, v19, v18, v11
	s_waitcnt lgkmcnt(3)
	v_add3_u32 v24, v23, v21, v15
	s_waitcnt lgkmcnt(2)
	v_add3_u32 v23, v28, v27, v17
	s_waitcnt lgkmcnt(1)
	v_add3_u32 v22, v30, v29, v22
	s_waitcnt lgkmcnt(0)
	v_add3_u32 v21, v32, v31, v33
	s_barrier
	ds_write_b8 v26, v5 offset:2048
	ds_write_b8 v25, v3 offset:2048
	;; [unrolled: 1-line block ×6, first 2 shown]
	s_waitcnt lgkmcnt(0)
	s_barrier
	s_and_saveexec_b64 s[16:17], s[12:13]
	s_cbranch_execz .LBB181_45
; %bb.36:
	v_lshl_or_b32 v10, s6, 8, v2
	v_mov_b32_e32 v11, 0
	v_lshlrev_b64 v[12:13], 2, v[10:11]
	v_mov_b32_e32 v3, s35
	v_add_co_u32_e64 v12, s[14:15], s34, v12
	v_addc_co_u32_e64 v13, s[14:15], v3, v13, s[14:15]
	v_or_b32_e32 v5, 2.0, v20
	global_store_dword v[12:13], v5, off
	s_mov_b64 s[18:19], 0
	s_brev_b32 s24, 1
	s_mov_b32 s25, s6
	v_mov_b32_e32 v5, 0
                                        ; implicit-def: $sgpr14_sgpr15
	s_branch .LBB181_38
.LBB181_37:                             ;   in Loop: Header=BB181_38 Depth=1
	s_or_b64 exec, exec, s[20:21]
	v_and_b32_e32 v10, 0x3fffffff, v10
	v_add_u32_e32 v5, v10, v5
	v_cmp_eq_u32_e64 s[14:15], s24, v7
	s_and_b64 s[20:21], exec, s[14:15]
	s_or_b64 s[18:19], s[20:21], s[18:19]
	s_andn2_b64 exec, exec, s[18:19]
	s_cbranch_execz .LBB181_44
.LBB181_38:                             ; =>This Loop Header: Depth=1
                                        ;     Child Loop BB181_41 Depth 2
	s_or_b64 s[14:15], s[14:15], exec
	s_cmp_eq_u32 s25, 0
	s_cbranch_scc1 .LBB181_43
; %bb.39:                               ;   in Loop: Header=BB181_38 Depth=1
	s_add_i32 s25, s25, -1
	v_lshl_or_b32 v10, s25, 8, v2
	v_lshlrev_b64 v[14:15], 2, v[10:11]
	v_add_co_u32_e64 v14, s[14:15], s34, v14
	v_addc_co_u32_e64 v15, s[14:15], v3, v15, s[14:15]
	global_load_dword v10, v[14:15], off glc
	s_waitcnt vmcnt(0)
	v_and_b32_e32 v7, -2.0, v10
	v_cmp_eq_u32_e64 s[14:15], 0, v7
	s_and_saveexec_b64 s[20:21], s[14:15]
	s_cbranch_execz .LBB181_37
; %bb.40:                               ;   in Loop: Header=BB181_38 Depth=1
	s_mov_b64 s[22:23], 0
.LBB181_41:                             ;   Parent Loop BB181_38 Depth=1
                                        ; =>  This Inner Loop Header: Depth=2
	global_load_dword v10, v[14:15], off glc
	s_waitcnt vmcnt(0)
	v_and_b32_e32 v7, -2.0, v10
	v_cmp_ne_u32_e64 s[14:15], 0, v7
	s_or_b64 s[22:23], s[14:15], s[22:23]
	s_andn2_b64 exec, exec, s[22:23]
	s_cbranch_execnz .LBB181_41
; %bb.42:                               ;   in Loop: Header=BB181_38 Depth=1
	s_or_b64 exec, exec, s[22:23]
	s_branch .LBB181_37
.LBB181_43:                             ;   in Loop: Header=BB181_38 Depth=1
                                        ; implicit-def: $sgpr25
	s_and_b64 s[20:21], exec, s[14:15]
	s_or_b64 s[18:19], s[20:21], s[18:19]
	s_andn2_b64 exec, exec, s[18:19]
	s_cbranch_execnz .LBB181_38
.LBB181_44:
	s_or_b64 exec, exec, s[18:19]
	v_add_u32_e32 v3, v5, v20
	v_or_b32_e32 v3, 0x80000000, v3
	global_store_dword v[12:13], v3, off
	v_lshlrev_b32_e32 v3, 3, v2
	global_load_dwordx2 v[10:11], v3, s[44:45]
	v_sub_co_u32_e64 v5, s[14:15], v5, v8
	v_subb_co_u32_e64 v7, s[14:15], 0, v9, s[14:15]
	s_waitcnt vmcnt(0)
	v_add_co_u32_e64 v10, s[14:15], v5, v10
	v_addc_co_u32_e64 v11, s[14:15], v7, v11, s[14:15]
	ds_write_b64 v3, v[10:11]
.LBB181_45:
	s_or_b64 exec, exec, s[16:17]
	v_cmp_gt_u32_e64 s[14:15], s50, v2
	s_waitcnt lgkmcnt(0)
	s_barrier
	s_and_saveexec_b64 s[18:19], s[14:15]
	s_cbranch_execz .LBB181_47
; %bb.46:
	ds_read_u8 v3, v2 offset:2048
	s_waitcnt lgkmcnt(0)
	v_and_b32_e32 v5, 1, v3
	v_lshrrev_b32_e32 v5, s48, v5
	v_and_b32_e32 v5, s33, v5
	v_lshlrev_b32_e32 v5, 3, v5
	ds_read_b64 v[10:11], v5
	v_mov_b32_e32 v5, s39
	s_waitcnt lgkmcnt(0)
	v_add_co_u32_e64 v7, s[16:17], s38, v10
	v_addc_co_u32_e64 v5, s[16:17], v5, v11, s[16:17]
	v_add_co_u32_e64 v10, s[16:17], v7, v2
	v_addc_co_u32_e64 v11, s[16:17], 0, v5, s[16:17]
	global_store_byte v[10:11], v3, off
.LBB181_47:
	s_or_b64 exec, exec, s[18:19]
	v_add_u32_e32 v3, 0x200, v2
	v_cmp_gt_u32_e64 s[16:17], s50, v3
	s_and_saveexec_b64 s[20:21], s[16:17]
	s_cbranch_execz .LBB181_49
; %bb.48:
	ds_read_u8 v5, v2 offset:2560
	s_waitcnt lgkmcnt(0)
	v_and_b32_e32 v7, 1, v5
	v_lshrrev_b32_e32 v7, s48, v7
	v_and_b32_e32 v7, s33, v7
	v_lshlrev_b32_e32 v7, 3, v7
	ds_read_b64 v[10:11], v7
	v_mov_b32_e32 v7, s39
	s_waitcnt lgkmcnt(0)
	v_add_co_u32_e64 v10, s[18:19], s38, v10
	v_addc_co_u32_e64 v7, s[18:19], v7, v11, s[18:19]
	v_add_co_u32_e64 v10, s[18:19], v10, v2
	v_addc_co_u32_e64 v11, s[18:19], 0, v7, s[18:19]
	global_store_byte v[10:11], v5, off offset:512
.LBB181_49:
	s_or_b64 exec, exec, s[20:21]
	v_or_b32_e32 v27, 0x400, v2
	v_cmp_gt_u32_e64 s[18:19], s50, v27
	s_and_saveexec_b64 s[22:23], s[18:19]
	s_cbranch_execz .LBB181_51
; %bb.50:
	ds_read_u8 v5, v2 offset:3072
	s_waitcnt lgkmcnt(0)
	v_and_b32_e32 v7, 1, v5
	v_lshrrev_b32_e32 v7, s48, v7
	v_and_b32_e32 v7, s33, v7
	v_lshlrev_b32_e32 v7, 3, v7
	ds_read_b64 v[10:11], v7
	v_mov_b32_e32 v7, s39
	s_waitcnt lgkmcnt(0)
	v_add_co_u32_e64 v10, s[20:21], s38, v10
	v_addc_co_u32_e64 v7, s[20:21], v7, v11, s[20:21]
	v_add_co_u32_e64 v10, s[20:21], v10, v2
	v_addc_co_u32_e64 v11, s[20:21], 0, v7, s[20:21]
	global_store_byte v[10:11], v5, off offset:1024
.LBB181_51:
	s_or_b64 exec, exec, s[22:23]
	v_add_u32_e32 v28, 0x600, v2
	v_cmp_gt_u32_e64 s[20:21], s50, v28
	s_and_saveexec_b64 s[24:25], s[20:21]
	s_cbranch_execz .LBB181_53
; %bb.52:
	ds_read_u8 v5, v2 offset:3584
	s_waitcnt lgkmcnt(0)
	v_and_b32_e32 v7, 1, v5
	v_lshrrev_b32_e32 v7, s48, v7
	v_and_b32_e32 v7, s33, v7
	v_lshlrev_b32_e32 v7, 3, v7
	ds_read_b64 v[10:11], v7
	v_mov_b32_e32 v7, s39
	s_waitcnt lgkmcnt(0)
	v_add_co_u32_e64 v10, s[22:23], s38, v10
	v_addc_co_u32_e64 v7, s[22:23], v7, v11, s[22:23]
	v_add_co_u32_e64 v10, s[22:23], v10, v2
	v_addc_co_u32_e64 v11, s[22:23], 0, v7, s[22:23]
	global_store_byte v[10:11], v5, off offset:1536
.LBB181_53:
	s_or_b64 exec, exec, s[24:25]
	v_or_b32_e32 v29, 0x800, v2
	v_cmp_gt_u32_e64 s[22:23], s50, v29
	s_and_saveexec_b64 s[28:29], s[22:23]
	s_cbranch_execz .LBB181_55
; %bb.54:
	ds_read_u8 v5, v2 offset:4096
	s_waitcnt lgkmcnt(0)
	v_and_b32_e32 v7, 1, v5
	v_lshrrev_b32_e32 v7, s48, v7
	v_and_b32_e32 v7, s33, v7
	v_lshlrev_b32_e32 v7, 3, v7
	ds_read_b64 v[10:11], v7
	v_mov_b32_e32 v7, s39
	s_waitcnt lgkmcnt(0)
	v_add_co_u32_e64 v10, s[24:25], s38, v10
	v_addc_co_u32_e64 v7, s[24:25], v7, v11, s[24:25]
	v_add_co_u32_e64 v10, s[24:25], v10, v2
	v_addc_co_u32_e64 v11, s[24:25], 0, v7, s[24:25]
	global_store_byte v[10:11], v5, off offset:2048
.LBB181_55:
	s_or_b64 exec, exec, s[28:29]
	v_add_u32_e32 v30, 0xa00, v2
	v_cmp_gt_u32_e64 s[24:25], s50, v30
	s_and_saveexec_b64 s[50:51], s[24:25]
	s_cbranch_execz .LBB181_57
; %bb.56:
	ds_read_u8 v5, v2 offset:4608
	s_waitcnt lgkmcnt(0)
	v_and_b32_e32 v7, 1, v5
	v_lshrrev_b32_e32 v7, s48, v7
	v_and_b32_e32 v7, s33, v7
	v_lshlrev_b32_e32 v7, 3, v7
	ds_read_b64 v[10:11], v7
	v_mov_b32_e32 v7, s39
	s_waitcnt lgkmcnt(0)
	v_add_co_u32_e64 v10, s[28:29], s38, v10
	v_addc_co_u32_e64 v7, s[28:29], v7, v11, s[28:29]
	v_add_co_u32_e64 v10, s[28:29], v10, v2
	v_addc_co_u32_e64 v11, s[28:29], 0, v7, s[28:29]
	global_store_byte v[10:11], v5, off offset:2560
.LBB181_57:
	s_or_b64 exec, exec, s[50:51]
	s_lshl_b64 s[28:29], s[30:31], 3
	s_add_u32 s28, s40, s28
	s_addc_u32 s29, s41, s29
	v_lshlrev_b32_e32 v5, 3, v6
	v_mov_b32_e32 v6, s29
	v_add_co_u32_e64 v5, s[28:29], s28, v5
	v_addc_co_u32_e64 v6, s[28:29], 0, v6, s[28:29]
	v_lshlrev_b32_e32 v4, 3, v4
	v_add_co_u32_e64 v18, s[28:29], v5, v4
	v_addc_co_u32_e64 v19, s[28:29], 0, v6, s[28:29]
                                        ; implicit-def: $vgpr4_vgpr5
	s_and_saveexec_b64 s[28:29], vcc
	s_xor_b64 s[28:29], exec, s[28:29]
	s_cbranch_execnz .LBB181_127
; %bb.58:
	s_or_b64 exec, exec, s[28:29]
                                        ; implicit-def: $vgpr6_vgpr7
	s_and_saveexec_b64 s[28:29], s[0:1]
	s_cbranch_execnz .LBB181_128
.LBB181_59:
	s_or_b64 exec, exec, s[28:29]
                                        ; implicit-def: $vgpr10_vgpr11
	s_and_saveexec_b64 s[0:1], s[2:3]
	s_cbranch_execnz .LBB181_129
.LBB181_60:
	s_or_b64 exec, exec, s[0:1]
                                        ; implicit-def: $vgpr12_vgpr13
	s_and_saveexec_b64 s[0:1], s[26:27]
	s_cbranch_execnz .LBB181_130
.LBB181_61:
	s_or_b64 exec, exec, s[0:1]
                                        ; implicit-def: $vgpr14_vgpr15
	s_and_saveexec_b64 s[0:1], s[8:9]
	s_cbranch_execnz .LBB181_131
.LBB181_62:
	s_or_b64 exec, exec, s[0:1]
                                        ; implicit-def: $vgpr16_vgpr17
	s_and_saveexec_b64 s[0:1], s[10:11]
	s_cbranch_execz .LBB181_64
.LBB181_63:
	global_load_dwordx2 v[16:17], v[18:19], off offset:2560
.LBB181_64:
	s_or_b64 exec, exec, s[0:1]
	v_mov_b32_e32 v32, 0
	v_mov_b32_e32 v34, 0
	s_and_saveexec_b64 s[0:1], s[14:15]
	s_cbranch_execz .LBB181_66
; %bb.65:
	ds_read_u8 v18, v2 offset:2048
	s_waitcnt lgkmcnt(0)
	v_lshrrev_b32_e32 v18, s48, v18
	v_and_b32_e32 v34, s33, v18
.LBB181_66:
	s_or_b64 exec, exec, s[0:1]
	s_and_saveexec_b64 s[0:1], s[16:17]
	s_cbranch_execz .LBB181_68
; %bb.67:
	ds_read_u8 v18, v2 offset:2560
	s_waitcnt lgkmcnt(0)
	v_lshrrev_b32_e32 v18, s48, v18
	v_and_b32_e32 v32, s33, v18
.LBB181_68:
	s_or_b64 exec, exec, s[0:1]
	v_mov_b32_e32 v19, 0
	v_mov_b32_e32 v33, 0
	s_and_saveexec_b64 s[0:1], s[18:19]
	s_cbranch_execz .LBB181_70
; %bb.69:
	ds_read_u8 v18, v2 offset:3072
	s_waitcnt lgkmcnt(0)
	v_lshrrev_b32_e32 v18, s48, v18
	v_and_b32_e32 v33, s33, v18
.LBB181_70:
	s_or_b64 exec, exec, s[0:1]
	s_and_saveexec_b64 s[0:1], s[20:21]
	s_cbranch_execz .LBB181_72
; %bb.71:
	ds_read_u8 v18, v2 offset:3584
	s_waitcnt lgkmcnt(0)
	v_lshrrev_b32_e32 v18, s48, v18
	v_and_b32_e32 v19, s33, v18
.LBB181_72:
	;; [unrolled: 20-line block ×3, first 2 shown]
	s_or_b64 exec, exec, s[0:1]
	v_lshlrev_b32_e32 v26, 3, v26
	s_barrier
	s_waitcnt vmcnt(0)
	ds_write_b64 v26, v[4:5] offset:2048
	v_lshlrev_b32_e32 v4, 3, v25
	ds_write_b64 v4, v[6:7] offset:2048
	v_lshlrev_b32_e32 v4, 3, v24
	;; [unrolled: 2-line block ×6, first 2 shown]
	s_waitcnt lgkmcnt(0)
	s_barrier
	s_and_saveexec_b64 s[0:1], s[14:15]
	s_cbranch_execnz .LBB181_132
; %bb.77:
	s_or_b64 exec, exec, s[0:1]
	s_and_saveexec_b64 s[0:1], s[16:17]
	s_cbranch_execnz .LBB181_133
.LBB181_78:
	s_or_b64 exec, exec, s[0:1]
	s_and_saveexec_b64 s[0:1], s[18:19]
	s_cbranch_execnz .LBB181_134
.LBB181_79:
	s_or_b64 exec, exec, s[0:1]
	s_and_saveexec_b64 s[0:1], s[20:21]
	s_cbranch_execnz .LBB181_135
.LBB181_80:
	s_or_b64 exec, exec, s[0:1]
	s_and_saveexec_b64 s[0:1], s[22:23]
	s_cbranch_execnz .LBB181_136
.LBB181_81:
	s_or_b64 exec, exec, s[0:1]
	s_and_saveexec_b64 s[0:1], s[24:25]
	s_cbranch_execz .LBB181_83
.LBB181_82:
	v_lshlrev_b32_e32 v3, 3, v18
	ds_read_b64 v[6:7], v3
	ds_read_b64 v[4:5], v4 offset:22528
	v_mov_b32_e32 v3, s43
	s_waitcnt lgkmcnt(1)
	v_lshlrev_b64 v[6:7], 3, v[6:7]
	v_add_co_u32_e32 v6, vcc, s42, v6
	v_addc_co_u32_e32 v3, vcc, v3, v7, vcc
	v_lshlrev_b32_e32 v7, 3, v30
	v_add_co_u32_e32 v6, vcc, v6, v7
	v_addc_co_u32_e32 v7, vcc, 0, v3, vcc
	s_waitcnt lgkmcnt(0)
	global_store_dwordx2 v[6:7], v[4:5], off
.LBB181_83:
	s_or_b64 exec, exec, s[0:1]
	s_add_i32 s7, s7, -1
	s_cmp_eq_u32 s6, s7
	s_cselect_b64 s[0:1], -1, 0
	s_and_b64 s[2:3], s[12:13], s[0:1]
	s_mov_b64 s[0:1], 0
	s_mov_b64 s[8:9], 0
                                        ; implicit-def: $vgpr4_vgpr5
	s_and_saveexec_b64 s[10:11], s[2:3]
	s_xor_b64 s[2:3], exec, s[10:11]
; %bb.84:
	v_add_co_u32_e32 v4, vcc, v8, v20
	s_mov_b64 s[8:9], exec
	v_mov_b32_e32 v3, 0
	v_addc_co_u32_e32 v5, vcc, 0, v9, vcc
; %bb.85:
	s_or_b64 exec, exec, s[2:3]
	s_and_b64 vcc, exec, s[0:1]
	s_cbranch_vccnz .LBB181_87
	s_branch .LBB181_124
.LBB181_86:
	s_mov_b64 s[8:9], 0
                                        ; implicit-def: $vgpr4_vgpr5
                                        ; implicit-def: $vgpr2_vgpr3
	s_cbranch_execz .LBB181_124
.LBB181_87:
	s_add_u32 s0, s36, s30
	v_and_b32_e32 v2, 0x3ff, v0
	s_addc_u32 s1, s37, 0
	v_mbcnt_hi_u32_b32 v6, -1, v1
	v_and_b32_e32 v16, 0x1c0, v2
	v_mov_b32_e32 v1, s1
	v_add_co_u32_e32 v3, vcc, s0, v6
	v_mul_u32_u24_e32 v4, 6, v16
	v_addc_co_u32_e32 v1, vcc, 0, v1, vcc
	v_add_co_u32_e32 v8, vcc, v3, v4
	v_addc_co_u32_e32 v9, vcc, 0, v1, vcc
	global_load_ubyte v3, v[8:9], off
	s_load_dword s0, s[4:5], 0x5c
	s_load_dword s7, s[4:5], 0x50
	s_add_u32 s1, s4, 0x50
	s_addc_u32 s2, s5, 0
	v_mov_b32_e32 v1, 0
	s_waitcnt lgkmcnt(0)
	s_lshr_b32 s3, s0, 16
	s_cmp_lt_u32 s6, s7
	s_cselect_b32 s0, 12, 18
	s_add_u32 s0, s1, s0
	s_addc_u32 s1, s2, 0
	global_load_ushort v14, v1, s[0:1]
	global_load_ubyte v5, v[8:9], off offset:64
	global_load_ubyte v10, v[8:9], off offset:128
	;; [unrolled: 1-line block ×5, first 2 shown]
	v_mul_u32_u24_e32 v7, 5, v2
	v_lshlrev_b32_e32 v7, 2, v7
	ds_write2_b32 v7, v1, v1 offset0:8 offset1:9
	ds_write2_b32 v7, v1, v1 offset0:10 offset1:11
	ds_write_b32 v7, v1 offset:48
	s_lshl_b32 s0, -1, s49
	s_not_b32 s14, s0
	v_bfe_u32 v8, v0, 10, 10
	v_bfe_u32 v0, v0, 20, 10
	v_mad_u32_u24 v0, v0, s3, v8
	s_mov_b32 s31, 0
	s_waitcnt lgkmcnt(0)
	s_barrier
	s_waitcnt lgkmcnt(0)
	; wave barrier
	s_waitcnt vmcnt(6)
	v_and_b32_e32 v1, 1, v3
	v_lshrrev_b32_e32 v1, s48, v1
	v_and_b32_e32 v1, s14, v1
	v_mul_u32_u24_e32 v15, 9, v1
	v_cmp_ne_u32_e32 vcc, 0, v1
	v_add_co_u32_e64 v1, s[0:1], -1, v1
	v_addc_co_u32_e64 v8, s[0:1], 0, -1, s[0:1]
	v_xor_b32_e32 v18, vcc_lo, v1
	v_xor_b32_e32 v17, vcc_hi, v8
	s_waitcnt vmcnt(5)
	v_mad_u64_u32 v[8:9], s[0:1], v0, v14, v[2:3]
	v_and_b32_e32 v0, exec_lo, v18
	v_and_b32_e32 v1, exec_hi, v17
	v_mbcnt_lo_u32_b32 v9, v0, 0
	v_mbcnt_hi_u32_b32 v14, v1, v9
	v_lshrrev_b32_e32 v8, 6, v8
	v_cmp_eq_u32_e32 vcc, 0, v14
	v_cmp_ne_u64_e64 s[0:1], 0, v[0:1]
	v_add_lshl_u32 v18, v8, v15, 2
	s_and_b64 s[2:3], s[0:1], vcc
	s_and_saveexec_b64 s[0:1], s[2:3]
	s_cbranch_execz .LBB181_89
; %bb.88:
	v_bcnt_u32_b32 v0, v0, 0
	v_bcnt_u32_b32 v0, v1, v0
	ds_write_b32 v18, v0 offset:32
.LBB181_89:
	s_or_b64 exec, exec, s[0:1]
	s_waitcnt vmcnt(4)
	v_lshrrev_b32_sdwa v0, s48, v5 dst_sel:DWORD dst_unused:UNUSED_PAD src0_sel:DWORD src1_sel:BYTE_0
	v_and_b32_e32 v0, s14, v0
	v_mul_u32_u24_e32 v1, 9, v0
	v_cmp_ne_u32_e32 vcc, 0, v0
	v_add_co_u32_e64 v0, s[0:1], -1, v0
	v_add_lshl_u32 v19, v8, v1, 2
	v_addc_co_u32_e64 v1, s[0:1], 0, -1, s[0:1]
	v_xor_b32_e32 v0, vcc_lo, v0
	; wave barrier
	ds_read_b32 v15, v19 offset:32
	v_xor_b32_e32 v1, vcc_hi, v1
	v_and_b32_e32 v0, exec_lo, v0
	v_and_b32_e32 v1, exec_hi, v1
	v_mbcnt_lo_u32_b32 v9, v0, 0
	v_mbcnt_hi_u32_b32 v17, v1, v9
	v_cmp_eq_u32_e32 vcc, 0, v17
	v_cmp_ne_u64_e64 s[0:1], 0, v[0:1]
	s_and_b64 s[2:3], s[0:1], vcc
	; wave barrier
	s_and_saveexec_b64 s[0:1], s[2:3]
	s_cbranch_execz .LBB181_91
; %bb.90:
	v_bcnt_u32_b32 v0, v0, 0
	v_bcnt_u32_b32 v0, v1, v0
	s_waitcnt lgkmcnt(0)
	v_add_u32_e32 v0, v15, v0
	ds_write_b32 v19, v0 offset:32
.LBB181_91:
	s_or_b64 exec, exec, s[0:1]
	s_waitcnt vmcnt(3)
	v_lshrrev_b32_sdwa v0, s48, v10 dst_sel:DWORD dst_unused:UNUSED_PAD src0_sel:DWORD src1_sel:BYTE_0
	v_and_b32_e32 v0, s14, v0
	v_mul_u32_u24_e32 v1, 9, v0
	v_cmp_ne_u32_e32 vcc, 0, v0
	v_add_co_u32_e64 v0, s[0:1], -1, v0
	v_add_lshl_u32 v23, v8, v1, 2
	v_addc_co_u32_e64 v1, s[0:1], 0, -1, s[0:1]
	v_xor_b32_e32 v0, vcc_lo, v0
	; wave barrier
	ds_read_b32 v20, v23 offset:32
	v_xor_b32_e32 v1, vcc_hi, v1
	v_and_b32_e32 v0, exec_lo, v0
	v_and_b32_e32 v1, exec_hi, v1
	v_mbcnt_lo_u32_b32 v9, v0, 0
	v_mbcnt_hi_u32_b32 v21, v1, v9
	v_cmp_eq_u32_e32 vcc, 0, v21
	v_cmp_ne_u64_e64 s[0:1], 0, v[0:1]
	s_and_b64 s[2:3], s[0:1], vcc
	; wave barrier
	s_and_saveexec_b64 s[0:1], s[2:3]
	s_cbranch_execz .LBB181_93
; %bb.92:
	v_bcnt_u32_b32 v0, v0, 0
	v_bcnt_u32_b32 v0, v1, v0
	s_waitcnt lgkmcnt(0)
	v_add_u32_e32 v0, v20, v0
	ds_write_b32 v23, v0 offset:32
.LBB181_93:
	;; [unrolled: 30-line block ×4, first 2 shown]
	s_or_b64 exec, exec, s[0:1]
	s_waitcnt vmcnt(0)
	v_lshrrev_b32_sdwa v0, s48, v13 dst_sel:DWORD dst_unused:UNUSED_PAD src0_sel:DWORD src1_sel:BYTE_0
	v_and_b32_e32 v0, s14, v0
	v_mul_u32_u24_e32 v1, 9, v0
	v_cmp_ne_u32_e32 vcc, 0, v0
	v_add_co_u32_e64 v0, s[0:1], -1, v0
	v_add_lshl_u32 v31, v8, v1, 2
	v_addc_co_u32_e64 v1, s[0:1], 0, -1, s[0:1]
	v_xor_b32_e32 v0, vcc_lo, v0
	; wave barrier
	ds_read_b32 v28, v31 offset:32
	v_xor_b32_e32 v1, vcc_hi, v1
	v_and_b32_e32 v0, exec_lo, v0
	v_and_b32_e32 v1, exec_hi, v1
	v_mbcnt_lo_u32_b32 v8, v0, 0
	v_mbcnt_hi_u32_b32 v30, v1, v8
	v_cmp_eq_u32_e32 vcc, 0, v30
	v_cmp_ne_u64_e64 s[0:1], 0, v[0:1]
	v_add_u32_e32 v32, 32, v7
	s_and_b64 s[2:3], s[0:1], vcc
	; wave barrier
	s_and_saveexec_b64 s[0:1], s[2:3]
	s_cbranch_execz .LBB181_99
; %bb.98:
	v_bcnt_u32_b32 v0, v0, 0
	v_bcnt_u32_b32 v0, v1, v0
	s_waitcnt lgkmcnt(0)
	v_add_u32_e32 v0, v28, v0
	ds_write_b32 v31, v0 offset:32
.LBB181_99:
	s_or_b64 exec, exec, s[0:1]
	; wave barrier
	s_waitcnt lgkmcnt(0)
	s_barrier
	ds_read2_b32 v[8:9], v7 offset0:8 offset1:9
	ds_read2_b32 v[0:1], v32 offset0:2 offset1:3
	ds_read_b32 v33, v32 offset:16
	v_min_u32_e32 v16, 0x1c0, v16
	v_or_b32_e32 v16, 63, v16
	s_waitcnt lgkmcnt(1)
	v_add3_u32 v34, v9, v8, v0
	s_waitcnt lgkmcnt(0)
	v_add3_u32 v33, v34, v1, v33
	v_and_b32_e32 v34, 15, v6
	v_cmp_ne_u32_e32 vcc, 0, v34
	v_mov_b32_dpp v35, v33 row_shr:1 row_mask:0xf bank_mask:0xf
	v_cndmask_b32_e32 v35, 0, v35, vcc
	v_add_u32_e32 v33, v35, v33
	v_cmp_lt_u32_e32 vcc, 1, v34
	s_nop 0
	v_mov_b32_dpp v35, v33 row_shr:2 row_mask:0xf bank_mask:0xf
	v_cndmask_b32_e32 v35, 0, v35, vcc
	v_add_u32_e32 v33, v33, v35
	v_cmp_lt_u32_e32 vcc, 3, v34
	s_nop 0
	;; [unrolled: 5-line block ×3, first 2 shown]
	v_mov_b32_dpp v35, v33 row_shr:8 row_mask:0xf bank_mask:0xf
	v_cndmask_b32_e32 v34, 0, v35, vcc
	v_add_u32_e32 v33, v33, v34
	v_bfe_i32 v35, v6, 4, 1
	v_cmp_lt_u32_e32 vcc, 31, v6
	v_mov_b32_dpp v34, v33 row_bcast:15 row_mask:0xf bank_mask:0xf
	v_and_b32_e32 v34, v35, v34
	v_add_u32_e32 v33, v33, v34
	s_nop 1
	v_mov_b32_dpp v34, v33 row_bcast:31 row_mask:0xf bank_mask:0xf
	v_cndmask_b32_e32 v34, 0, v34, vcc
	v_add_u32_e32 v33, v33, v34
	v_lshrrev_b32_e32 v34, 6, v2
	v_cmp_eq_u32_e32 vcc, v16, v2
	s_and_saveexec_b64 s[0:1], vcc
	s_cbranch_execz .LBB181_101
; %bb.100:
	v_lshlrev_b32_e32 v16, 2, v34
	ds_write_b32 v16, v33
.LBB181_101:
	s_or_b64 exec, exec, s[0:1]
	v_cmp_gt_u32_e32 vcc, 8, v2
	s_waitcnt lgkmcnt(0)
	s_barrier
	s_and_saveexec_b64 s[0:1], vcc
	s_cbranch_execz .LBB181_103
; %bb.102:
	v_lshlrev_b32_e32 v16, 2, v2
	ds_read_b32 v35, v16
	v_and_b32_e32 v36, 7, v6
	v_cmp_ne_u32_e32 vcc, 0, v36
	s_waitcnt lgkmcnt(0)
	v_mov_b32_dpp v37, v35 row_shr:1 row_mask:0xf bank_mask:0xf
	v_cndmask_b32_e32 v37, 0, v37, vcc
	v_add_u32_e32 v35, v37, v35
	v_cmp_lt_u32_e32 vcc, 1, v36
	s_nop 0
	v_mov_b32_dpp v37, v35 row_shr:2 row_mask:0xf bank_mask:0xf
	v_cndmask_b32_e32 v37, 0, v37, vcc
	v_add_u32_e32 v35, v35, v37
	v_cmp_lt_u32_e32 vcc, 3, v36
	s_nop 0
	v_mov_b32_dpp v37, v35 row_shr:4 row_mask:0xf bank_mask:0xf
	v_cndmask_b32_e32 v36, 0, v37, vcc
	v_add_u32_e32 v35, v35, v36
	ds_write_b32 v16, v35
.LBB181_103:
	s_or_b64 exec, exec, s[0:1]
	v_cmp_lt_u32_e32 vcc, 63, v2
	v_mov_b32_e32 v16, 0
	s_waitcnt lgkmcnt(0)
	s_barrier
	s_and_saveexec_b64 s[0:1], vcc
	s_cbranch_execz .LBB181_105
; %bb.104:
	v_lshl_add_u32 v16, v34, 2, -4
	ds_read_b32 v16, v16
.LBB181_105:
	s_or_b64 exec, exec, s[0:1]
	v_add_u32_e32 v34, -1, v6
	v_and_b32_e32 v35, 64, v6
	v_cmp_lt_i32_e32 vcc, v34, v35
	v_cndmask_b32_e32 v34, v34, v6, vcc
	s_waitcnt lgkmcnt(0)
	v_add_u32_e32 v33, v16, v33
	v_lshlrev_b32_e32 v34, 2, v34
	ds_bpermute_b32 v33, v34, v33
	v_cmp_eq_u32_e32 vcc, 0, v6
	s_movk_i32 s2, 0xff
	s_movk_i32 s3, 0x100
	v_cmp_lt_u32_e64 s[0:1], s2, v2
	s_waitcnt lgkmcnt(0)
	v_cndmask_b32_e32 v16, v33, v16, vcc
	v_cmp_ne_u32_e32 vcc, 0, v2
	v_cndmask_b32_e32 v16, 0, v16, vcc
	v_add_u32_e32 v8, v16, v8
	v_add_u32_e32 v9, v8, v9
	;; [unrolled: 1-line block ×4, first 2 shown]
	ds_write2_b32 v7, v16, v8 offset0:8 offset1:9
	ds_write2_b32 v32, v9, v0 offset0:2 offset1:3
	ds_write_b32 v32, v1 offset:16
	s_waitcnt lgkmcnt(0)
	s_barrier
	ds_read_b32 v8, v18 offset:32
	ds_read_b32 v9, v19 offset:32
	;; [unrolled: 1-line block ×6, first 2 shown]
	v_cmp_gt_u32_e32 vcc, s3, v2
	v_pk_mov_b32 v[0:1], 0, 0
                                        ; implicit-def: $vgpr7
	s_and_saveexec_b64 s[4:5], vcc
	s_cbranch_execz .LBB181_109
; %bb.106:
	v_mul_u32_u24_e32 v0, 9, v2
	v_lshlrev_b32_e32 v7, 2, v0
	ds_read_b32 v0, v7 offset:32
	v_cmp_ne_u32_e64 s[2:3], s2, v2
	v_mov_b32_e32 v1, 0xc00
	s_and_saveexec_b64 s[10:11], s[2:3]
	s_cbranch_execz .LBB181_108
; %bb.107:
	ds_read_b32 v1, v7 offset:68
.LBB181_108:
	s_or_b64 exec, exec, s[10:11]
	s_waitcnt lgkmcnt(0)
	v_sub_u32_e32 v7, v1, v0
	v_mov_b32_e32 v1, 0
.LBB181_109:
	s_or_b64 exec, exec, s[4:5]
	s_waitcnt lgkmcnt(5)
	v_add_u32_e32 v19, v8, v14
	s_waitcnt lgkmcnt(4)
	v_add3_u32 v18, v17, v15, v9
	s_waitcnt lgkmcnt(3)
	v_add3_u32 v17, v21, v20, v16
	;; [unrolled: 2-line block ×5, first 2 shown]
	s_barrier
	ds_write_b8 v19, v3 offset:2048
	ds_write_b8 v18, v5 offset:2048
	;; [unrolled: 1-line block ×6, first 2 shown]
	s_waitcnt lgkmcnt(0)
	s_barrier
	s_and_saveexec_b64 s[2:3], s[0:1]
	s_xor_b64 s[0:1], exec, s[2:3]
; %bb.110:
	v_mov_b32_e32 v3, 0
; %bb.111:
	s_andn2_saveexec_b64 s[2:3], s[0:1]
	s_cbranch_execz .LBB181_121
; %bb.112:
	v_lshl_or_b32 v8, s6, 8, v2
	v_mov_b32_e32 v9, 0
	v_lshlrev_b64 v[10:11], 2, v[8:9]
	v_mov_b32_e32 v3, s35
	v_add_co_u32_e64 v10, s[0:1], s34, v10
	v_addc_co_u32_e64 v11, s[0:1], v3, v11, s[0:1]
	v_or_b32_e32 v5, 2.0, v7
	global_store_dword v[10:11], v5, off
	s_mov_b64 s[4:5], 0
	s_brev_b32 s15, 1
	s_mov_b32 s16, s6
	v_mov_b32_e32 v5, 0
                                        ; implicit-def: $sgpr0_sgpr1
	s_branch .LBB181_115
.LBB181_113:                            ;   in Loop: Header=BB181_115 Depth=1
	s_or_b64 exec, exec, s[12:13]
.LBB181_114:                            ;   in Loop: Header=BB181_115 Depth=1
	s_or_b64 exec, exec, s[10:11]
	v_and_b32_e32 v12, 0x3fffffff, v20
	v_add_u32_e32 v5, v12, v5
	v_cmp_eq_u32_e64 s[0:1], s15, v8
	s_and_b64 s[10:11], exec, s[0:1]
	s_or_b64 s[4:5], s[10:11], s[4:5]
	s_andn2_b64 exec, exec, s[4:5]
	s_cbranch_execz .LBB181_120
.LBB181_115:                            ; =>This Loop Header: Depth=1
                                        ;     Child Loop BB181_118 Depth 2
	s_or_b64 s[0:1], s[0:1], exec
	s_cmp_eq_u32 s16, 0
	s_cbranch_scc1 .LBB181_119
; %bb.116:                              ;   in Loop: Header=BB181_115 Depth=1
	s_add_i32 s16, s16, -1
	v_lshl_or_b32 v8, s16, 8, v2
	v_lshlrev_b64 v[12:13], 2, v[8:9]
	v_add_co_u32_e64 v12, s[0:1], s34, v12
	v_addc_co_u32_e64 v13, s[0:1], v3, v13, s[0:1]
	global_load_dword v20, v[12:13], off glc
	s_waitcnt vmcnt(0)
	v_and_b32_e32 v8, -2.0, v20
	v_cmp_eq_u32_e64 s[0:1], 0, v8
	s_and_saveexec_b64 s[10:11], s[0:1]
	s_cbranch_execz .LBB181_114
; %bb.117:                              ;   in Loop: Header=BB181_115 Depth=1
	s_mov_b64 s[12:13], 0
.LBB181_118:                            ;   Parent Loop BB181_115 Depth=1
                                        ; =>  This Inner Loop Header: Depth=2
	global_load_dword v20, v[12:13], off glc
	s_waitcnt vmcnt(0)
	v_and_b32_e32 v8, -2.0, v20
	v_cmp_ne_u32_e64 s[0:1], 0, v8
	s_or_b64 s[12:13], s[0:1], s[12:13]
	s_andn2_b64 exec, exec, s[12:13]
	s_cbranch_execnz .LBB181_118
	s_branch .LBB181_113
.LBB181_119:                            ;   in Loop: Header=BB181_115 Depth=1
                                        ; implicit-def: $sgpr16
	s_and_b64 s[10:11], exec, s[0:1]
	s_or_b64 s[4:5], s[10:11], s[4:5]
	s_andn2_b64 exec, exec, s[4:5]
	s_cbranch_execnz .LBB181_115
.LBB181_120:
	s_or_b64 exec, exec, s[4:5]
	v_add_u32_e32 v3, v5, v7
	v_or_b32_e32 v3, 0x80000000, v3
	global_store_dword v[10:11], v3, off
	v_lshlrev_b32_e32 v10, 3, v2
	global_load_dwordx2 v[8:9], v10, s[44:45]
	v_sub_co_u32_e64 v5, s[0:1], v5, v0
	v_subb_co_u32_e64 v11, s[0:1], 0, v1, s[0:1]
	v_mov_b32_e32 v3, 0
	s_waitcnt vmcnt(0)
	v_add_co_u32_e64 v8, s[0:1], v5, v8
	v_addc_co_u32_e64 v9, s[0:1], v11, v9, s[0:1]
	ds_write_b64 v10, v[8:9]
.LBB181_121:
	s_or_b64 exec, exec, s[2:3]
	s_waitcnt lgkmcnt(0)
	s_barrier
	ds_read_u8 v32, v2 offset:2048
	ds_read_u8 v33, v2 offset:2560
	;; [unrolled: 1-line block ×6, first 2 shown]
	s_waitcnt lgkmcnt(5)
	v_and_b32_e32 v5, 1, v32
	v_lshrrev_b32_e32 v5, s48, v5
	v_and_b32_e32 v5, s14, v5
	v_lshlrev_b32_e32 v38, 3, v5
	s_waitcnt lgkmcnt(4)
	v_and_b32_e32 v5, 1, v33
	v_lshrrev_b32_e32 v5, s48, v5
	v_and_b32_e32 v5, s14, v5
	v_lshlrev_b32_e32 v39, 3, v5
	;; [unrolled: 5-line block ×3, first 2 shown]
	s_waitcnt lgkmcnt(2)
	v_and_b32_e32 v5, 1, v35
	v_lshrrev_b32_e32 v5, s48, v5
	s_lshl_b64 s[0:1], s[30:31], 3
	v_and_b32_e32 v5, s14, v5
	s_add_u32 s0, s40, s0
	v_lshlrev_b32_e32 v41, 3, v5
	s_addc_u32 s1, s41, s1
	v_lshlrev_b32_e32 v5, 3, v6
	v_mov_b32_e32 v6, s1
	v_add_co_u32_e64 v5, s[0:1], s0, v5
	v_addc_co_u32_e64 v6, s[0:1], 0, v6, s[0:1]
	v_lshlrev_b32_e32 v4, 3, v4
	v_add_co_u32_e64 v4, s[0:1], v5, v4
	v_addc_co_u32_e64 v5, s[0:1], 0, v6, s[0:1]
	ds_read_b64 v[8:9], v38
	ds_read_b64 v[10:11], v39
	;; [unrolled: 1-line block ×4, first 2 shown]
	global_load_dwordx2 v[22:23], v[4:5], off
	global_load_dwordx2 v[24:25], v[4:5], off offset:512
	global_load_dwordx2 v[26:27], v[4:5], off offset:1024
	v_mov_b32_e32 v28, s39
	s_waitcnt lgkmcnt(3)
	v_add_co_u32_e64 v6, s[0:1], s38, v8
	v_addc_co_u32_e64 v42, s[0:1], v28, v9, s[0:1]
	global_load_dwordx2 v[8:9], v[4:5], off offset:1536
	global_load_dwordx2 v[28:29], v[4:5], off offset:2048
	;; [unrolled: 1-line block ×3, first 2 shown]
	v_add_co_u32_e64 v4, s[0:1], v6, v2
	v_addc_co_u32_e64 v5, s[0:1], v42, v3, s[0:1]
	global_store_byte v[4:5], v32, off
	v_mov_b32_e32 v4, s39
	s_waitcnt lgkmcnt(2)
	v_add_co_u32_e64 v5, s[0:1], s38, v10
	v_addc_co_u32_e64 v10, s[0:1], v4, v11, s[0:1]
	v_add_co_u32_e64 v4, s[0:1], v5, v2
	v_addc_co_u32_e64 v5, s[0:1], v10, v3, s[0:1]
	global_store_byte v[4:5], v33, off offset:512
	v_mov_b32_e32 v4, s39
	s_waitcnt lgkmcnt(1)
	v_add_co_u32_e64 v5, s[0:1], s38, v12
	v_addc_co_u32_e64 v10, s[0:1], v4, v13, s[0:1]
	v_add_co_u32_e64 v4, s[0:1], v5, v2
	v_addc_co_u32_e64 v5, s[0:1], v10, v3, s[0:1]
	global_store_byte v[4:5], v34, off offset:1024
	;; [unrolled: 7-line block ×3, first 2 shown]
	v_and_b32_e32 v4, 1, v36
	v_lshrrev_b32_e32 v4, s48, v4
	v_and_b32_e32 v4, s14, v4
	v_lshlrev_b32_e32 v20, 3, v4
	v_and_b32_e32 v4, 1, v37
	v_lshrrev_b32_e32 v10, s48, v4
	ds_read_b64 v[4:5], v20
	v_and_b32_e32 v10, s14, v10
	v_lshlrev_b32_e32 v32, 3, v10
	ds_read_b64 v[10:11], v32
	v_mov_b32_e32 v12, s39
	s_waitcnt lgkmcnt(1)
	v_add_co_u32_e64 v4, s[0:1], s38, v4
	v_addc_co_u32_e64 v5, s[0:1], v12, v5, s[0:1]
	v_add_co_u32_e64 v4, s[0:1], v4, v2
	v_addc_co_u32_e64 v5, s[0:1], v5, v3, s[0:1]
	global_store_byte v[4:5], v36, off offset:2048
	v_mov_b32_e32 v4, s39
	s_waitcnt lgkmcnt(0)
	v_add_co_u32_e64 v5, s[0:1], s38, v10
	v_addc_co_u32_e64 v10, s[0:1], v4, v11, s[0:1]
	v_add_co_u32_e64 v4, s[0:1], v5, v2
	v_addc_co_u32_e64 v5, s[0:1], v10, v3, s[0:1]
	global_store_byte v[4:5], v37, off offset:2560
	v_lshlrev_b32_e32 v4, 3, v19
	s_barrier
	v_or_b32_e32 v6, 0x800, v2
	v_mad_u32_u24 v6, v2, 7, v6
	s_waitcnt vmcnt(11)
	ds_write_b64 v4, v[22:23] offset:2048
	v_lshlrev_b32_e32 v4, 3, v18
	s_waitcnt vmcnt(10)
	ds_write_b64 v4, v[24:25] offset:2048
	v_lshlrev_b32_e32 v4, 3, v17
	;; [unrolled: 3-line block ×5, first 2 shown]
	s_waitcnt vmcnt(6)
	ds_write_b64 v4, v[30:31] offset:2048
	s_waitcnt lgkmcnt(0)
	s_barrier
	ds_read_b64 v[4:5], v38
	v_mov_b32_e32 v9, s43
	v_lshlrev_b32_e32 v8, 3, v2
	ds_read_b64 v[12:13], v39
	ds_read_b64 v[14:15], v40
	ds_read_b64 v[16:17], v41
	v_lshlrev_b32_e32 v33, 3, v2
	s_waitcnt lgkmcnt(3)
	v_lshlrev_b64 v[4:5], 3, v[4:5]
	v_add_co_u32_e64 v10, s[0:1], s42, v4
	v_addc_co_u32_e64 v9, s[0:1], v9, v5, s[0:1]
	v_lshlrev_b64 v[4:5], 3, v[2:3]
	v_add_co_u32_e64 v4, s[0:1], v10, v4
	v_addc_co_u32_e64 v5, s[0:1], v9, v5, s[0:1]
	ds_read_b64 v[8:9], v8 offset:2048
	ds_read_b64 v[18:19], v20
	ds_read_b64 v[20:21], v6 offset:20480
	ds_read_b64 v[22:23], v32
	s_add_i32 s7, s7, -1
	s_cmp_eq_u32 s6, s7
	s_waitcnt lgkmcnt(3)
	global_store_dwordx2 v[4:5], v[8:9], off
	ds_read2st64_b64 v[8:11], v6 offset0:8 offset1:16
	v_lshlrev_b64 v[4:5], 3, v[12:13]
	v_mov_b32_e32 v12, s43
	v_add_co_u32_e64 v4, s[0:1], s42, v4
	v_addc_co_u32_e64 v5, s[0:1], v12, v5, s[0:1]
	v_add_u32_e32 v12, 0x1000, v33
	v_add_co_u32_e64 v4, s[0:1], v4, v12
	v_addc_co_u32_e64 v5, s[0:1], 0, v5, s[0:1]
	s_waitcnt lgkmcnt(0)
	global_store_dwordx2 v[4:5], v[8:9], off
	v_lshlrev_b64 v[4:5], 3, v[14:15]
	v_mov_b32_e32 v8, s43
	v_add_co_u32_e64 v4, s[0:1], s42, v4
	v_addc_co_u32_e64 v5, s[0:1], v8, v5, s[0:1]
	v_or_b32_e32 v8, 0x2000, v33
	v_add_co_u32_e64 v4, s[0:1], v4, v8
	v_addc_co_u32_e64 v5, s[0:1], 0, v5, s[0:1]
	global_store_dwordx2 v[4:5], v[10:11], off
	ds_read2st64_b64 v[8:11], v6 offset0:24 offset1:32
	v_lshlrev_b64 v[4:5], 3, v[16:17]
	v_mov_b32_e32 v6, s43
	v_add_co_u32_e64 v4, s[0:1], s42, v4
	v_addc_co_u32_e64 v5, s[0:1], v6, v5, s[0:1]
	v_add_u32_e32 v6, 0x3000, v33
	v_add_co_u32_e64 v4, s[0:1], v4, v6
	v_addc_co_u32_e64 v5, s[0:1], 0, v5, s[0:1]
	s_waitcnt lgkmcnt(0)
	global_store_dwordx2 v[4:5], v[8:9], off
	v_lshlrev_b64 v[4:5], 3, v[18:19]
	v_mov_b32_e32 v6, s43
	v_add_co_u32_e64 v4, s[0:1], s42, v4
	v_addc_co_u32_e64 v5, s[0:1], v6, v5, s[0:1]
	v_or_b32_e32 v6, 0x4000, v33
	v_add_co_u32_e64 v4, s[0:1], v4, v6
	v_addc_co_u32_e64 v5, s[0:1], 0, v5, s[0:1]
	global_store_dwordx2 v[4:5], v[10:11], off
	v_lshlrev_b64 v[4:5], 3, v[22:23]
	v_mov_b32_e32 v6, s43
	v_add_co_u32_e64 v4, s[0:1], s42, v4
	v_addc_co_u32_e64 v5, s[0:1], v6, v5, s[0:1]
	v_add_u32_e32 v6, 0x5000, v33
	v_add_co_u32_e64 v4, s[0:1], v4, v6
	v_addc_co_u32_e64 v5, s[0:1], 0, v5, s[0:1]
	s_cselect_b64 s[0:1], -1, 0
	s_and_b64 s[2:3], vcc, s[0:1]
	global_store_dwordx2 v[4:5], v[20:21], off
                                        ; implicit-def: $vgpr4_vgpr5
	s_and_saveexec_b64 s[0:1], s[2:3]
; %bb.122:
	v_add_co_u32_e32 v4, vcc, v0, v7
	v_addc_co_u32_e32 v5, vcc, 0, v1, vcc
	s_or_b64 s[8:9], s[8:9], exec
; %bb.123:
	s_or_b64 exec, exec, s[0:1]
.LBB181_124:
	s_and_saveexec_b64 s[0:1], s[8:9]
	s_cbranch_execnz .LBB181_126
; %bb.125:
	s_endpgm
.LBB181_126:
	v_lshlrev_b32_e32 v6, 3, v2
	v_lshlrev_b64 v[0:1], 3, v[2:3]
	ds_read_b64 v[2:3], v6
	v_mov_b32_e32 v7, s47
	v_add_co_u32_e32 v0, vcc, s46, v0
	v_addc_co_u32_e32 v1, vcc, v7, v1, vcc
	s_waitcnt lgkmcnt(0)
	v_add_co_u32_e32 v2, vcc, v2, v4
	v_addc_co_u32_e32 v3, vcc, v3, v5, vcc
	global_store_dwordx2 v[0:1], v[2:3], off
	s_endpgm
.LBB181_127:
	global_load_dwordx2 v[4:5], v[18:19], off
	s_or_b64 exec, exec, s[28:29]
                                        ; implicit-def: $vgpr6_vgpr7
	s_and_saveexec_b64 s[28:29], s[0:1]
	s_cbranch_execz .LBB181_59
.LBB181_128:
	global_load_dwordx2 v[6:7], v[18:19], off offset:512
	s_or_b64 exec, exec, s[28:29]
                                        ; implicit-def: $vgpr10_vgpr11
	s_and_saveexec_b64 s[0:1], s[2:3]
	s_cbranch_execz .LBB181_60
.LBB181_129:
	global_load_dwordx2 v[10:11], v[18:19], off offset:1024
	s_or_b64 exec, exec, s[0:1]
                                        ; implicit-def: $vgpr12_vgpr13
	s_and_saveexec_b64 s[0:1], s[26:27]
	s_cbranch_execz .LBB181_61
.LBB181_130:
	global_load_dwordx2 v[12:13], v[18:19], off offset:1536
	s_or_b64 exec, exec, s[0:1]
                                        ; implicit-def: $vgpr14_vgpr15
	s_and_saveexec_b64 s[0:1], s[8:9]
	s_cbranch_execz .LBB181_62
.LBB181_131:
	global_load_dwordx2 v[14:15], v[18:19], off offset:2048
	s_or_b64 exec, exec, s[0:1]
                                        ; implicit-def: $vgpr16_vgpr17
	s_and_saveexec_b64 s[0:1], s[10:11]
	s_cbranch_execnz .LBB181_63
	s_branch .LBB181_64
.LBB181_132:
	v_lshlrev_b32_e32 v5, 3, v34
	ds_read_b64 v[6:7], v5
	ds_read_b64 v[10:11], v4 offset:2048
	v_mov_b32_e32 v5, s43
	s_waitcnt lgkmcnt(1)
	v_lshlrev_b64 v[6:7], 3, v[6:7]
	v_add_co_u32_e32 v6, vcc, s42, v6
	v_addc_co_u32_e32 v5, vcc, v5, v7, vcc
	v_add_co_u32_e32 v6, vcc, v6, v4
	v_addc_co_u32_e32 v7, vcc, 0, v5, vcc
	s_waitcnt lgkmcnt(0)
	global_store_dwordx2 v[6:7], v[10:11], off
	s_or_b64 exec, exec, s[0:1]
	s_and_saveexec_b64 s[0:1], s[16:17]
	s_cbranch_execz .LBB181_78
.LBB181_133:
	v_lshlrev_b32_e32 v5, 3, v32
	ds_read_b64 v[6:7], v5
	ds_read_b64 v[10:11], v4 offset:6144
	v_mov_b32_e32 v5, s43
	v_lshlrev_b32_e32 v3, 3, v3
	s_waitcnt lgkmcnt(1)
	v_lshlrev_b64 v[6:7], 3, v[6:7]
	v_add_co_u32_e32 v6, vcc, s42, v6
	v_addc_co_u32_e32 v5, vcc, v5, v7, vcc
	v_add_co_u32_e32 v6, vcc, v6, v3
	v_addc_co_u32_e32 v7, vcc, 0, v5, vcc
	s_waitcnt lgkmcnt(0)
	global_store_dwordx2 v[6:7], v[10:11], off
	s_or_b64 exec, exec, s[0:1]
	s_and_saveexec_b64 s[0:1], s[18:19]
	s_cbranch_execz .LBB181_79
.LBB181_134:
	v_lshlrev_b32_e32 v3, 3, v33
	ds_read_b64 v[6:7], v3
	ds_read_b64 v[10:11], v4 offset:10240
	v_mov_b32_e32 v3, s43
	s_waitcnt lgkmcnt(1)
	v_lshlrev_b64 v[6:7], 3, v[6:7]
	v_add_co_u32_e32 v5, vcc, s42, v6
	v_addc_co_u32_e32 v3, vcc, v3, v7, vcc
	v_lshlrev_b32_e32 v6, 3, v27
	v_add_co_u32_e32 v6, vcc, v5, v6
	v_addc_co_u32_e32 v7, vcc, 0, v3, vcc
	s_waitcnt lgkmcnt(0)
	global_store_dwordx2 v[6:7], v[10:11], off
	s_or_b64 exec, exec, s[0:1]
	s_and_saveexec_b64 s[0:1], s[20:21]
	s_cbranch_execz .LBB181_80
.LBB181_135:
	v_lshlrev_b32_e32 v3, 3, v19
	ds_read_b64 v[6:7], v3
	ds_read_b64 v[10:11], v4 offset:14336
	v_mov_b32_e32 v3, s43
	s_waitcnt lgkmcnt(1)
	v_lshlrev_b64 v[6:7], 3, v[6:7]
	v_add_co_u32_e32 v5, vcc, s42, v6
	v_addc_co_u32_e32 v3, vcc, v3, v7, vcc
	v_lshlrev_b32_e32 v6, 3, v28
	v_add_co_u32_e32 v6, vcc, v5, v6
	v_addc_co_u32_e32 v7, vcc, 0, v3, vcc
	s_waitcnt lgkmcnt(0)
	global_store_dwordx2 v[6:7], v[10:11], off
	s_or_b64 exec, exec, s[0:1]
	s_and_saveexec_b64 s[0:1], s[22:23]
	s_cbranch_execz .LBB181_81
.LBB181_136:
	v_lshlrev_b32_e32 v3, 3, v31
	ds_read_b64 v[6:7], v3
	ds_read_b64 v[10:11], v4 offset:18432
	v_mov_b32_e32 v3, s43
	s_waitcnt lgkmcnt(1)
	v_lshlrev_b64 v[6:7], 3, v[6:7]
	v_add_co_u32_e32 v5, vcc, s42, v6
	v_addc_co_u32_e32 v3, vcc, v3, v7, vcc
	v_lshlrev_b32_e32 v6, 3, v29
	v_add_co_u32_e32 v6, vcc, v5, v6
	v_addc_co_u32_e32 v7, vcc, 0, v3, vcc
	s_waitcnt lgkmcnt(0)
	global_store_dwordx2 v[6:7], v[10:11], off
	s_or_b64 exec, exec, s[0:1]
	s_and_saveexec_b64 s[0:1], s[24:25]
	s_cbranch_execnz .LBB181_82
	s_branch .LBB181_83
	.section	.rodata,"a",@progbits
	.p2align	6, 0x0
	.amdhsa_kernel _ZN7rocprim17ROCPRIM_304000_NS6detail25onesweep_iteration_kernelINS1_34wrapped_radix_sort_onesweep_configINS0_14default_configEbN2at4cuda3cub6detail10OpaqueTypeILi8EEEEELb0EPbSC_PSA_SD_mNS0_19identity_decomposerEEEvT1_T2_T3_T4_jPT5_SK_PNS1_23onesweep_lookback_stateET6_jjj
		.amdhsa_group_segment_fixed_size 26624
		.amdhsa_private_segment_fixed_size 0
		.amdhsa_kernarg_size 336
		.amdhsa_user_sgpr_count 6
		.amdhsa_user_sgpr_private_segment_buffer 1
		.amdhsa_user_sgpr_dispatch_ptr 0
		.amdhsa_user_sgpr_queue_ptr 0
		.amdhsa_user_sgpr_kernarg_segment_ptr 1
		.amdhsa_user_sgpr_dispatch_id 0
		.amdhsa_user_sgpr_flat_scratch_init 0
		.amdhsa_user_sgpr_kernarg_preload_length 0
		.amdhsa_user_sgpr_kernarg_preload_offset 0
		.amdhsa_user_sgpr_private_segment_size 0
		.amdhsa_uses_dynamic_stack 0
		.amdhsa_system_sgpr_private_segment_wavefront_offset 0
		.amdhsa_system_sgpr_workgroup_id_x 1
		.amdhsa_system_sgpr_workgroup_id_y 0
		.amdhsa_system_sgpr_workgroup_id_z 0
		.amdhsa_system_sgpr_workgroup_info 0
		.amdhsa_system_vgpr_workitem_id 2
		.amdhsa_next_free_vgpr 43
		.amdhsa_next_free_sgpr 52
		.amdhsa_accum_offset 44
		.amdhsa_reserve_vcc 1
		.amdhsa_reserve_flat_scratch 0
		.amdhsa_float_round_mode_32 0
		.amdhsa_float_round_mode_16_64 0
		.amdhsa_float_denorm_mode_32 3
		.amdhsa_float_denorm_mode_16_64 3
		.amdhsa_dx10_clamp 1
		.amdhsa_ieee_mode 1
		.amdhsa_fp16_overflow 0
		.amdhsa_tg_split 0
		.amdhsa_exception_fp_ieee_invalid_op 0
		.amdhsa_exception_fp_denorm_src 0
		.amdhsa_exception_fp_ieee_div_zero 0
		.amdhsa_exception_fp_ieee_overflow 0
		.amdhsa_exception_fp_ieee_underflow 0
		.amdhsa_exception_fp_ieee_inexact 0
		.amdhsa_exception_int_div_zero 0
	.end_amdhsa_kernel
	.section	.text._ZN7rocprim17ROCPRIM_304000_NS6detail25onesweep_iteration_kernelINS1_34wrapped_radix_sort_onesweep_configINS0_14default_configEbN2at4cuda3cub6detail10OpaqueTypeILi8EEEEELb0EPbSC_PSA_SD_mNS0_19identity_decomposerEEEvT1_T2_T3_T4_jPT5_SK_PNS1_23onesweep_lookback_stateET6_jjj,"axG",@progbits,_ZN7rocprim17ROCPRIM_304000_NS6detail25onesweep_iteration_kernelINS1_34wrapped_radix_sort_onesweep_configINS0_14default_configEbN2at4cuda3cub6detail10OpaqueTypeILi8EEEEELb0EPbSC_PSA_SD_mNS0_19identity_decomposerEEEvT1_T2_T3_T4_jPT5_SK_PNS1_23onesweep_lookback_stateET6_jjj,comdat
.Lfunc_end181:
	.size	_ZN7rocprim17ROCPRIM_304000_NS6detail25onesweep_iteration_kernelINS1_34wrapped_radix_sort_onesweep_configINS0_14default_configEbN2at4cuda3cub6detail10OpaqueTypeILi8EEEEELb0EPbSC_PSA_SD_mNS0_19identity_decomposerEEEvT1_T2_T3_T4_jPT5_SK_PNS1_23onesweep_lookback_stateET6_jjj, .Lfunc_end181-_ZN7rocprim17ROCPRIM_304000_NS6detail25onesweep_iteration_kernelINS1_34wrapped_radix_sort_onesweep_configINS0_14default_configEbN2at4cuda3cub6detail10OpaqueTypeILi8EEEEELb0EPbSC_PSA_SD_mNS0_19identity_decomposerEEEvT1_T2_T3_T4_jPT5_SK_PNS1_23onesweep_lookback_stateET6_jjj
                                        ; -- End function
	.section	.AMDGPU.csdata,"",@progbits
; Kernel info:
; codeLenInByte = 8096
; NumSgprs: 56
; NumVgprs: 43
; NumAgprs: 0
; TotalNumVgprs: 43
; ScratchSize: 0
; MemoryBound: 0
; FloatMode: 240
; IeeeMode: 1
; LDSByteSize: 26624 bytes/workgroup (compile time only)
; SGPRBlocks: 6
; VGPRBlocks: 5
; NumSGPRsForWavesPerEU: 56
; NumVGPRsForWavesPerEU: 43
; AccumOffset: 44
; Occupancy: 4
; WaveLimiterHint : 1
; COMPUTE_PGM_RSRC2:SCRATCH_EN: 0
; COMPUTE_PGM_RSRC2:USER_SGPR: 6
; COMPUTE_PGM_RSRC2:TRAP_HANDLER: 0
; COMPUTE_PGM_RSRC2:TGID_X_EN: 1
; COMPUTE_PGM_RSRC2:TGID_Y_EN: 0
; COMPUTE_PGM_RSRC2:TGID_Z_EN: 0
; COMPUTE_PGM_RSRC2:TIDIG_COMP_CNT: 2
; COMPUTE_PGM_RSRC3_GFX90A:ACCUM_OFFSET: 10
; COMPUTE_PGM_RSRC3_GFX90A:TG_SPLIT: 0
	.section	.text._ZN7rocprim17ROCPRIM_304000_NS6detail28radix_sort_block_sort_kernelINS1_36wrapped_radix_sort_block_sort_configINS0_13kernel_configILj256ELj4ELj4294967295EEE6__halfN2at4cuda3cub6detail10OpaqueTypeILi8EEEEELb1EPKS6_PS6_PKSC_PSC_NS0_19identity_decomposerEEEvT1_T2_T3_T4_jT5_jj,"axG",@progbits,_ZN7rocprim17ROCPRIM_304000_NS6detail28radix_sort_block_sort_kernelINS1_36wrapped_radix_sort_block_sort_configINS0_13kernel_configILj256ELj4ELj4294967295EEE6__halfN2at4cuda3cub6detail10OpaqueTypeILi8EEEEELb1EPKS6_PS6_PKSC_PSC_NS0_19identity_decomposerEEEvT1_T2_T3_T4_jT5_jj,comdat
	.protected	_ZN7rocprim17ROCPRIM_304000_NS6detail28radix_sort_block_sort_kernelINS1_36wrapped_radix_sort_block_sort_configINS0_13kernel_configILj256ELj4ELj4294967295EEE6__halfN2at4cuda3cub6detail10OpaqueTypeILi8EEEEELb1EPKS6_PS6_PKSC_PSC_NS0_19identity_decomposerEEEvT1_T2_T3_T4_jT5_jj ; -- Begin function _ZN7rocprim17ROCPRIM_304000_NS6detail28radix_sort_block_sort_kernelINS1_36wrapped_radix_sort_block_sort_configINS0_13kernel_configILj256ELj4ELj4294967295EEE6__halfN2at4cuda3cub6detail10OpaqueTypeILi8EEEEELb1EPKS6_PS6_PKSC_PSC_NS0_19identity_decomposerEEEvT1_T2_T3_T4_jT5_jj
	.globl	_ZN7rocprim17ROCPRIM_304000_NS6detail28radix_sort_block_sort_kernelINS1_36wrapped_radix_sort_block_sort_configINS0_13kernel_configILj256ELj4ELj4294967295EEE6__halfN2at4cuda3cub6detail10OpaqueTypeILi8EEEEELb1EPKS6_PS6_PKSC_PSC_NS0_19identity_decomposerEEEvT1_T2_T3_T4_jT5_jj
	.p2align	8
	.type	_ZN7rocprim17ROCPRIM_304000_NS6detail28radix_sort_block_sort_kernelINS1_36wrapped_radix_sort_block_sort_configINS0_13kernel_configILj256ELj4ELj4294967295EEE6__halfN2at4cuda3cub6detail10OpaqueTypeILi8EEEEELb1EPKS6_PS6_PKSC_PSC_NS0_19identity_decomposerEEEvT1_T2_T3_T4_jT5_jj,@function
_ZN7rocprim17ROCPRIM_304000_NS6detail28radix_sort_block_sort_kernelINS1_36wrapped_radix_sort_block_sort_configINS0_13kernel_configILj256ELj4ELj4294967295EEE6__halfN2at4cuda3cub6detail10OpaqueTypeILi8EEEEELb1EPKS6_PS6_PKSC_PSC_NS0_19identity_decomposerEEEvT1_T2_T3_T4_jT5_jj: ; @_ZN7rocprim17ROCPRIM_304000_NS6detail28radix_sort_block_sort_kernelINS1_36wrapped_radix_sort_block_sort_configINS0_13kernel_configILj256ELj4ELj4294967295EEE6__halfN2at4cuda3cub6detail10OpaqueTypeILi8EEEEELb1EPKS6_PS6_PKSC_PSC_NS0_19identity_decomposerEEEvT1_T2_T3_T4_jT5_jj
; %bb.0:
	s_load_dword s2, s[4:5], 0x20
	s_load_dwordx8 s[36:43], s[4:5], 0x0
	s_lshl_b32 s28, s6, 10
	s_mov_b32 s29, 0
	v_mbcnt_lo_u32_b32 v1, -1, 0
	s_waitcnt lgkmcnt(0)
	s_lshr_b32 s0, s2, 10
	s_cmp_lg_u32 s6, s0
	s_cselect_b64 s[30:31], -1, 0
	s_lshl_b64 s[34:35], s[28:29], 1
	v_and_b32_e32 v8, 0x3ff, v0
	s_add_u32 s1, s36, s34
	v_mbcnt_hi_u32_b32 v1, -1, v1
	s_addc_u32 s3, s37, s35
	v_lshlrev_b32_e32 v6, 2, v8
	v_lshlrev_b32_e32 v2, 1, v1
	v_and_b32_e32 v7, 0x300, v6
	v_mov_b32_e32 v3, s3
	v_add_co_u32_e32 v2, vcc, s1, v2
	v_addc_co_u32_e32 v3, vcc, 0, v3, vcc
	v_lshlrev_b32_e32 v4, 1, v7
	v_add_co_u32_e32 v4, vcc, v2, v4
	s_cmp_eq_u32 s6, s0
	v_addc_co_u32_e32 v5, vcc, 0, v3, vcc
	v_lshlrev_b32_e32 v17, 3, v1
	v_lshlrev_b32_e32 v16, 3, v7
	v_add_u32_e32 v9, v1, v7
	s_cbranch_scc1 .LBB182_2
; %bb.1:
	s_lshl_b64 s[0:1], s[28:29], 3
	s_add_u32 s0, s40, s0
	s_addc_u32 s1, s41, s1
	v_mov_b32_e32 v2, s1
	v_add_co_u32_e32 v3, vcc, s0, v17
	v_addc_co_u32_e32 v2, vcc, 0, v2, vcc
	v_add_co_u32_e32 v12, vcc, v3, v16
	v_addc_co_u32_e32 v13, vcc, 0, v2, vcc
	global_load_ushort v11, v[4:5], off
	global_load_ushort v10, v[4:5], off offset:128
	global_load_ushort v15, v[4:5], off offset:256
	;; [unrolled: 1-line block ×3, first 2 shown]
	global_load_dwordx2 v[2:3], v[12:13], off
	global_load_dwordx2 v[20:21], v[12:13], off offset:512
	global_load_dwordx2 v[22:23], v[12:13], off offset:1024
	;; [unrolled: 1-line block ×3, first 2 shown]
	v_add_u32_e32 v18, v1, v7
	v_add_u32_e32 v7, 64, v18
	;; [unrolled: 1-line block ×4, first 2 shown]
	s_sub_i32 s33, s2, s28
	s_cbranch_execz .LBB182_3
	s_branch .LBB182_17
.LBB182_2:
                                        ; implicit-def: $vgpr2_vgpr3
                                        ; implicit-def: $vgpr20_vgpr21
                                        ; implicit-def: $vgpr22_vgpr23
                                        ; implicit-def: $vgpr24_vgpr25
                                        ; implicit-def: $vgpr11
                                        ; implicit-def: $vgpr10
                                        ; implicit-def: $vgpr15
                                        ; implicit-def: $vgpr14
                                        ; implicit-def: $vgpr18
                                        ; implicit-def: $vgpr7
                                        ; implicit-def: $vgpr12
                                        ; implicit-def: $vgpr13
	s_sub_i32 s33, s2, s28
.LBB182_3:
	v_cmp_gt_u32_e32 vcc, s33, v9
	s_waitcnt vmcnt(6)
	v_mov_b32_e32 v10, -1
	v_mov_b32_e32 v11, -1
	s_and_saveexec_b64 s[0:1], vcc
	s_cbranch_execz .LBB182_5
; %bb.4:
	global_load_ushort v11, v[4:5], off
.LBB182_5:
	s_or_b64 exec, exec, s[0:1]
	v_add_u32_e32 v7, 64, v9
	v_cmp_gt_u32_e64 s[0:1], s33, v7
	s_and_saveexec_b64 s[2:3], s[0:1]
	s_cbranch_execz .LBB182_7
; %bb.6:
	global_load_ushort v10, v[4:5], off offset:128
.LBB182_7:
	s_or_b64 exec, exec, s[2:3]
	v_add_u32_e32 v12, 0x80, v9
	v_cmp_gt_u32_e64 s[2:3], s33, v12
	s_waitcnt vmcnt(4)
	v_mov_b32_e32 v14, -1
	v_mov_b32_e32 v15, -1
	s_and_saveexec_b64 s[6:7], s[2:3]
	s_cbranch_execz .LBB182_9
; %bb.8:
	global_load_ushort v15, v[4:5], off offset:256
.LBB182_9:
	s_or_b64 exec, exec, s[6:7]
	v_add_u32_e32 v13, 0xc0, v9
	v_cmp_gt_u32_e64 s[6:7], s33, v13
	s_and_saveexec_b64 s[8:9], s[6:7]
	s_cbranch_execz .LBB182_11
; %bb.10:
	global_load_ushort v14, v[4:5], off offset:384
.LBB182_11:
	s_or_b64 exec, exec, s[8:9]
	s_lshl_b64 s[8:9], s[28:29], 3
	s_add_u32 s8, s40, s8
	s_addc_u32 s9, s41, s9
	s_waitcnt vmcnt(3)
	v_mov_b32_e32 v2, s9
	v_add_co_u32_e64 v3, s[8:9], s8, v17
	v_addc_co_u32_e64 v2, s[8:9], 0, v2, s[8:9]
	v_add_co_u32_e64 v4, s[8:9], v3, v16
	v_addc_co_u32_e64 v5, s[8:9], 0, v2, s[8:9]
                                        ; implicit-def: $vgpr2_vgpr3
	s_and_saveexec_b64 s[8:9], vcc
	s_cbranch_execnz .LBB182_54
; %bb.12:
	s_or_b64 exec, exec, s[8:9]
                                        ; implicit-def: $vgpr20_vgpr21
	s_and_saveexec_b64 s[8:9], s[0:1]
	s_cbranch_execnz .LBB182_55
.LBB182_13:
	s_or_b64 exec, exec, s[8:9]
                                        ; implicit-def: $vgpr22_vgpr23
	s_and_saveexec_b64 s[0:1], s[2:3]
	s_cbranch_execnz .LBB182_56
.LBB182_14:
	s_or_b64 exec, exec, s[0:1]
                                        ; implicit-def: $vgpr24_vgpr25
	s_and_saveexec_b64 s[0:1], s[6:7]
	s_cbranch_execz .LBB182_16
.LBB182_15:
	global_load_dwordx2 v[24:25], v[4:5], off offset:1536
.LBB182_16:
	s_or_b64 exec, exec, s[0:1]
	v_mov_b32_e32 v18, v9
.LBB182_17:
	s_load_dwordx2 s[36:37], s[4:5], 0x28
	s_load_dword s0, s[4:5], 0x3c
	v_mov_b32_e32 v9, 0x7fff
	s_waitcnt vmcnt(0)
	v_cmp_gt_i16_e32 vcc, 0, v11
	v_cndmask_b32_e64 v4, v9, 0, vcc
	v_cmp_gt_i16_e32 vcc, 0, v10
	v_xor_b32_e32 v19, v4, v11
	v_cndmask_b32_e64 v4, v9, 0, vcc
	v_cmp_gt_i16_e32 vcc, 0, v15
	v_xor_b32_e32 v47, v4, v10
	;; [unrolled: 3-line block ×3, first 2 shown]
	v_cndmask_b32_e64 v4, v9, 0, vcc
	v_xor_b32_e32 v49, v4, v14
	s_waitcnt lgkmcnt(0)
	s_lshr_b32 s1, s0, 16
	v_bfe_u32 v4, v0, 10, 10
	v_bfe_u32 v0, v0, 20, 10
	s_and_b32 s0, s0, 0xffff
	v_mad_u32_u24 v0, v0, s1, v4
	v_mad_u64_u32 v[4:5], s[0:1], v0, s0, v[8:9]
	v_and_b32_e32 v0, 15, v1
	v_cmp_eq_u32_e64 s[0:1], 0, v0
	v_cmp_lt_u32_e64 s[2:3], 1, v0
	v_cmp_lt_u32_e64 s[4:5], 3, v0
	;; [unrolled: 1-line block ×3, first 2 shown]
	v_and_b32_e32 v0, 16, v1
	v_cmp_eq_u32_e64 s[8:9], 0, v0
	v_and_b32_e32 v0, 0x3c0, v8
	v_min_u32_e32 v0, 0xc0, v0
	v_or_b32_e32 v0, 63, v0
	v_lshrrev_b32_e32 v29, 6, v4
	v_cmp_eq_u32_e64 s[12:13], v0, v8
	v_add_u32_e32 v0, -1, v1
	v_and_b32_e32 v4, 64, v1
	v_cmp_lt_i32_e32 vcc, v0, v4
	v_cndmask_b32_e32 v0, v0, v1, vcc
	s_mov_b32 s26, 0
	v_cmp_lt_u32_e64 s[10:11], 31, v1
	v_lshlrev_b32_e32 v31, 2, v0
	v_cmp_eq_u32_e64 s[18:19], 0, v1
	v_lshrrev_b32_e32 v0, 4, v8
	v_and_b32_e32 v1, 3, v1
	v_lshlrev_b32_e32 v27, 2, v6
	v_and_b32_e32 v32, 60, v0
	v_mul_i32_i24_e32 v0, -12, v8
	v_cmp_eq_u32_e64 s[22:23], 0, v1
	v_cmp_lt_u32_e64 s[24:25], 1, v1
	v_lshlrev_b32_e32 v34, 1, v18
	v_lshlrev_b32_e32 v35, 1, v7
	;; [unrolled: 1-line block ×4, first 2 shown]
	v_mul_lo_u32 v1, v18, 6
	v_mul_lo_u32 v4, v7, 6
	;; [unrolled: 1-line block ×4, first 2 shown]
	s_mov_b32 s27, s26
	s_mov_b32 s44, s26
	;; [unrolled: 1-line block ×3, first 2 shown]
	s_add_i32 s40, s37, s36
	v_cmp_gt_u32_e64 s[14:15], 4, v8
	v_cmp_lt_u32_e64 s[16:17], 63, v8
	v_cmp_eq_u32_e64 s[20:21], 0, v8
	v_add_u32_e32 v33, -4, v32
	v_pk_mov_b32 v[14:15], s[26:27], s[26:27] op_sel:[0,1]
	v_pk_mov_b32 v[16:17], s[44:45], s[44:45] op_sel:[0,1]
	s_movk_i32 s41, 0x8000
	v_add_u32_e32 v38, v27, v0
	v_add_u32_e32 v39, v34, v1
	;; [unrolled: 1-line block ×5, first 2 shown]
	v_mov_b32_e32 v18, 0
	s_branch .LBB182_19
.LBB182_18:                             ;   in Loop: Header=BB182_19 Depth=1
	v_mad_u64_u32 v[2:3], s[26:27], v52, 6, v[30:31]
	s_barrier
	ds_write_b16 v30, v46
	ds_write_b16 v28, v45
	;; [unrolled: 1-line block ×4, first 2 shown]
	s_waitcnt lgkmcnt(0)
	s_barrier
	ds_read_u16 v19, v34
	ds_read_u16 v47, v35
	;; [unrolled: 1-line block ×4, first 2 shown]
	s_waitcnt lgkmcnt(0)
	s_barrier
	ds_write_b64 v2, v[12:13]
	v_mad_u64_u32 v[2:3], s[26:27], v51, 6, v[28:29]
	ds_write_b64 v2, v[10:11]
	v_mad_u64_u32 v[2:3], s[26:27], v50, 6, v[26:27]
	;; [unrolled: 2-line block ×3, first 2 shown]
	ds_write_b64 v2, v[4:5]
	s_waitcnt lgkmcnt(0)
	s_barrier
	ds_read_b64 v[2:3], v39
	ds_read_b64 v[20:21], v40
	;; [unrolled: 1-line block ×4, first 2 shown]
	s_add_i32 s37, s37, -8
	s_waitcnt lgkmcnt(0)
	s_barrier
	s_cbranch_execz .LBB182_35
.LBB182_19:                             ; =>This Inner Loop Header: Depth=1
	v_mov_b32_e32 v46, v19
	s_min_u32 s26, s37, 8
	v_cmp_ne_u16_e32 vcc, s41, v46
	s_lshl_b32 s26, -1, s26
	v_cndmask_b32_e32 v0, v9, v46, vcc
	s_not_b32 s44, s26
	v_lshrrev_b32_sdwa v0, s36, v0 dst_sel:DWORD dst_unused:UNUSED_PAD src0_sel:DWORD src1_sel:WORD_0
	v_and_b32_e32 v0, s44, v0
	v_lshl_add_u32 v1, v0, 2, v29
	v_pk_mov_b32 v[10:11], v[20:21], v[20:21] op_sel:[0,1]
	v_lshl_add_u32 v20, v1, 2, 16
	v_and_b32_e32 v1, 1, v0
	v_pk_mov_b32 v[12:13], v[2:3], v[2:3] op_sel:[0,1]
	v_add_co_u32_e32 v2, vcc, -1, v1
	v_addc_co_u32_e64 v3, s[26:27], 0, -1, vcc
	v_cmp_ne_u32_e32 vcc, 0, v1
	v_lshlrev_b32_e32 v19, 30, v0
	v_xor_b32_e32 v1, vcc_hi, v3
	v_not_b32_e32 v3, v19
	v_xor_b32_e32 v2, vcc_lo, v2
	v_cmp_gt_i64_e32 vcc, 0, v[18:19]
	v_ashrrev_i32_e32 v3, 31, v3
	v_and_b32_e32 v1, exec_hi, v1
	v_xor_b32_e32 v19, vcc_hi, v3
	v_and_b32_e32 v2, exec_lo, v2
	v_xor_b32_e32 v3, vcc_lo, v3
	v_and_b32_e32 v1, v1, v19
	v_lshlrev_b32_e32 v19, 29, v0
	v_and_b32_e32 v2, v2, v3
	v_not_b32_e32 v3, v19
	v_cmp_gt_i64_e32 vcc, 0, v[18:19]
	v_ashrrev_i32_e32 v3, 31, v3
	v_xor_b32_e32 v19, vcc_hi, v3
	v_xor_b32_e32 v3, vcc_lo, v3
	v_and_b32_e32 v1, v1, v19
	v_lshlrev_b32_e32 v19, 28, v0
	v_and_b32_e32 v2, v2, v3
	v_not_b32_e32 v3, v19
	v_cmp_gt_i64_e32 vcc, 0, v[18:19]
	v_ashrrev_i32_e32 v3, 31, v3
	v_xor_b32_e32 v19, vcc_hi, v3
	;; [unrolled: 8-line block ×5, first 2 shown]
	v_and_b32_e32 v1, v1, v19
	v_lshlrev_b32_e32 v19, 24, v0
	v_not_b32_e32 v0, v19
	v_xor_b32_e32 v3, vcc_lo, v3
	v_cmp_gt_i64_e32 vcc, 0, v[18:19]
	v_ashrrev_i32_e32 v0, 31, v0
	v_and_b32_e32 v2, v2, v3
	v_xor_b32_e32 v3, vcc_hi, v0
	v_xor_b32_e32 v0, vcc_lo, v0
	v_and_b32_e32 v0, v2, v0
	v_and_b32_e32 v1, v1, v3
	v_mbcnt_lo_u32_b32 v2, v0, 0
	v_mbcnt_hi_u32_b32 v21, v1, v2
	v_cmp_eq_u32_e32 vcc, 0, v21
	v_cmp_ne_u64_e64 s[26:27], 0, v[0:1]
	v_pk_mov_b32 v[6:7], v[22:23], v[22:23] op_sel:[0,1]
	v_pk_mov_b32 v[4:5], v[24:25], v[24:25] op_sel:[0,1]
	v_mov_b32_e32 v45, v47
	v_mov_b32_e32 v44, v48
	;; [unrolled: 1-line block ×3, first 2 shown]
	s_and_b64 s[46:47], s[26:27], vcc
	ds_write2_b64 v27, v[14:15], v[16:17] offset0:2 offset1:3
	s_waitcnt lgkmcnt(0)
	s_barrier
	s_waitcnt lgkmcnt(0)
	; wave barrier
	s_and_saveexec_b64 s[26:27], s[46:47]
	s_cbranch_execz .LBB182_21
; %bb.20:                               ;   in Loop: Header=BB182_19 Depth=1
	v_bcnt_u32_b32 v0, v0, 0
	v_bcnt_u32_b32 v0, v1, v0
	ds_write_b32 v20, v0
.LBB182_21:                             ;   in Loop: Header=BB182_19 Depth=1
	s_or_b64 exec, exec, s[26:27]
	v_cmp_ne_u16_e32 vcc, s41, v45
	v_cndmask_b32_e32 v0, v9, v45, vcc
	v_lshrrev_b32_sdwa v0, s36, v0 dst_sel:DWORD dst_unused:UNUSED_PAD src0_sel:DWORD src1_sel:WORD_0
	v_and_b32_e32 v0, s44, v0
	v_lshlrev_b32_e32 v1, 2, v0
	v_add_lshl_u32 v1, v1, v29, 2
	; wave barrier
	v_add_u32_e32 v23, 16, v1
	ds_read_b32 v22, v1 offset:16
	v_and_b32_e32 v1, 1, v0
	v_add_co_u32_e32 v2, vcc, -1, v1
	v_addc_co_u32_e64 v3, s[26:27], 0, -1, vcc
	v_cmp_ne_u32_e32 vcc, 0, v1
	v_lshlrev_b32_e32 v19, 30, v0
	v_xor_b32_e32 v1, vcc_hi, v3
	v_not_b32_e32 v3, v19
	v_xor_b32_e32 v2, vcc_lo, v2
	v_cmp_gt_i64_e32 vcc, 0, v[18:19]
	v_ashrrev_i32_e32 v3, 31, v3
	v_and_b32_e32 v1, exec_hi, v1
	v_xor_b32_e32 v19, vcc_hi, v3
	v_and_b32_e32 v2, exec_lo, v2
	v_xor_b32_e32 v3, vcc_lo, v3
	v_and_b32_e32 v1, v1, v19
	v_lshlrev_b32_e32 v19, 29, v0
	v_and_b32_e32 v2, v2, v3
	v_not_b32_e32 v3, v19
	v_cmp_gt_i64_e32 vcc, 0, v[18:19]
	v_ashrrev_i32_e32 v3, 31, v3
	v_xor_b32_e32 v19, vcc_hi, v3
	v_xor_b32_e32 v3, vcc_lo, v3
	v_and_b32_e32 v1, v1, v19
	v_lshlrev_b32_e32 v19, 28, v0
	v_and_b32_e32 v2, v2, v3
	v_not_b32_e32 v3, v19
	v_cmp_gt_i64_e32 vcc, 0, v[18:19]
	v_ashrrev_i32_e32 v3, 31, v3
	v_xor_b32_e32 v19, vcc_hi, v3
	;; [unrolled: 8-line block ×5, first 2 shown]
	v_and_b32_e32 v1, v1, v19
	v_lshlrev_b32_e32 v19, 24, v0
	v_not_b32_e32 v0, v19
	v_xor_b32_e32 v3, vcc_lo, v3
	v_cmp_gt_i64_e32 vcc, 0, v[18:19]
	v_ashrrev_i32_e32 v0, 31, v0
	v_and_b32_e32 v2, v2, v3
	v_xor_b32_e32 v3, vcc_hi, v0
	v_xor_b32_e32 v0, vcc_lo, v0
	v_and_b32_e32 v0, v2, v0
	v_and_b32_e32 v1, v1, v3
	v_mbcnt_lo_u32_b32 v2, v0, 0
	v_mbcnt_hi_u32_b32 v24, v1, v2
	v_cmp_eq_u32_e32 vcc, 0, v24
	v_cmp_ne_u64_e64 s[26:27], 0, v[0:1]
	s_and_b64 s[46:47], s[26:27], vcc
	; wave barrier
	s_and_saveexec_b64 s[26:27], s[46:47]
	s_cbranch_execz .LBB182_23
; %bb.22:                               ;   in Loop: Header=BB182_19 Depth=1
	v_bcnt_u32_b32 v0, v0, 0
	v_bcnt_u32_b32 v0, v1, v0
	s_waitcnt lgkmcnt(0)
	v_add_u32_e32 v0, v22, v0
	ds_write_b32 v23, v0
.LBB182_23:                             ;   in Loop: Header=BB182_19 Depth=1
	s_or_b64 exec, exec, s[26:27]
	v_cmp_ne_u16_e32 vcc, s41, v44
	v_cndmask_b32_e32 v0, v9, v44, vcc
	v_lshrrev_b32_sdwa v0, s36, v0 dst_sel:DWORD dst_unused:UNUSED_PAD src0_sel:DWORD src1_sel:WORD_0
	v_and_b32_e32 v0, s44, v0
	v_lshlrev_b32_e32 v1, 2, v0
	v_add_lshl_u32 v1, v1, v29, 2
	; wave barrier
	v_add_u32_e32 v26, 16, v1
	ds_read_b32 v25, v1 offset:16
	v_and_b32_e32 v1, 1, v0
	v_add_co_u32_e32 v2, vcc, -1, v1
	v_addc_co_u32_e64 v3, s[26:27], 0, -1, vcc
	v_cmp_ne_u32_e32 vcc, 0, v1
	v_lshlrev_b32_e32 v19, 30, v0
	v_xor_b32_e32 v1, vcc_hi, v3
	v_not_b32_e32 v3, v19
	v_xor_b32_e32 v2, vcc_lo, v2
	v_cmp_gt_i64_e32 vcc, 0, v[18:19]
	v_ashrrev_i32_e32 v3, 31, v3
	v_and_b32_e32 v1, exec_hi, v1
	v_xor_b32_e32 v19, vcc_hi, v3
	v_and_b32_e32 v2, exec_lo, v2
	v_xor_b32_e32 v3, vcc_lo, v3
	v_and_b32_e32 v1, v1, v19
	v_lshlrev_b32_e32 v19, 29, v0
	v_and_b32_e32 v2, v2, v3
	v_not_b32_e32 v3, v19
	v_cmp_gt_i64_e32 vcc, 0, v[18:19]
	v_ashrrev_i32_e32 v3, 31, v3
	v_xor_b32_e32 v19, vcc_hi, v3
	v_xor_b32_e32 v3, vcc_lo, v3
	v_and_b32_e32 v1, v1, v19
	v_lshlrev_b32_e32 v19, 28, v0
	v_and_b32_e32 v2, v2, v3
	v_not_b32_e32 v3, v19
	v_cmp_gt_i64_e32 vcc, 0, v[18:19]
	v_ashrrev_i32_e32 v3, 31, v3
	v_xor_b32_e32 v19, vcc_hi, v3
	;; [unrolled: 8-line block ×5, first 2 shown]
	v_and_b32_e32 v1, v1, v19
	v_lshlrev_b32_e32 v19, 24, v0
	v_not_b32_e32 v0, v19
	v_xor_b32_e32 v3, vcc_lo, v3
	v_cmp_gt_i64_e32 vcc, 0, v[18:19]
	v_ashrrev_i32_e32 v0, 31, v0
	v_and_b32_e32 v2, v2, v3
	v_xor_b32_e32 v3, vcc_hi, v0
	v_xor_b32_e32 v0, vcc_lo, v0
	v_and_b32_e32 v0, v2, v0
	v_and_b32_e32 v1, v1, v3
	v_mbcnt_lo_u32_b32 v2, v0, 0
	v_mbcnt_hi_u32_b32 v28, v1, v2
	v_cmp_eq_u32_e32 vcc, 0, v28
	v_cmp_ne_u64_e64 s[26:27], 0, v[0:1]
	s_and_b64 s[46:47], s[26:27], vcc
	; wave barrier
	s_and_saveexec_b64 s[26:27], s[46:47]
	s_cbranch_execz .LBB182_25
; %bb.24:                               ;   in Loop: Header=BB182_19 Depth=1
	v_bcnt_u32_b32 v0, v0, 0
	v_bcnt_u32_b32 v0, v1, v0
	s_waitcnt lgkmcnt(0)
	v_add_u32_e32 v0, v25, v0
	ds_write_b32 v26, v0
.LBB182_25:                             ;   in Loop: Header=BB182_19 Depth=1
	s_or_b64 exec, exec, s[26:27]
	v_cmp_ne_u16_e32 vcc, s41, v43
	v_cndmask_b32_e32 v0, v9, v43, vcc
	v_lshrrev_b32_sdwa v0, s36, v0 dst_sel:DWORD dst_unused:UNUSED_PAD src0_sel:DWORD src1_sel:WORD_0
	v_and_b32_e32 v0, s44, v0
	v_lshlrev_b32_e32 v1, 2, v0
	v_add_lshl_u32 v1, v1, v29, 2
	; wave barrier
	v_add_u32_e32 v47, 16, v1
	ds_read_b32 v30, v1 offset:16
	v_and_b32_e32 v1, 1, v0
	v_add_co_u32_e32 v2, vcc, -1, v1
	v_addc_co_u32_e64 v3, s[26:27], 0, -1, vcc
	v_cmp_ne_u32_e32 vcc, 0, v1
	v_lshlrev_b32_e32 v19, 30, v0
	v_xor_b32_e32 v1, vcc_hi, v3
	v_not_b32_e32 v3, v19
	v_xor_b32_e32 v2, vcc_lo, v2
	v_cmp_gt_i64_e32 vcc, 0, v[18:19]
	v_ashrrev_i32_e32 v3, 31, v3
	v_and_b32_e32 v1, exec_hi, v1
	v_xor_b32_e32 v19, vcc_hi, v3
	v_and_b32_e32 v2, exec_lo, v2
	v_xor_b32_e32 v3, vcc_lo, v3
	v_and_b32_e32 v1, v1, v19
	v_lshlrev_b32_e32 v19, 29, v0
	v_and_b32_e32 v2, v2, v3
	v_not_b32_e32 v3, v19
	v_cmp_gt_i64_e32 vcc, 0, v[18:19]
	v_ashrrev_i32_e32 v3, 31, v3
	v_xor_b32_e32 v19, vcc_hi, v3
	v_xor_b32_e32 v3, vcc_lo, v3
	v_and_b32_e32 v1, v1, v19
	v_lshlrev_b32_e32 v19, 28, v0
	v_and_b32_e32 v2, v2, v3
	v_not_b32_e32 v3, v19
	v_cmp_gt_i64_e32 vcc, 0, v[18:19]
	v_ashrrev_i32_e32 v3, 31, v3
	v_xor_b32_e32 v19, vcc_hi, v3
	;; [unrolled: 8-line block ×5, first 2 shown]
	v_and_b32_e32 v1, v1, v19
	v_lshlrev_b32_e32 v19, 24, v0
	v_not_b32_e32 v0, v19
	v_xor_b32_e32 v3, vcc_lo, v3
	v_cmp_gt_i64_e32 vcc, 0, v[18:19]
	v_ashrrev_i32_e32 v0, 31, v0
	v_and_b32_e32 v2, v2, v3
	v_xor_b32_e32 v3, vcc_hi, v0
	v_xor_b32_e32 v0, vcc_lo, v0
	v_and_b32_e32 v0, v2, v0
	v_and_b32_e32 v1, v1, v3
	v_mbcnt_lo_u32_b32 v2, v0, 0
	v_mbcnt_hi_u32_b32 v19, v1, v2
	v_cmp_eq_u32_e32 vcc, 0, v19
	v_cmp_ne_u64_e64 s[26:27], 0, v[0:1]
	s_and_b64 s[44:45], s[26:27], vcc
	; wave barrier
	s_and_saveexec_b64 s[26:27], s[44:45]
	s_cbranch_execz .LBB182_27
; %bb.26:                               ;   in Loop: Header=BB182_19 Depth=1
	v_bcnt_u32_b32 v0, v0, 0
	v_bcnt_u32_b32 v0, v1, v0
	s_waitcnt lgkmcnt(0)
	v_add_u32_e32 v0, v30, v0
	ds_write_b32 v47, v0
.LBB182_27:                             ;   in Loop: Header=BB182_19 Depth=1
	s_or_b64 exec, exec, s[26:27]
	; wave barrier
	s_waitcnt lgkmcnt(0)
	s_barrier
	ds_read2_b64 v[0:3], v27 offset0:2 offset1:3
	s_waitcnt lgkmcnt(0)
	v_add_u32_e32 v48, v1, v0
	v_add3_u32 v3, v48, v2, v3
	s_nop 1
	v_mov_b32_dpp v48, v3 row_shr:1 row_mask:0xf bank_mask:0xf
	v_cndmask_b32_e64 v48, v48, 0, s[0:1]
	v_add_u32_e32 v3, v48, v3
	s_nop 1
	v_mov_b32_dpp v48, v3 row_shr:2 row_mask:0xf bank_mask:0xf
	v_cndmask_b32_e64 v48, 0, v48, s[2:3]
	v_add_u32_e32 v3, v3, v48
	;; [unrolled: 4-line block ×4, first 2 shown]
	s_nop 1
	v_mov_b32_dpp v48, v3 row_bcast:15 row_mask:0xf bank_mask:0xf
	v_cndmask_b32_e64 v48, v48, 0, s[8:9]
	v_add_u32_e32 v3, v3, v48
	s_nop 1
	v_mov_b32_dpp v48, v3 row_bcast:31 row_mask:0xf bank_mask:0xf
	v_cndmask_b32_e64 v48, 0, v48, s[10:11]
	v_add_u32_e32 v3, v3, v48
	s_and_saveexec_b64 s[26:27], s[12:13]
	s_cbranch_execz .LBB182_29
; %bb.28:                               ;   in Loop: Header=BB182_19 Depth=1
	ds_write_b32 v32, v3
.LBB182_29:                             ;   in Loop: Header=BB182_19 Depth=1
	s_or_b64 exec, exec, s[26:27]
	s_waitcnt lgkmcnt(0)
	s_barrier
	s_and_saveexec_b64 s[26:27], s[14:15]
	s_cbranch_execz .LBB182_31
; %bb.30:                               ;   in Loop: Header=BB182_19 Depth=1
	ds_read_b32 v48, v38
	s_waitcnt lgkmcnt(0)
	s_nop 0
	v_mov_b32_dpp v49, v48 row_shr:1 row_mask:0xf bank_mask:0xf
	v_cndmask_b32_e64 v49, v49, 0, s[22:23]
	v_add_u32_e32 v48, v49, v48
	s_nop 1
	v_mov_b32_dpp v49, v48 row_shr:2 row_mask:0xf bank_mask:0xf
	v_cndmask_b32_e64 v49, 0, v49, s[24:25]
	v_add_u32_e32 v48, v48, v49
	ds_write_b32 v38, v48
.LBB182_31:                             ;   in Loop: Header=BB182_19 Depth=1
	s_or_b64 exec, exec, s[26:27]
	v_mov_b32_e32 v48, 0
	s_waitcnt lgkmcnt(0)
	s_barrier
	s_and_saveexec_b64 s[26:27], s[16:17]
	s_cbranch_execz .LBB182_33
; %bb.32:                               ;   in Loop: Header=BB182_19 Depth=1
	ds_read_b32 v48, v33
.LBB182_33:                             ;   in Loop: Header=BB182_19 Depth=1
	s_or_b64 exec, exec, s[26:27]
	s_waitcnt lgkmcnt(0)
	v_add_u32_e32 v3, v48, v3
	ds_bpermute_b32 v3, v31, v3
	s_add_i32 s36, s36, 8
	s_cmp_ge_u32 s36, s40
	s_waitcnt lgkmcnt(0)
	v_cndmask_b32_e64 v3, v3, v48, s[18:19]
	v_cndmask_b32_e64 v48, v3, 0, s[20:21]
	v_add_u32_e32 v49, v48, v0
	v_add_u32_e32 v0, v49, v1
	;; [unrolled: 1-line block ×3, first 2 shown]
	ds_write2_b64 v27, v[48:49], v[0:1] offset0:2 offset1:3
	s_waitcnt lgkmcnt(0)
	s_barrier
	ds_read_b32 v0, v20
	ds_read_b32 v1, v23
	;; [unrolled: 1-line block ×4, first 2 shown]
	s_waitcnt lgkmcnt(0)
	v_add_u32_e32 v52, v0, v21
	v_add3_u32 v51, v24, v22, v1
	v_add3_u32 v50, v28, v25, v2
	;; [unrolled: 1-line block ×3, first 2 shown]
	v_lshlrev_b32_e32 v30, 1, v52
	v_lshlrev_b32_e32 v28, 1, v51
	;; [unrolled: 1-line block ×4, first 2 shown]
	s_cbranch_scc0 .LBB182_18
; %bb.34:
                                        ; implicit-def: $sgpr36
                                        ; implicit-def: $vgpr2_vgpr3
                                        ; implicit-def: $vgpr20_vgpr21
                                        ; implicit-def: $vgpr22_vgpr23
                                        ; implicit-def: $vgpr24_vgpr25
                                        ; implicit-def: $vgpr19
                                        ; implicit-def: $vgpr47
                                        ; implicit-def: $vgpr48
                                        ; implicit-def: $vgpr49
.LBB182_35:
	v_lshlrev_b32_e32 v16, 1, v8
	s_barrier
	ds_write_b16 v30, v46
	ds_write_b16 v28, v45
	;; [unrolled: 1-line block ×4, first 2 shown]
	s_waitcnt lgkmcnt(0)
	s_barrier
	ds_read_u16 v9, v16
	ds_read_u16 v14, v16 offset:512
	ds_read_u16 v17, v16 offset:1024
	;; [unrolled: 1-line block ×3, first 2 shown]
	v_mad_u64_u32 v[2:3], s[0:1], v52, 6, v[30:31]
	s_waitcnt lgkmcnt(0)
	s_barrier
	ds_write_b64 v2, v[12:13]
	v_mad_u64_u32 v[2:3], s[0:1], v51, 6, v[28:29]
	ds_write_b64 v2, v[10:11]
	v_mad_u64_u32 v[2:3], s[0:1], v50, 6, v[26:27]
	v_mad_u64_u32 v[0:1], s[0:1], v1, 6, v[0:1]
	v_mov_b32_e32 v10, 0x7fff
	v_cmp_gt_i16_e32 vcc, 0, v9
	ds_write_b64 v2, v[6:7]
	ds_write_b64 v0, v[4:5]
	v_mad_u32_u24 v0, v8, 6, v16
	v_cndmask_b32_e64 v11, v10, 0, vcc
	v_cmp_gt_i16_e32 vcc, 0, v14
	s_waitcnt lgkmcnt(0)
	s_barrier
	ds_read2st64_b64 v[4:7], v0 offset1:4
	ds_read2st64_b64 v[0:3], v0 offset0:8 offset1:12
	v_xor_b32_e32 v15, v11, v9
	v_cndmask_b32_e64 v9, v10, 0, vcc
	v_cmp_gt_i16_e32 vcc, 0, v17
	s_add_u32 s0, s38, s34
	v_xor_b32_e32 v14, v9, v14
	v_cndmask_b32_e64 v9, v10, 0, vcc
	v_cmp_gt_i16_e32 vcc, 0, v18
	s_addc_u32 s1, s39, s35
	v_xor_b32_e32 v13, v9, v17
	v_cndmask_b32_e64 v9, v10, 0, vcc
	v_mov_b32_e32 v11, s1
	v_add_co_u32_e32 v10, vcc, s0, v16
	v_addc_co_u32_e32 v11, vcc, 0, v11, vcc
	v_xor_b32_e32 v9, v9, v18
	s_andn2_b64 vcc, exec, s[30:31]
	v_lshlrev_b32_e32 v12, 3, v8
	s_cbranch_vccnz .LBB182_37
; %bb.36:
	s_lshl_b64 s[0:1], s[28:29], 3
	s_add_u32 s0, s42, s0
	s_addc_u32 s1, s43, s1
	v_mov_b32_e32 v16, s1
	v_add_co_u32_e32 v17, vcc, s0, v12
	v_addc_co_u32_e32 v18, vcc, 0, v16, vcc
	v_add_co_u32_e32 v16, vcc, 0x1000, v17
	global_store_short v[10:11], v15, off
	global_store_short v[10:11], v14, off offset:512
	global_store_short v[10:11], v13, off offset:1024
	;; [unrolled: 1-line block ×3, first 2 shown]
	s_waitcnt lgkmcnt(1)
	global_store_dwordx2 v12, v[4:5], s[0:1]
	global_store_dwordx2 v12, v[6:7], s[0:1] offset:2048
	v_addc_co_u32_e32 v17, vcc, 0, v18, vcc
	s_mov_b64 s[6:7], -1
	s_waitcnt lgkmcnt(0)
	global_store_dwordx2 v[16:17], v[0:1], off
	s_cbranch_execz .LBB182_38
	s_branch .LBB182_51
.LBB182_37:
	s_mov_b64 s[6:7], 0
.LBB182_38:
	v_cmp_gt_u32_e32 vcc, s33, v8
	s_and_saveexec_b64 s[0:1], vcc
	s_cbranch_execz .LBB182_40
; %bb.39:
	global_store_short v[10:11], v15, off
.LBB182_40:
	s_or_b64 exec, exec, s[0:1]
	v_add_u32_e32 v15, 0x100, v8
	v_cmp_gt_u32_e64 s[0:1], s33, v15
	s_and_saveexec_b64 s[2:3], s[0:1]
	s_cbranch_execz .LBB182_42
; %bb.41:
	global_store_short v[10:11], v14, off offset:512
.LBB182_42:
	s_or_b64 exec, exec, s[2:3]
	v_add_u32_e32 v14, 0x200, v8
	v_cmp_gt_u32_e64 s[2:3], s33, v14
	s_and_saveexec_b64 s[4:5], s[2:3]
	s_cbranch_execz .LBB182_44
; %bb.43:
	global_store_short v[10:11], v13, off offset:1024
.LBB182_44:
	;; [unrolled: 8-line block ×3, first 2 shown]
	s_or_b64 exec, exec, s[4:5]
	s_lshl_b64 s[4:5], s[28:29], 3
	s_add_u32 s4, s42, s4
	s_addc_u32 s5, s43, s5
	v_mov_b32_e32 v9, s5
	v_add_co_u32_e64 v8, s[4:5], s4, v12
	v_addc_co_u32_e64 v9, s[4:5], 0, v9, s[4:5]
	s_and_saveexec_b64 s[4:5], vcc
	s_cbranch_execnz .LBB182_57
; %bb.47:
	s_or_b64 exec, exec, s[4:5]
	s_and_saveexec_b64 s[4:5], s[0:1]
	s_cbranch_execnz .LBB182_58
.LBB182_48:
	s_or_b64 exec, exec, s[4:5]
	s_and_saveexec_b64 s[0:1], s[2:3]
	s_cbranch_execz .LBB182_50
.LBB182_49:
	s_waitcnt lgkmcnt(1)
	v_add_co_u32_e32 v4, vcc, 0x1000, v8
	v_addc_co_u32_e32 v5, vcc, 0, v9, vcc
	s_waitcnt lgkmcnt(0)
	global_store_dwordx2 v[4:5], v[0:1], off
.LBB182_50:
	s_or_b64 exec, exec, s[0:1]
.LBB182_51:
	s_and_saveexec_b64 s[0:1], s[6:7]
	s_cbranch_execnz .LBB182_53
; %bb.52:
	s_endpgm
.LBB182_53:
	s_lshl_b64 s[0:1], s[28:29], 3
	s_add_u32 s0, s42, s0
	s_addc_u32 s1, s43, s1
	s_waitcnt lgkmcnt(0)
	v_mov_b32_e32 v0, s1
	v_add_co_u32_e32 v1, vcc, s0, v12
	v_addc_co_u32_e32 v4, vcc, 0, v0, vcc
	v_add_co_u32_e32 v0, vcc, 0x1000, v1
	v_addc_co_u32_e32 v1, vcc, 0, v4, vcc
	global_store_dwordx2 v[0:1], v[2:3], off offset:2048
	s_endpgm
.LBB182_54:
	global_load_dwordx2 v[2:3], v[4:5], off
	s_or_b64 exec, exec, s[8:9]
                                        ; implicit-def: $vgpr20_vgpr21
	s_and_saveexec_b64 s[8:9], s[0:1]
	s_cbranch_execz .LBB182_13
.LBB182_55:
	global_load_dwordx2 v[20:21], v[4:5], off offset:512
	s_or_b64 exec, exec, s[8:9]
                                        ; implicit-def: $vgpr22_vgpr23
	s_and_saveexec_b64 s[0:1], s[2:3]
	s_cbranch_execz .LBB182_14
.LBB182_56:
	global_load_dwordx2 v[22:23], v[4:5], off offset:1024
	s_or_b64 exec, exec, s[0:1]
                                        ; implicit-def: $vgpr24_vgpr25
	s_and_saveexec_b64 s[0:1], s[6:7]
	s_cbranch_execnz .LBB182_15
	s_branch .LBB182_16
.LBB182_57:
	s_waitcnt lgkmcnt(1)
	global_store_dwordx2 v[8:9], v[4:5], off
	s_or_b64 exec, exec, s[4:5]
	s_and_saveexec_b64 s[4:5], s[0:1]
	s_cbranch_execz .LBB182_48
.LBB182_58:
	s_waitcnt lgkmcnt(1)
	global_store_dwordx2 v[8:9], v[6:7], off offset:2048
	s_or_b64 exec, exec, s[4:5]
	s_and_saveexec_b64 s[0:1], s[2:3]
	s_cbranch_execnz .LBB182_49
	s_branch .LBB182_50
	.section	.rodata,"a",@progbits
	.p2align	6, 0x0
	.amdhsa_kernel _ZN7rocprim17ROCPRIM_304000_NS6detail28radix_sort_block_sort_kernelINS1_36wrapped_radix_sort_block_sort_configINS0_13kernel_configILj256ELj4ELj4294967295EEE6__halfN2at4cuda3cub6detail10OpaqueTypeILi8EEEEELb1EPKS6_PS6_PKSC_PSC_NS0_19identity_decomposerEEEvT1_T2_T3_T4_jT5_jj
		.amdhsa_group_segment_fixed_size 8192
		.amdhsa_private_segment_fixed_size 0
		.amdhsa_kernarg_size 304
		.amdhsa_user_sgpr_count 6
		.amdhsa_user_sgpr_private_segment_buffer 1
		.amdhsa_user_sgpr_dispatch_ptr 0
		.amdhsa_user_sgpr_queue_ptr 0
		.amdhsa_user_sgpr_kernarg_segment_ptr 1
		.amdhsa_user_sgpr_dispatch_id 0
		.amdhsa_user_sgpr_flat_scratch_init 0
		.amdhsa_user_sgpr_kernarg_preload_length 0
		.amdhsa_user_sgpr_kernarg_preload_offset 0
		.amdhsa_user_sgpr_private_segment_size 0
		.amdhsa_uses_dynamic_stack 0
		.amdhsa_system_sgpr_private_segment_wavefront_offset 0
		.amdhsa_system_sgpr_workgroup_id_x 1
		.amdhsa_system_sgpr_workgroup_id_y 0
		.amdhsa_system_sgpr_workgroup_id_z 0
		.amdhsa_system_sgpr_workgroup_info 0
		.amdhsa_system_vgpr_workitem_id 2
		.amdhsa_next_free_vgpr 53
		.amdhsa_next_free_sgpr 48
		.amdhsa_accum_offset 56
		.amdhsa_reserve_vcc 1
		.amdhsa_reserve_flat_scratch 0
		.amdhsa_float_round_mode_32 0
		.amdhsa_float_round_mode_16_64 0
		.amdhsa_float_denorm_mode_32 3
		.amdhsa_float_denorm_mode_16_64 3
		.amdhsa_dx10_clamp 1
		.amdhsa_ieee_mode 1
		.amdhsa_fp16_overflow 0
		.amdhsa_tg_split 0
		.amdhsa_exception_fp_ieee_invalid_op 0
		.amdhsa_exception_fp_denorm_src 0
		.amdhsa_exception_fp_ieee_div_zero 0
		.amdhsa_exception_fp_ieee_overflow 0
		.amdhsa_exception_fp_ieee_underflow 0
		.amdhsa_exception_fp_ieee_inexact 0
		.amdhsa_exception_int_div_zero 0
	.end_amdhsa_kernel
	.section	.text._ZN7rocprim17ROCPRIM_304000_NS6detail28radix_sort_block_sort_kernelINS1_36wrapped_radix_sort_block_sort_configINS0_13kernel_configILj256ELj4ELj4294967295EEE6__halfN2at4cuda3cub6detail10OpaqueTypeILi8EEEEELb1EPKS6_PS6_PKSC_PSC_NS0_19identity_decomposerEEEvT1_T2_T3_T4_jT5_jj,"axG",@progbits,_ZN7rocprim17ROCPRIM_304000_NS6detail28radix_sort_block_sort_kernelINS1_36wrapped_radix_sort_block_sort_configINS0_13kernel_configILj256ELj4ELj4294967295EEE6__halfN2at4cuda3cub6detail10OpaqueTypeILi8EEEEELb1EPKS6_PS6_PKSC_PSC_NS0_19identity_decomposerEEEvT1_T2_T3_T4_jT5_jj,comdat
.Lfunc_end182:
	.size	_ZN7rocprim17ROCPRIM_304000_NS6detail28radix_sort_block_sort_kernelINS1_36wrapped_radix_sort_block_sort_configINS0_13kernel_configILj256ELj4ELj4294967295EEE6__halfN2at4cuda3cub6detail10OpaqueTypeILi8EEEEELb1EPKS6_PS6_PKSC_PSC_NS0_19identity_decomposerEEEvT1_T2_T3_T4_jT5_jj, .Lfunc_end182-_ZN7rocprim17ROCPRIM_304000_NS6detail28radix_sort_block_sort_kernelINS1_36wrapped_radix_sort_block_sort_configINS0_13kernel_configILj256ELj4ELj4294967295EEE6__halfN2at4cuda3cub6detail10OpaqueTypeILi8EEEEELb1EPKS6_PS6_PKSC_PSC_NS0_19identity_decomposerEEEvT1_T2_T3_T4_jT5_jj
                                        ; -- End function
	.section	.AMDGPU.csdata,"",@progbits
; Kernel info:
; codeLenInByte = 4044
; NumSgprs: 52
; NumVgprs: 53
; NumAgprs: 0
; TotalNumVgprs: 53
; ScratchSize: 0
; MemoryBound: 0
; FloatMode: 240
; IeeeMode: 1
; LDSByteSize: 8192 bytes/workgroup (compile time only)
; SGPRBlocks: 6
; VGPRBlocks: 6
; NumSGPRsForWavesPerEU: 52
; NumVGPRsForWavesPerEU: 53
; AccumOffset: 56
; Occupancy: 8
; WaveLimiterHint : 1
; COMPUTE_PGM_RSRC2:SCRATCH_EN: 0
; COMPUTE_PGM_RSRC2:USER_SGPR: 6
; COMPUTE_PGM_RSRC2:TRAP_HANDLER: 0
; COMPUTE_PGM_RSRC2:TGID_X_EN: 1
; COMPUTE_PGM_RSRC2:TGID_Y_EN: 0
; COMPUTE_PGM_RSRC2:TGID_Z_EN: 0
; COMPUTE_PGM_RSRC2:TIDIG_COMP_CNT: 2
; COMPUTE_PGM_RSRC3_GFX90A:ACCUM_OFFSET: 13
; COMPUTE_PGM_RSRC3_GFX90A:TG_SPLIT: 0
	.section	.text._ZN7rocprim17ROCPRIM_304000_NS6detail39device_merge_sort_compile_time_verifierINS1_36wrapped_merge_sort_block_sort_configINS1_28merge_sort_block_sort_configILj256ELj4ELNS0_20block_sort_algorithmE0EEE6__halfN2at4cuda3cub6detail10OpaqueTypeILi8EEEEENS1_37wrapped_merge_sort_block_merge_configINS0_14default_configES7_SD_EEEEvv,"axG",@progbits,_ZN7rocprim17ROCPRIM_304000_NS6detail39device_merge_sort_compile_time_verifierINS1_36wrapped_merge_sort_block_sort_configINS1_28merge_sort_block_sort_configILj256ELj4ELNS0_20block_sort_algorithmE0EEE6__halfN2at4cuda3cub6detail10OpaqueTypeILi8EEEEENS1_37wrapped_merge_sort_block_merge_configINS0_14default_configES7_SD_EEEEvv,comdat
	.protected	_ZN7rocprim17ROCPRIM_304000_NS6detail39device_merge_sort_compile_time_verifierINS1_36wrapped_merge_sort_block_sort_configINS1_28merge_sort_block_sort_configILj256ELj4ELNS0_20block_sort_algorithmE0EEE6__halfN2at4cuda3cub6detail10OpaqueTypeILi8EEEEENS1_37wrapped_merge_sort_block_merge_configINS0_14default_configES7_SD_EEEEvv ; -- Begin function _ZN7rocprim17ROCPRIM_304000_NS6detail39device_merge_sort_compile_time_verifierINS1_36wrapped_merge_sort_block_sort_configINS1_28merge_sort_block_sort_configILj256ELj4ELNS0_20block_sort_algorithmE0EEE6__halfN2at4cuda3cub6detail10OpaqueTypeILi8EEEEENS1_37wrapped_merge_sort_block_merge_configINS0_14default_configES7_SD_EEEEvv
	.globl	_ZN7rocprim17ROCPRIM_304000_NS6detail39device_merge_sort_compile_time_verifierINS1_36wrapped_merge_sort_block_sort_configINS1_28merge_sort_block_sort_configILj256ELj4ELNS0_20block_sort_algorithmE0EEE6__halfN2at4cuda3cub6detail10OpaqueTypeILi8EEEEENS1_37wrapped_merge_sort_block_merge_configINS0_14default_configES7_SD_EEEEvv
	.p2align	8
	.type	_ZN7rocprim17ROCPRIM_304000_NS6detail39device_merge_sort_compile_time_verifierINS1_36wrapped_merge_sort_block_sort_configINS1_28merge_sort_block_sort_configILj256ELj4ELNS0_20block_sort_algorithmE0EEE6__halfN2at4cuda3cub6detail10OpaqueTypeILi8EEEEENS1_37wrapped_merge_sort_block_merge_configINS0_14default_configES7_SD_EEEEvv,@function
_ZN7rocprim17ROCPRIM_304000_NS6detail39device_merge_sort_compile_time_verifierINS1_36wrapped_merge_sort_block_sort_configINS1_28merge_sort_block_sort_configILj256ELj4ELNS0_20block_sort_algorithmE0EEE6__halfN2at4cuda3cub6detail10OpaqueTypeILi8EEEEENS1_37wrapped_merge_sort_block_merge_configINS0_14default_configES7_SD_EEEEvv: ; @_ZN7rocprim17ROCPRIM_304000_NS6detail39device_merge_sort_compile_time_verifierINS1_36wrapped_merge_sort_block_sort_configINS1_28merge_sort_block_sort_configILj256ELj4ELNS0_20block_sort_algorithmE0EEE6__halfN2at4cuda3cub6detail10OpaqueTypeILi8EEEEENS1_37wrapped_merge_sort_block_merge_configINS0_14default_configES7_SD_EEEEvv
; %bb.0:
	s_endpgm
	.section	.rodata,"a",@progbits
	.p2align	6, 0x0
	.amdhsa_kernel _ZN7rocprim17ROCPRIM_304000_NS6detail39device_merge_sort_compile_time_verifierINS1_36wrapped_merge_sort_block_sort_configINS1_28merge_sort_block_sort_configILj256ELj4ELNS0_20block_sort_algorithmE0EEE6__halfN2at4cuda3cub6detail10OpaqueTypeILi8EEEEENS1_37wrapped_merge_sort_block_merge_configINS0_14default_configES7_SD_EEEEvv
		.amdhsa_group_segment_fixed_size 0
		.amdhsa_private_segment_fixed_size 0
		.amdhsa_kernarg_size 0
		.amdhsa_user_sgpr_count 4
		.amdhsa_user_sgpr_private_segment_buffer 1
		.amdhsa_user_sgpr_dispatch_ptr 0
		.amdhsa_user_sgpr_queue_ptr 0
		.amdhsa_user_sgpr_kernarg_segment_ptr 0
		.amdhsa_user_sgpr_dispatch_id 0
		.amdhsa_user_sgpr_flat_scratch_init 0
		.amdhsa_user_sgpr_kernarg_preload_length 0
		.amdhsa_user_sgpr_kernarg_preload_offset 0
		.amdhsa_user_sgpr_private_segment_size 0
		.amdhsa_uses_dynamic_stack 0
		.amdhsa_system_sgpr_private_segment_wavefront_offset 0
		.amdhsa_system_sgpr_workgroup_id_x 1
		.amdhsa_system_sgpr_workgroup_id_y 0
		.amdhsa_system_sgpr_workgroup_id_z 0
		.amdhsa_system_sgpr_workgroup_info 0
		.amdhsa_system_vgpr_workitem_id 0
		.amdhsa_next_free_vgpr 1
		.amdhsa_next_free_sgpr 0
		.amdhsa_accum_offset 4
		.amdhsa_reserve_vcc 0
		.amdhsa_reserve_flat_scratch 0
		.amdhsa_float_round_mode_32 0
		.amdhsa_float_round_mode_16_64 0
		.amdhsa_float_denorm_mode_32 3
		.amdhsa_float_denorm_mode_16_64 3
		.amdhsa_dx10_clamp 1
		.amdhsa_ieee_mode 1
		.amdhsa_fp16_overflow 0
		.amdhsa_tg_split 0
		.amdhsa_exception_fp_ieee_invalid_op 0
		.amdhsa_exception_fp_denorm_src 0
		.amdhsa_exception_fp_ieee_div_zero 0
		.amdhsa_exception_fp_ieee_overflow 0
		.amdhsa_exception_fp_ieee_underflow 0
		.amdhsa_exception_fp_ieee_inexact 0
		.amdhsa_exception_int_div_zero 0
	.end_amdhsa_kernel
	.section	.text._ZN7rocprim17ROCPRIM_304000_NS6detail39device_merge_sort_compile_time_verifierINS1_36wrapped_merge_sort_block_sort_configINS1_28merge_sort_block_sort_configILj256ELj4ELNS0_20block_sort_algorithmE0EEE6__halfN2at4cuda3cub6detail10OpaqueTypeILi8EEEEENS1_37wrapped_merge_sort_block_merge_configINS0_14default_configES7_SD_EEEEvv,"axG",@progbits,_ZN7rocprim17ROCPRIM_304000_NS6detail39device_merge_sort_compile_time_verifierINS1_36wrapped_merge_sort_block_sort_configINS1_28merge_sort_block_sort_configILj256ELj4ELNS0_20block_sort_algorithmE0EEE6__halfN2at4cuda3cub6detail10OpaqueTypeILi8EEEEENS1_37wrapped_merge_sort_block_merge_configINS0_14default_configES7_SD_EEEEvv,comdat
.Lfunc_end183:
	.size	_ZN7rocprim17ROCPRIM_304000_NS6detail39device_merge_sort_compile_time_verifierINS1_36wrapped_merge_sort_block_sort_configINS1_28merge_sort_block_sort_configILj256ELj4ELNS0_20block_sort_algorithmE0EEE6__halfN2at4cuda3cub6detail10OpaqueTypeILi8EEEEENS1_37wrapped_merge_sort_block_merge_configINS0_14default_configES7_SD_EEEEvv, .Lfunc_end183-_ZN7rocprim17ROCPRIM_304000_NS6detail39device_merge_sort_compile_time_verifierINS1_36wrapped_merge_sort_block_sort_configINS1_28merge_sort_block_sort_configILj256ELj4ELNS0_20block_sort_algorithmE0EEE6__halfN2at4cuda3cub6detail10OpaqueTypeILi8EEEEENS1_37wrapped_merge_sort_block_merge_configINS0_14default_configES7_SD_EEEEvv
                                        ; -- End function
	.section	.AMDGPU.csdata,"",@progbits
; Kernel info:
; codeLenInByte = 4
; NumSgprs: 4
; NumVgprs: 0
; NumAgprs: 0
; TotalNumVgprs: 0
; ScratchSize: 0
; MemoryBound: 0
; FloatMode: 240
; IeeeMode: 1
; LDSByteSize: 0 bytes/workgroup (compile time only)
; SGPRBlocks: 0
; VGPRBlocks: 0
; NumSGPRsForWavesPerEU: 4
; NumVGPRsForWavesPerEU: 1
; AccumOffset: 4
; Occupancy: 8
; WaveLimiterHint : 0
; COMPUTE_PGM_RSRC2:SCRATCH_EN: 0
; COMPUTE_PGM_RSRC2:USER_SGPR: 4
; COMPUTE_PGM_RSRC2:TRAP_HANDLER: 0
; COMPUTE_PGM_RSRC2:TGID_X_EN: 1
; COMPUTE_PGM_RSRC2:TGID_Y_EN: 0
; COMPUTE_PGM_RSRC2:TGID_Z_EN: 0
; COMPUTE_PGM_RSRC2:TIDIG_COMP_CNT: 0
; COMPUTE_PGM_RSRC3_GFX90A:ACCUM_OFFSET: 0
; COMPUTE_PGM_RSRC3_GFX90A:TG_SPLIT: 0
	.section	.text._ZN7rocprim17ROCPRIM_304000_NS6detail45device_block_merge_mergepath_partition_kernelINS1_37wrapped_merge_sort_block_merge_configINS0_14default_configE6__halfN2at4cuda3cub6detail10OpaqueTypeILi8EEEEEPS5_jNS1_19radix_merge_compareILb1ELb0ES5_NS0_19identity_decomposerEEEEEvT0_T1_jPSI_T2_SI_,"axG",@progbits,_ZN7rocprim17ROCPRIM_304000_NS6detail45device_block_merge_mergepath_partition_kernelINS1_37wrapped_merge_sort_block_merge_configINS0_14default_configE6__halfN2at4cuda3cub6detail10OpaqueTypeILi8EEEEEPS5_jNS1_19radix_merge_compareILb1ELb0ES5_NS0_19identity_decomposerEEEEEvT0_T1_jPSI_T2_SI_,comdat
	.protected	_ZN7rocprim17ROCPRIM_304000_NS6detail45device_block_merge_mergepath_partition_kernelINS1_37wrapped_merge_sort_block_merge_configINS0_14default_configE6__halfN2at4cuda3cub6detail10OpaqueTypeILi8EEEEEPS5_jNS1_19radix_merge_compareILb1ELb0ES5_NS0_19identity_decomposerEEEEEvT0_T1_jPSI_T2_SI_ ; -- Begin function _ZN7rocprim17ROCPRIM_304000_NS6detail45device_block_merge_mergepath_partition_kernelINS1_37wrapped_merge_sort_block_merge_configINS0_14default_configE6__halfN2at4cuda3cub6detail10OpaqueTypeILi8EEEEEPS5_jNS1_19radix_merge_compareILb1ELb0ES5_NS0_19identity_decomposerEEEEEvT0_T1_jPSI_T2_SI_
	.globl	_ZN7rocprim17ROCPRIM_304000_NS6detail45device_block_merge_mergepath_partition_kernelINS1_37wrapped_merge_sort_block_merge_configINS0_14default_configE6__halfN2at4cuda3cub6detail10OpaqueTypeILi8EEEEEPS5_jNS1_19radix_merge_compareILb1ELb0ES5_NS0_19identity_decomposerEEEEEvT0_T1_jPSI_T2_SI_
	.p2align	8
	.type	_ZN7rocprim17ROCPRIM_304000_NS6detail45device_block_merge_mergepath_partition_kernelINS1_37wrapped_merge_sort_block_merge_configINS0_14default_configE6__halfN2at4cuda3cub6detail10OpaqueTypeILi8EEEEEPS5_jNS1_19radix_merge_compareILb1ELb0ES5_NS0_19identity_decomposerEEEEEvT0_T1_jPSI_T2_SI_,@function
_ZN7rocprim17ROCPRIM_304000_NS6detail45device_block_merge_mergepath_partition_kernelINS1_37wrapped_merge_sort_block_merge_configINS0_14default_configE6__halfN2at4cuda3cub6detail10OpaqueTypeILi8EEEEEPS5_jNS1_19radix_merge_compareILb1ELb0ES5_NS0_19identity_decomposerEEEEEvT0_T1_jPSI_T2_SI_: ; @_ZN7rocprim17ROCPRIM_304000_NS6detail45device_block_merge_mergepath_partition_kernelINS1_37wrapped_merge_sort_block_merge_configINS0_14default_configE6__halfN2at4cuda3cub6detail10OpaqueTypeILi8EEEEEPS5_jNS1_19radix_merge_compareILb1ELb0ES5_NS0_19identity_decomposerEEEEEvT0_T1_jPSI_T2_SI_
; %bb.0:
	s_load_dwordx2 s[0:1], s[4:5], 0x8
	v_lshl_or_b32 v0, s6, 7, v0
	s_waitcnt lgkmcnt(0)
	v_cmp_gt_u32_e32 vcc, s1, v0
	s_and_saveexec_b64 s[2:3], vcc
	s_cbranch_execz .LBB184_6
; %bb.1:
	s_load_dword s1, s[4:5], 0x1c
	s_waitcnt lgkmcnt(0)
	s_lshr_b32 s2, s1, 9
	s_and_b32 s2, s2, 0x7ffffe
	s_add_i32 s3, s2, -1
	s_sub_i32 s2, 0, s2
	v_and_b32_e32 v1, s2, v0
	v_and_b32_e32 v2, s3, v0
	v_lshlrev_b32_e32 v1, 10, v1
	v_lshlrev_b32_e32 v3, 10, v2
	v_min_u32_e32 v2, s0, v1
	v_add_u32_e32 v1, s1, v1
	v_min_u32_e32 v4, s0, v1
	v_add_u32_e32 v1, s1, v4
	v_min_u32_e32 v1, s0, v1
	v_sub_u32_e32 v5, v1, v2
	v_min_u32_e32 v6, v5, v3
	v_sub_u32_e32 v3, v4, v2
	v_sub_u32_e32 v1, v1, v4
	v_sub_u32_e64 v1, v6, v1 clamp
	v_min_u32_e32 v7, v6, v3
	v_cmp_lt_u32_e32 vcc, v1, v7
	s_and_saveexec_b64 s[0:1], vcc
	s_cbranch_execz .LBB184_5
; %bb.2:
	s_load_dwordx2 s[2:3], s[4:5], 0x0
	v_mov_b32_e32 v5, 0
	v_mov_b32_e32 v3, v5
	v_lshlrev_b64 v[8:9], 1, v[2:3]
	v_lshlrev_b64 v[10:11], 1, v[4:5]
	s_waitcnt lgkmcnt(0)
	v_mov_b32_e32 v12, s3
	v_add_co_u32_e32 v3, vcc, s2, v8
	v_addc_co_u32_e32 v8, vcc, v12, v9, vcc
	v_add_co_u32_e32 v9, vcc, s2, v10
	v_addc_co_u32_e32 v10, vcc, v12, v11, vcc
	s_mov_b64 s[2:3], 0
	s_movk_i32 s6, 0x8000
	v_mov_b32_e32 v11, 0xffff8000
.LBB184_3:                              ; =>This Inner Loop Header: Depth=1
	v_add_u32_e32 v4, v7, v1
	v_and_b32_e32 v12, -2, v4
	v_lshrrev_b32_e32 v14, 1, v4
	v_add_co_u32_e32 v12, vcc, v3, v12
	v_xad_u32 v4, v14, -1, v6
	v_addc_co_u32_e32 v13, vcc, 0, v8, vcc
	global_load_ushort v15, v[12:13], off
	v_lshlrev_b64 v[12:13], 1, v[4:5]
	v_add_co_u32_e32 v12, vcc, v9, v12
	v_addc_co_u32_e32 v13, vcc, v10, v13, vcc
	global_load_ushort v4, v[12:13], off
	v_add_u32_e32 v12, 1, v14
	s_waitcnt vmcnt(1)
	v_cmp_ne_u16_e32 vcc, s6, v15
	v_cndmask_b32_e32 v13, 0, v15, vcc
	v_cmp_lt_i16_e32 vcc, -1, v13
	v_cndmask_b32_e32 v15, -1, v11, vcc
	v_xor_b32_e32 v13, v15, v13
	s_waitcnt vmcnt(0)
	v_cmp_ne_u16_e32 vcc, s6, v4
	v_cndmask_b32_e32 v4, 0, v4, vcc
	v_cmp_lt_i16_e32 vcc, -1, v4
	v_cndmask_b32_e32 v15, -1, v11, vcc
	v_xor_b32_e32 v4, v15, v4
	v_cmp_gt_u16_e32 vcc, v4, v13
	v_cndmask_b32_e32 v7, v7, v14, vcc
	v_cndmask_b32_e32 v1, v12, v1, vcc
	v_cmp_ge_u32_e32 vcc, v1, v7
	s_or_b64 s[2:3], vcc, s[2:3]
	s_andn2_b64 exec, exec, s[2:3]
	s_cbranch_execnz .LBB184_3
; %bb.4:
	s_or_b64 exec, exec, s[2:3]
.LBB184_5:
	s_or_b64 exec, exec, s[0:1]
	s_load_dwordx2 s[0:1], s[4:5], 0x10
	v_add_u32_e32 v2, v1, v2
	v_mov_b32_e32 v1, 0
	v_lshlrev_b64 v[0:1], 2, v[0:1]
	s_waitcnt lgkmcnt(0)
	v_mov_b32_e32 v3, s1
	v_add_co_u32_e32 v0, vcc, s0, v0
	v_addc_co_u32_e32 v1, vcc, v3, v1, vcc
	global_store_dword v[0:1], v2, off
.LBB184_6:
	s_endpgm
	.section	.rodata,"a",@progbits
	.p2align	6, 0x0
	.amdhsa_kernel _ZN7rocprim17ROCPRIM_304000_NS6detail45device_block_merge_mergepath_partition_kernelINS1_37wrapped_merge_sort_block_merge_configINS0_14default_configE6__halfN2at4cuda3cub6detail10OpaqueTypeILi8EEEEEPS5_jNS1_19radix_merge_compareILb1ELb0ES5_NS0_19identity_decomposerEEEEEvT0_T1_jPSI_T2_SI_
		.amdhsa_group_segment_fixed_size 0
		.amdhsa_private_segment_fixed_size 0
		.amdhsa_kernarg_size 32
		.amdhsa_user_sgpr_count 6
		.amdhsa_user_sgpr_private_segment_buffer 1
		.amdhsa_user_sgpr_dispatch_ptr 0
		.amdhsa_user_sgpr_queue_ptr 0
		.amdhsa_user_sgpr_kernarg_segment_ptr 1
		.amdhsa_user_sgpr_dispatch_id 0
		.amdhsa_user_sgpr_flat_scratch_init 0
		.amdhsa_user_sgpr_kernarg_preload_length 0
		.amdhsa_user_sgpr_kernarg_preload_offset 0
		.amdhsa_user_sgpr_private_segment_size 0
		.amdhsa_uses_dynamic_stack 0
		.amdhsa_system_sgpr_private_segment_wavefront_offset 0
		.amdhsa_system_sgpr_workgroup_id_x 1
		.amdhsa_system_sgpr_workgroup_id_y 0
		.amdhsa_system_sgpr_workgroup_id_z 0
		.amdhsa_system_sgpr_workgroup_info 0
		.amdhsa_system_vgpr_workitem_id 0
		.amdhsa_next_free_vgpr 16
		.amdhsa_next_free_sgpr 7
		.amdhsa_accum_offset 16
		.amdhsa_reserve_vcc 1
		.amdhsa_reserve_flat_scratch 0
		.amdhsa_float_round_mode_32 0
		.amdhsa_float_round_mode_16_64 0
		.amdhsa_float_denorm_mode_32 3
		.amdhsa_float_denorm_mode_16_64 3
		.amdhsa_dx10_clamp 1
		.amdhsa_ieee_mode 1
		.amdhsa_fp16_overflow 0
		.amdhsa_tg_split 0
		.amdhsa_exception_fp_ieee_invalid_op 0
		.amdhsa_exception_fp_denorm_src 0
		.amdhsa_exception_fp_ieee_div_zero 0
		.amdhsa_exception_fp_ieee_overflow 0
		.amdhsa_exception_fp_ieee_underflow 0
		.amdhsa_exception_fp_ieee_inexact 0
		.amdhsa_exception_int_div_zero 0
	.end_amdhsa_kernel
	.section	.text._ZN7rocprim17ROCPRIM_304000_NS6detail45device_block_merge_mergepath_partition_kernelINS1_37wrapped_merge_sort_block_merge_configINS0_14default_configE6__halfN2at4cuda3cub6detail10OpaqueTypeILi8EEEEEPS5_jNS1_19radix_merge_compareILb1ELb0ES5_NS0_19identity_decomposerEEEEEvT0_T1_jPSI_T2_SI_,"axG",@progbits,_ZN7rocprim17ROCPRIM_304000_NS6detail45device_block_merge_mergepath_partition_kernelINS1_37wrapped_merge_sort_block_merge_configINS0_14default_configE6__halfN2at4cuda3cub6detail10OpaqueTypeILi8EEEEEPS5_jNS1_19radix_merge_compareILb1ELb0ES5_NS0_19identity_decomposerEEEEEvT0_T1_jPSI_T2_SI_,comdat
.Lfunc_end184:
	.size	_ZN7rocprim17ROCPRIM_304000_NS6detail45device_block_merge_mergepath_partition_kernelINS1_37wrapped_merge_sort_block_merge_configINS0_14default_configE6__halfN2at4cuda3cub6detail10OpaqueTypeILi8EEEEEPS5_jNS1_19radix_merge_compareILb1ELb0ES5_NS0_19identity_decomposerEEEEEvT0_T1_jPSI_T2_SI_, .Lfunc_end184-_ZN7rocprim17ROCPRIM_304000_NS6detail45device_block_merge_mergepath_partition_kernelINS1_37wrapped_merge_sort_block_merge_configINS0_14default_configE6__halfN2at4cuda3cub6detail10OpaqueTypeILi8EEEEEPS5_jNS1_19radix_merge_compareILb1ELb0ES5_NS0_19identity_decomposerEEEEEvT0_T1_jPSI_T2_SI_
                                        ; -- End function
	.section	.AMDGPU.csdata,"",@progbits
; Kernel info:
; codeLenInByte = 412
; NumSgprs: 11
; NumVgprs: 16
; NumAgprs: 0
; TotalNumVgprs: 16
; ScratchSize: 0
; MemoryBound: 0
; FloatMode: 240
; IeeeMode: 1
; LDSByteSize: 0 bytes/workgroup (compile time only)
; SGPRBlocks: 1
; VGPRBlocks: 1
; NumSGPRsForWavesPerEU: 11
; NumVGPRsForWavesPerEU: 16
; AccumOffset: 16
; Occupancy: 8
; WaveLimiterHint : 0
; COMPUTE_PGM_RSRC2:SCRATCH_EN: 0
; COMPUTE_PGM_RSRC2:USER_SGPR: 6
; COMPUTE_PGM_RSRC2:TRAP_HANDLER: 0
; COMPUTE_PGM_RSRC2:TGID_X_EN: 1
; COMPUTE_PGM_RSRC2:TGID_Y_EN: 0
; COMPUTE_PGM_RSRC2:TGID_Z_EN: 0
; COMPUTE_PGM_RSRC2:TIDIG_COMP_CNT: 0
; COMPUTE_PGM_RSRC3_GFX90A:ACCUM_OFFSET: 3
; COMPUTE_PGM_RSRC3_GFX90A:TG_SPLIT: 0
	.section	.text._ZN7rocprim17ROCPRIM_304000_NS6detail35device_block_merge_mergepath_kernelINS1_37wrapped_merge_sort_block_merge_configINS0_14default_configE6__halfN2at4cuda3cub6detail10OpaqueTypeILi8EEEEEPS5_SD_PSB_SE_jNS1_19radix_merge_compareILb1ELb0ES5_NS0_19identity_decomposerEEEEEvT0_T1_T2_T3_T4_SM_jT5_PKSM_NS1_7vsmem_tE,"axG",@progbits,_ZN7rocprim17ROCPRIM_304000_NS6detail35device_block_merge_mergepath_kernelINS1_37wrapped_merge_sort_block_merge_configINS0_14default_configE6__halfN2at4cuda3cub6detail10OpaqueTypeILi8EEEEEPS5_SD_PSB_SE_jNS1_19radix_merge_compareILb1ELb0ES5_NS0_19identity_decomposerEEEEEvT0_T1_T2_T3_T4_SM_jT5_PKSM_NS1_7vsmem_tE,comdat
	.protected	_ZN7rocprim17ROCPRIM_304000_NS6detail35device_block_merge_mergepath_kernelINS1_37wrapped_merge_sort_block_merge_configINS0_14default_configE6__halfN2at4cuda3cub6detail10OpaqueTypeILi8EEEEEPS5_SD_PSB_SE_jNS1_19radix_merge_compareILb1ELb0ES5_NS0_19identity_decomposerEEEEEvT0_T1_T2_T3_T4_SM_jT5_PKSM_NS1_7vsmem_tE ; -- Begin function _ZN7rocprim17ROCPRIM_304000_NS6detail35device_block_merge_mergepath_kernelINS1_37wrapped_merge_sort_block_merge_configINS0_14default_configE6__halfN2at4cuda3cub6detail10OpaqueTypeILi8EEEEEPS5_SD_PSB_SE_jNS1_19radix_merge_compareILb1ELb0ES5_NS0_19identity_decomposerEEEEEvT0_T1_T2_T3_T4_SM_jT5_PKSM_NS1_7vsmem_tE
	.globl	_ZN7rocprim17ROCPRIM_304000_NS6detail35device_block_merge_mergepath_kernelINS1_37wrapped_merge_sort_block_merge_configINS0_14default_configE6__halfN2at4cuda3cub6detail10OpaqueTypeILi8EEEEEPS5_SD_PSB_SE_jNS1_19radix_merge_compareILb1ELb0ES5_NS0_19identity_decomposerEEEEEvT0_T1_T2_T3_T4_SM_jT5_PKSM_NS1_7vsmem_tE
	.p2align	8
	.type	_ZN7rocprim17ROCPRIM_304000_NS6detail35device_block_merge_mergepath_kernelINS1_37wrapped_merge_sort_block_merge_configINS0_14default_configE6__halfN2at4cuda3cub6detail10OpaqueTypeILi8EEEEEPS5_SD_PSB_SE_jNS1_19radix_merge_compareILb1ELb0ES5_NS0_19identity_decomposerEEEEEvT0_T1_T2_T3_T4_SM_jT5_PKSM_NS1_7vsmem_tE,@function
_ZN7rocprim17ROCPRIM_304000_NS6detail35device_block_merge_mergepath_kernelINS1_37wrapped_merge_sort_block_merge_configINS0_14default_configE6__halfN2at4cuda3cub6detail10OpaqueTypeILi8EEEEEPS5_SD_PSB_SE_jNS1_19radix_merge_compareILb1ELb0ES5_NS0_19identity_decomposerEEEEEvT0_T1_T2_T3_T4_SM_jT5_PKSM_NS1_7vsmem_tE: ; @_ZN7rocprim17ROCPRIM_304000_NS6detail35device_block_merge_mergepath_kernelINS1_37wrapped_merge_sort_block_merge_configINS0_14default_configE6__halfN2at4cuda3cub6detail10OpaqueTypeILi8EEEEEPS5_SD_PSB_SE_jNS1_19radix_merge_compareILb1ELb0ES5_NS0_19identity_decomposerEEEEEvT0_T1_T2_T3_T4_SM_jT5_PKSM_NS1_7vsmem_tE
; %bb.0:
	s_load_dwordx2 s[26:27], s[4:5], 0x40
	s_load_dwordx4 s[16:19], s[4:5], 0x20
	s_add_u32 s2, s4, 64
	s_addc_u32 s3, s5, 0
	s_waitcnt lgkmcnt(0)
	s_mul_i32 s0, s27, s8
	s_add_i32 s0, s0, s7
	s_mul_i32 s0, s0, s26
	s_add_i32 s0, s0, s6
	s_cmp_ge_u32 s0, s18
	s_cbranch_scc1 .LBB185_91
; %bb.1:
	s_load_dwordx8 s[8:15], s[4:5], 0x0
	s_load_dwordx2 s[18:19], s[4:5], 0x30
	s_lshr_b32 s29, s16, 10
	s_cmp_lg_u32 s0, s29
	s_mov_b32 s1, 0
	s_cselect_b64 s[20:21], -1, 0
	s_lshl_b64 s[4:5], s[0:1], 2
	s_waitcnt lgkmcnt(0)
	s_add_u32 s4, s18, s4
	s_addc_u32 s5, s19, s5
	s_load_dwordx2 s[22:23], s[4:5], 0x0
	s_lshr_b32 s4, s17, 9
	s_and_b32 s4, s4, 0x7ffffe
	s_sub_i32 s4, 0, s4
	s_and_b32 s5, s0, s4
	s_lshl_b32 s7, s5, 10
	s_lshl_b32 s18, s0, 10
	;; [unrolled: 1-line block ×3, first 2 shown]
	s_sub_i32 s19, s18, s7
	s_add_i32 s5, s5, s17
	s_add_i32 s19, s5, s19
	s_waitcnt lgkmcnt(0)
	s_sub_i32 s24, s19, s22
	s_sub_i32 s19, s19, s23
	;; [unrolled: 1-line block ×3, first 2 shown]
	s_min_u32 s24, s16, s24
	s_addk_i32 s19, 0x400
	s_or_b32 s4, s0, s4
	s_min_u32 s7, s16, s5
	s_add_i32 s5, s5, s17
	s_cmp_eq_u32 s4, -1
	s_cselect_b32 s4, s5, s19
	s_cselect_b32 s5, s7, s23
	s_min_u32 s4, s4, s16
	s_mov_b32 s23, s1
	s_sub_i32 s17, s5, s22
	s_sub_i32 s19, s4, s24
	s_lshl_b64 s[4:5], s[22:23], 1
	s_add_u32 s27, s8, s4
	s_mov_b32 s25, s1
	s_addc_u32 s28, s9, s5
	s_lshl_b64 s[4:5], s[24:25], 1
	s_add_u32 s7, s8, s4
	s_addc_u32 s8, s9, s5
	s_cmp_lt_u32 s6, s26
	v_mov_b32_e32 v7, 0
	s_cselect_b32 s1, 12, 18
	global_load_dword v1, v7, s[2:3] offset:14
	s_add_u32 s2, s2, s1
	s_addc_u32 s3, s3, 0
	global_load_ushort v2, v7, s[2:3]
	v_cmp_gt_u32_e32 vcc, s17, v0
	s_cmp_eq_u32 s0, s29
	s_waitcnt vmcnt(1)
	v_lshrrev_b32_e32 v3, 16, v1
	v_and_b32_e32 v1, 0xffff, v1
	v_mul_lo_u32 v1, v1, v3
	s_waitcnt vmcnt(0)
	v_mul_lo_u32 v10, v1, v2
	v_add_u32_e32 v4, v10, v0
	v_lshlrev_b32_e32 v1, 1, v0
	v_add_u32_e32 v2, v4, v10
	s_cbranch_scc1 .LBB185_3
; %bb.2:
	v_mov_b32_e32 v3, s28
	v_add_co_u32_e64 v5, s[0:1], s27, v1
	v_subrev_u32_e32 v6, s17, v0
	v_addc_co_u32_e64 v3, s[0:1], 0, v3, s[0:1]
	v_lshlrev_b64 v[8:9], 1, v[6:7]
	v_add_co_u32_e64 v8, s[0:1], s7, v8
	v_mov_b32_e32 v6, s8
	v_cndmask_b32_e32 v8, v8, v5, vcc
	v_mov_b32_e32 v5, v7
	v_addc_co_u32_e64 v6, s[0:1], v6, v9, s[0:1]
	v_lshlrev_b64 v[12:13], 1, v[4:5]
	v_cndmask_b32_e32 v9, v6, v3, vcc
	v_mov_b32_e32 v3, s28
	v_add_co_u32_e32 v5, vcc, s27, v12
	v_subrev_u32_e32 v6, s17, v4
	v_addc_co_u32_e32 v3, vcc, v3, v13, vcc
	v_lshlrev_b64 v[12:13], 1, v[6:7]
	global_load_ushort v8, v[8:9], off
	v_mov_b32_e32 v6, s8
	v_add_co_u32_e32 v9, vcc, s7, v12
	v_addc_co_u32_e32 v6, vcc, v6, v13, vcc
	v_cmp_gt_u32_e32 vcc, s17, v4
	v_cndmask_b32_e32 v13, v6, v3, vcc
	v_cndmask_b32_e32 v12, v9, v5, vcc
	v_mov_b32_e32 v3, v7
	global_load_ushort v9, v[12:13], off
	v_lshlrev_b64 v[12:13], 1, v[2:3]
	v_mov_b32_e32 v3, s28
	v_add_co_u32_e32 v5, vcc, s27, v12
	v_subrev_u32_e32 v6, s17, v2
	v_addc_co_u32_e32 v3, vcc, v3, v13, vcc
	v_lshlrev_b64 v[12:13], 1, v[6:7]
	v_mov_b32_e32 v6, s8
	v_add_co_u32_e32 v11, vcc, s7, v12
	v_addc_co_u32_e32 v6, vcc, v6, v13, vcc
	v_cmp_gt_u32_e32 vcc, s17, v2
	v_cndmask_b32_e32 v13, v6, v3, vcc
	v_cndmask_b32_e32 v12, v11, v5, vcc
	global_load_ushort v11, v[12:13], off
	v_add_u32_e32 v6, v2, v10
	v_lshlrev_b64 v[12:13], 1, v[6:7]
	v_mov_b32_e32 v3, s28
	v_add_co_u32_e32 v5, vcc, s27, v12
	v_addc_co_u32_e32 v3, vcc, v3, v13, vcc
	v_cmp_gt_u32_e32 vcc, s17, v6
	v_subrev_u32_e32 v6, s17, v6
	v_lshlrev_b64 v[6:7], 1, v[6:7]
	v_mov_b32_e32 v12, s8
	v_add_co_u32_e64 v6, s[0:1], s7, v6
	v_addc_co_u32_e64 v7, s[0:1], v12, v7, s[0:1]
	v_cndmask_b32_e32 v7, v7, v3, vcc
	v_cndmask_b32_e32 v6, v6, v5, vcc
	s_add_i32 s6, s19, s17
	s_mov_b64 s[2:3], -1
	s_cbranch_execz .LBB185_4
	s_branch .LBB185_13
.LBB185_3:
	s_mov_b64 s[2:3], 0
                                        ; implicit-def: $vgpr6_vgpr7
                                        ; implicit-def: $vgpr11
                                        ; implicit-def: $vgpr9
                                        ; implicit-def: $vgpr8
                                        ; implicit-def: $sgpr6
.LBB185_4:
	s_add_i32 s6, s19, s17
	v_cmp_gt_u32_e32 vcc, s6, v0
                                        ; implicit-def: $vgpr8
	s_and_saveexec_b64 s[0:1], vcc
	s_cbranch_execz .LBB185_6
; %bb.5:
	v_mov_b32_e32 v7, 0
	v_mov_b32_e32 v3, s28
	v_add_co_u32_e32 v5, vcc, s27, v1
	v_subrev_u32_e32 v6, s17, v0
	v_addc_co_u32_e32 v3, vcc, 0, v3, vcc
	v_lshlrev_b64 v[6:7], 1, v[6:7]
	s_waitcnt vmcnt(2)
	v_mov_b32_e32 v8, s8
	v_add_co_u32_e32 v6, vcc, s7, v6
	v_addc_co_u32_e32 v7, vcc, v8, v7, vcc
	v_cmp_gt_u32_e32 vcc, s17, v0
	v_cndmask_b32_e32 v7, v7, v3, vcc
	v_cndmask_b32_e32 v6, v6, v5, vcc
	global_load_ushort v8, v[6:7], off
.LBB185_6:
	s_or_b64 exec, exec, s[0:1]
	v_cmp_gt_u32_e32 vcc, s6, v4
                                        ; implicit-def: $vgpr9
	s_and_saveexec_b64 s[4:5], vcc
	s_cbranch_execz .LBB185_8
; %bb.7:
	v_mov_b32_e32 v5, 0
	v_lshlrev_b64 v[6:7], 1, v[4:5]
	v_mov_b32_e32 v3, s28
	v_add_co_u32_e32 v6, vcc, s27, v6
	v_addc_co_u32_e32 v3, vcc, v3, v7, vcc
	v_cmp_gt_u32_e32 vcc, s17, v4
	v_subrev_u32_e32 v4, s17, v4
	v_lshlrev_b64 v[4:5], 1, v[4:5]
	v_mov_b32_e32 v7, s8
	v_add_co_u32_e64 v4, s[0:1], s7, v4
	v_addc_co_u32_e64 v5, s[0:1], v7, v5, s[0:1]
	v_cndmask_b32_e32 v5, v5, v3, vcc
	v_cndmask_b32_e32 v4, v4, v6, vcc
	global_load_ushort v9, v[4:5], off
.LBB185_8:
	s_or_b64 exec, exec, s[4:5]
	v_cmp_gt_u32_e32 vcc, s6, v2
                                        ; implicit-def: $vgpr11
	s_and_saveexec_b64 s[0:1], vcc
	s_cbranch_execz .LBB185_10
; %bb.9:
	v_mov_b32_e32 v3, 0
	v_lshlrev_b64 v[4:5], 1, v[2:3]
	v_mov_b32_e32 v6, s28
	v_add_co_u32_e32 v7, vcc, s27, v4
	v_addc_co_u32_e32 v6, vcc, v6, v5, vcc
	v_subrev_u32_e32 v4, s17, v2
	v_mov_b32_e32 v5, v3
	v_lshlrev_b64 v[4:5], 1, v[4:5]
	v_mov_b32_e32 v3, s8
	v_add_co_u32_e32 v4, vcc, s7, v4
	v_addc_co_u32_e32 v3, vcc, v3, v5, vcc
	v_cmp_gt_u32_e32 vcc, s17, v2
	v_cndmask_b32_e32 v5, v3, v6, vcc
	v_cndmask_b32_e32 v4, v4, v7, vcc
	global_load_ushort v11, v[4:5], off
.LBB185_10:
	s_or_b64 exec, exec, s[0:1]
	v_add_u32_e32 v2, v2, v10
	v_cmp_gt_u32_e32 vcc, s6, v2
                                        ; implicit-def: $vgpr6_vgpr7
	s_and_saveexec_b64 s[4:5], vcc
	s_cbranch_execz .LBB185_12
; %bb.11:
	v_mov_b32_e32 v3, 0
	v_lshlrev_b64 v[4:5], 1, v[2:3]
	v_mov_b32_e32 v6, s28
	v_add_co_u32_e32 v4, vcc, s27, v4
	v_addc_co_u32_e32 v5, vcc, v6, v5, vcc
	v_cmp_gt_u32_e32 vcc, s17, v2
	v_subrev_u32_e32 v2, s17, v2
	v_lshlrev_b64 v[2:3], 1, v[2:3]
	v_mov_b32_e32 v6, s8
	v_add_co_u32_e64 v2, s[0:1], s7, v2
	v_addc_co_u32_e64 v3, s[0:1], v6, v3, s[0:1]
	v_cndmask_b32_e32 v7, v3, v5, vcc
	v_cndmask_b32_e32 v6, v2, v4, vcc
	s_or_b64 s[2:3], s[2:3], exec
.LBB185_12:
	s_or_b64 exec, exec, s[4:5]
.LBB185_13:
	v_mov_b32_e32 v10, s6
                                        ; implicit-def: $vgpr12
	s_and_saveexec_b64 s[0:1], s[2:3]
	s_cbranch_execz .LBB185_15
; %bb.14:
	global_load_ushort v12, v[6:7], off
	v_mov_b32_e32 v10, s6
.LBB185_15:
	s_or_b64 exec, exec, s[0:1]
	v_lshlrev_b32_e32 v6, 2, v0
	v_min_u32_e32 v2, v10, v6
	v_sub_u32_e64 v4, v2, s19 clamp
	v_min_u32_e32 v3, s17, v2
	v_cmp_lt_u32_e32 vcc, v4, v3
	s_waitcnt vmcnt(0)
	ds_write_b16 v1, v8
	ds_write_b16 v1, v9 offset:512
	ds_write_b16 v1, v11 offset:1024
	;; [unrolled: 1-line block ×3, first 2 shown]
	s_waitcnt lgkmcnt(0)
	s_barrier
	s_and_saveexec_b64 s[0:1], vcc
	s_cbranch_execz .LBB185_19
; %bb.16:
	v_lshlrev_b32_e32 v5, 1, v2
	v_lshl_add_u32 v5, s17, 1, v5
	s_mov_b64 s[2:3], 0
	s_movk_i32 s4, 0x8000
	v_mov_b32_e32 v7, 0xffff8000
.LBB185_17:                             ; =>This Inner Loop Header: Depth=1
	v_add_u32_e32 v13, v3, v4
	v_lshrrev_b32_e32 v14, 1, v13
	v_and_b32_e32 v13, -2, v13
	ds_read_u16 v13, v13
	v_not_b32_e32 v15, v14
	v_lshl_add_u32 v15, v15, 1, v5
	ds_read_u16 v15, v15
	v_add_u32_e32 v16, 1, v14
	s_waitcnt lgkmcnt(1)
	v_cmp_ne_u16_e32 vcc, s4, v13
	v_cndmask_b32_e32 v13, 0, v13, vcc
	v_cmp_lt_i16_e32 vcc, -1, v13
	v_cndmask_b32_e32 v17, -1, v7, vcc
	s_waitcnt lgkmcnt(0)
	v_cmp_ne_u16_e32 vcc, s4, v15
	v_cndmask_b32_e32 v15, 0, v15, vcc
	v_cmp_lt_i16_e32 vcc, -1, v15
	v_xor_b32_e32 v13, v17, v13
	v_cndmask_b32_e32 v17, -1, v7, vcc
	v_xor_b32_e32 v15, v17, v15
	v_cmp_gt_u16_e32 vcc, v15, v13
	v_cndmask_b32_e32 v3, v3, v14, vcc
	v_cndmask_b32_e32 v4, v16, v4, vcc
	v_cmp_ge_u32_e32 vcc, v4, v3
	s_or_b64 s[2:3], vcc, s[2:3]
	s_andn2_b64 exec, exec, s[2:3]
	s_cbranch_execnz .LBB185_17
; %bb.18:
	s_or_b64 exec, exec, s[2:3]
.LBB185_19:
	s_or_b64 exec, exec, s[0:1]
	v_sub_u32_e32 v2, v2, v4
	v_add_u32_e32 v5, s17, v2
	v_cmp_ge_u32_e32 vcc, s17, v4
	v_cmp_le_u32_e64 s[0:1], v5, v10
	s_or_b64 s[0:1], vcc, s[0:1]
                                        ; implicit-def: $vgpr14
                                        ; implicit-def: $vgpr15
                                        ; implicit-def: $vgpr13
                                        ; implicit-def: $vgpr7
	s_and_saveexec_b64 s[2:3], s[0:1]
	s_cbranch_execz .LBB185_39
; %bb.20:
	v_cmp_le_u32_e32 vcc, s17, v4
	v_cmp_gt_u32_e64 s[0:1], s17, v4
                                        ; implicit-def: $vgpr2
	s_and_saveexec_b64 s[4:5], s[0:1]
	s_cbranch_execz .LBB185_22
; %bb.21:
	v_lshlrev_b32_e32 v2, 1, v4
	ds_read_u16 v2, v2
.LBB185_22:
	s_or_b64 exec, exec, s[4:5]
	v_cmp_ge_u32_e64 s[4:5], v5, v10
	v_cmp_lt_u32_e64 s[0:1], v5, v10
                                        ; implicit-def: $vgpr3
	s_and_saveexec_b64 s[6:7], s[0:1]
	s_cbranch_execz .LBB185_24
; %bb.23:
	v_lshlrev_b32_e32 v3, 1, v5
	ds_read_u16 v3, v3
.LBB185_24:
	s_or_b64 exec, exec, s[6:7]
	s_or_b64 s[6:7], vcc, s[4:5]
	s_mov_b64 s[0:1], -1
	s_xor_b64 s[8:9], s[6:7], -1
	s_and_saveexec_b64 s[6:7], s[8:9]
	s_cbranch_execz .LBB185_26
; %bb.25:
	s_movk_i32 s8, 0x8000
	s_waitcnt lgkmcnt(0)
	v_cmp_ne_u16_e32 vcc, s8, v3
	v_cndmask_b32_e32 v7, 0, v3, vcc
	v_cmp_ne_u16_e32 vcc, s8, v2
	v_cndmask_b32_e32 v8, 0, v2, vcc
	v_mov_b32_e32 v9, 0xffff8000
	v_cmp_lt_i16_e32 vcc, -1, v7
	v_cndmask_b32_e32 v11, -1, v9, vcc
	v_cmp_lt_i16_e32 vcc, -1, v8
	v_cndmask_b32_e32 v9, -1, v9, vcc
	v_xor_b32_e32 v7, v11, v7
	v_xor_b32_e32 v8, v9, v8
	v_cmp_le_u16_e32 vcc, v7, v8
	s_andn2_b64 s[4:5], s[4:5], exec
	s_and_b64 s[8:9], vcc, exec
	s_or_b64 s[4:5], s[4:5], s[8:9]
.LBB185_26:
	s_or_b64 exec, exec, s[6:7]
	v_mov_b32_e32 v8, s17
	v_cndmask_b32_e64 v7, v5, v4, s[4:5]
	v_cndmask_b32_e64 v8, v10, v8, s[4:5]
	v_add_u32_e32 v11, 1, v7
	v_add_u32_e32 v8, -1, v8
	v_min_u32_e32 v8, v11, v8
	v_lshlrev_b32_e32 v8, 1, v8
	ds_read_u16 v8, v8
	v_cndmask_b32_e64 v9, v11, v5, s[4:5]
	v_cndmask_b32_e64 v12, v4, v11, s[4:5]
	v_cmp_lt_u32_e32 vcc, v9, v10
	s_waitcnt lgkmcnt(0)
	v_cndmask_b32_e64 v5, v8, v3, s[4:5]
	v_cndmask_b32_e64 v8, v2, v8, s[4:5]
	s_and_saveexec_b64 s[6:7], vcc
	s_cbranch_execz .LBB185_30
; %bb.27:
	v_cmp_gt_u32_e32 vcc, s17, v12
	s_mov_b64 s[8:9], 0
	s_and_saveexec_b64 s[0:1], vcc
	s_cbranch_execz .LBB185_29
; %bb.28:
	s_movk_i32 s8, 0x8000
	v_cmp_ne_u16_e32 vcc, s8, v5
	v_cndmask_b32_e32 v4, 0, v5, vcc
	v_cmp_ne_u16_e32 vcc, s8, v8
	v_cndmask_b32_e32 v11, 0, v8, vcc
	v_mov_b32_e32 v13, 0xffff8000
	v_cmp_lt_i16_e32 vcc, -1, v4
	v_cndmask_b32_e32 v14, -1, v13, vcc
	v_cmp_lt_i16_e32 vcc, -1, v11
	v_cndmask_b32_e32 v13, -1, v13, vcc
	v_xor_b32_e32 v4, v14, v4
	v_xor_b32_e32 v11, v13, v11
	v_cmp_le_u16_e32 vcc, v4, v11
	s_and_b64 s[8:9], vcc, exec
.LBB185_29:
	s_or_b64 exec, exec, s[0:1]
	s_orn2_b64 s[0:1], s[8:9], exec
.LBB185_30:
	s_or_b64 exec, exec, s[6:7]
	v_mov_b32_e32 v4, s17
	v_cndmask_b32_e64 v13, v9, v12, s[0:1]
	v_cndmask_b32_e64 v4, v10, v4, s[0:1]
	v_add_u32_e32 v14, 1, v13
	v_add_u32_e32 v4, -1, v4
	v_min_u32_e32 v4, v14, v4
	v_lshlrev_b32_e32 v4, 1, v4
	ds_read_u16 v15, v4
	v_cndmask_b32_e64 v11, v14, v9, s[0:1]
	v_cndmask_b32_e64 v12, v12, v14, s[0:1]
	v_cmp_lt_u32_e32 vcc, v11, v10
	s_mov_b64 s[6:7], -1
	s_waitcnt lgkmcnt(0)
	v_cndmask_b32_e64 v4, v15, v5, s[0:1]
	v_cndmask_b32_e64 v9, v8, v15, s[0:1]
	s_mov_b64 s[8:9], -1
	s_and_saveexec_b64 s[26:27], vcc
	s_cbranch_execz .LBB185_34
; %bb.31:
	v_cmp_gt_u32_e32 vcc, s17, v12
	s_mov_b64 s[28:29], 0
	s_and_saveexec_b64 s[8:9], vcc
	s_cbranch_execz .LBB185_33
; %bb.32:
	s_movk_i32 s28, 0x8000
	v_cmp_ne_u16_e32 vcc, s28, v4
	v_cndmask_b32_e32 v14, 0, v4, vcc
	v_cmp_ne_u16_e32 vcc, s28, v9
	v_cndmask_b32_e32 v15, 0, v9, vcc
	v_mov_b32_e32 v16, 0xffff8000
	v_cmp_lt_i16_e32 vcc, -1, v14
	v_cndmask_b32_e32 v17, -1, v16, vcc
	v_cmp_lt_i16_e32 vcc, -1, v15
	v_cndmask_b32_e32 v16, -1, v16, vcc
	v_xor_b32_e32 v14, v17, v14
	v_xor_b32_e32 v15, v16, v15
	v_cmp_le_u16_e32 vcc, v14, v15
	s_and_b64 s[28:29], vcc, exec
.LBB185_33:
	s_or_b64 exec, exec, s[8:9]
	s_orn2_b64 s[8:9], s[28:29], exec
.LBB185_34:
	s_or_b64 exec, exec, s[26:27]
	v_mov_b32_e32 v14, s17
	v_cndmask_b32_e64 v15, v11, v12, s[8:9]
	v_cndmask_b32_e64 v14, v10, v14, s[8:9]
	v_add_u32_e32 v18, 1, v15
	v_add_u32_e32 v14, -1, v14
	v_min_u32_e32 v14, v18, v14
	v_lshlrev_b32_e32 v14, 1, v14
	ds_read_u16 v17, v14
	v_cndmask_b32_e64 v14, v18, v11, s[8:9]
	v_cndmask_b32_e64 v12, v12, v18, s[8:9]
	v_cmp_lt_u32_e32 vcc, v14, v10
	s_waitcnt lgkmcnt(0)
	v_cndmask_b32_e64 v16, v17, v4, s[8:9]
	v_cndmask_b32_e64 v17, v9, v17, s[8:9]
	s_and_saveexec_b64 s[26:27], vcc
	s_cbranch_execz .LBB185_38
; %bb.35:
	v_cmp_gt_u32_e32 vcc, s17, v12
	s_mov_b64 s[28:29], 0
	s_and_saveexec_b64 s[6:7], vcc
	s_cbranch_execz .LBB185_37
; %bb.36:
	s_movk_i32 s28, 0x8000
	v_cmp_ne_u16_e32 vcc, s28, v16
	v_cndmask_b32_e32 v11, 0, v16, vcc
	v_cmp_ne_u16_e32 vcc, s28, v17
	v_cndmask_b32_e32 v18, 0, v17, vcc
	v_mov_b32_e32 v19, 0xffff8000
	v_cmp_lt_i16_e32 vcc, -1, v11
	v_cndmask_b32_e32 v20, -1, v19, vcc
	v_cmp_lt_i16_e32 vcc, -1, v18
	v_cndmask_b32_e32 v19, -1, v19, vcc
	v_xor_b32_e32 v11, v20, v11
	v_xor_b32_e32 v18, v19, v18
	v_cmp_le_u16_e32 vcc, v11, v18
	s_and_b64 s[28:29], vcc, exec
.LBB185_37:
	s_or_b64 exec, exec, s[6:7]
	s_orn2_b64 s[6:7], s[28:29], exec
.LBB185_38:
	s_or_b64 exec, exec, s[26:27]
	v_cndmask_b32_e64 v11, v4, v9, s[8:9]
	v_cndmask_b32_e64 v9, v5, v8, s[0:1]
	;; [unrolled: 1-line block ×5, first 2 shown]
.LBB185_39:
	s_or_b64 exec, exec, s[2:3]
	s_lshl_b64 s[0:1], s[22:23], 3
	s_add_u32 s26, s12, s0
	s_addc_u32 s27, s13, s1
	s_lshl_b64 s[0:1], s[24:25], 3
	s_add_u32 s28, s12, s0
	v_cndmask_b32_e64 v2, 0, 1, s[20:21]
	s_addc_u32 s29, s13, s1
	v_cmp_gt_u32_e64 s[4:5], s17, v0
	v_cmp_ne_u32_e64 s[0:1], 1, v2
	s_andn2_b64 vcc, exec, s[20:21]
	v_cmp_le_u32_e64 s[2:3], s17, v0
	s_barrier
	s_cbranch_vccnz .LBB185_41
; %bb.40:
	v_subrev_u32_e32 v2, s17, v0
	v_mov_b32_e32 v3, 0
	v_lshlrev_b64 v[4:5], 3, v[2:3]
	v_mov_b32_e32 v2, s29
	v_add_co_u32_e32 v4, vcc, s28, v4
	v_addc_co_u32_e32 v2, vcc, v2, v5, vcc
	v_lshlrev_b32_e32 v22, 3, v0
	v_mov_b32_e32 v5, s27
	v_add_co_u32_e32 v23, vcc, s26, v22
	v_addc_co_u32_e32 v24, vcc, 0, v5, vcc
	v_cndmask_b32_e64 v5, v2, v24, s[4:5]
	v_cndmask_b32_e64 v4, v4, v23, s[4:5]
	v_or_b32_e32 v18, 0x100, v0
	s_movk_i32 s4, 0x800
	v_add_co_u32_e32 v19, vcc, s4, v23
	v_subrev_u32_e32 v2, s17, v18
	v_addc_co_u32_e32 v20, vcc, 0, v24, vcc
	v_lshlrev_b64 v[16:17], 3, v[2:3]
	v_mov_b32_e32 v2, s29
	v_add_co_u32_e32 v16, vcc, s28, v16
	v_addc_co_u32_e32 v2, vcc, v2, v17, vcc
	v_cmp_gt_u32_e32 vcc, s17, v18
	v_cndmask_b32_e32 v17, v2, v20, vcc
	v_or_b32_e32 v20, 0x200, v0
	s_movk_i32 s4, 0x1000
	v_cndmask_b32_e32 v16, v16, v19, vcc
	v_add_co_u32_e32 v21, vcc, s4, v23
	v_subrev_u32_e32 v2, s17, v20
	global_load_dwordx2 v[18:19], v[16:17], off
	v_addc_co_u32_e32 v25, vcc, 0, v24, vcc
	v_lshlrev_b64 v[16:17], 3, v[2:3]
	v_mov_b32_e32 v2, s29
	v_add_co_u32_e32 v16, vcc, s28, v16
	v_addc_co_u32_e32 v2, vcc, v2, v17, vcc
	v_cmp_gt_u32_e32 vcc, s17, v20
	global_load_dwordx2 v[4:5], v[4:5], off
	v_cndmask_b32_e32 v17, v2, v25, vcc
	v_cndmask_b32_e32 v16, v16, v21, vcc
	global_load_dwordx2 v[20:21], v[16:17], off
	v_or_b32_e32 v17, 0x300, v0
	s_movk_i32 s4, 0x1800
	v_add_co_u32_e32 v23, vcc, s4, v23
	v_subrev_u32_e32 v2, s17, v17
	v_addc_co_u32_e32 v24, vcc, 0, v24, vcc
	v_lshlrev_b64 v[2:3], 3, v[2:3]
	v_mov_b32_e32 v25, s29
	v_add_co_u32_e32 v2, vcc, s28, v2
	v_addc_co_u32_e32 v3, vcc, v25, v3, vcc
	v_cmp_gt_u32_e32 vcc, s17, v17
	v_or_b32_e32 v16, 0x1800, v22
	v_cndmask_b32_e32 v3, v3, v24, vcc
	v_cndmask_b32_e32 v2, v2, v23, vcc
	s_mov_b64 s[4:5], -1
	s_waitcnt vmcnt(1)
	ds_write2st64_b64 v22, v[4:5], v[18:19] offset1:4
	s_waitcnt vmcnt(0)
	ds_write_b64 v22, v[20:21] offset:4096
	s_cbranch_execz .LBB185_42
	s_branch .LBB185_63
.LBB185_41:
	s_mov_b64 s[4:5], 0
                                        ; implicit-def: $vgpr16
                                        ; implicit-def: $vgpr2_vgpr3
.LBB185_42:
	s_mov_b64 s[6:7], 0
                                        ; implicit-def: $vgpr2_vgpr3
	s_and_saveexec_b64 s[8:9], s[2:3]
	s_xor_b64 s[2:3], exec, s[8:9]
	s_cbranch_execz .LBB185_67
; %bb.43:
	v_subrev_u32_e32 v4, s17, v0
	v_cmp_gt_u32_e32 vcc, s19, v4
                                        ; implicit-def: $vgpr2_vgpr3
	s_and_saveexec_b64 s[8:9], vcc
	s_xor_b64 s[8:9], exec, s[8:9]
; %bb.44:
	v_mov_b32_e32 v5, 0
	v_lshlrev_b64 v[2:3], 3, v[4:5]
	v_mov_b32_e32 v4, s29
	v_add_co_u32_e32 v2, vcc, s28, v2
	s_mov_b64 s[6:7], exec
	v_addc_co_u32_e32 v3, vcc, v4, v3, vcc
; %bb.45:
	s_or_b64 exec, exec, s[8:9]
	s_and_b64 s[6:7], s[6:7], exec
	s_andn2_saveexec_b64 s[2:3], s[2:3]
	s_cbranch_execnz .LBB185_68
.LBB185_46:
	s_or_b64 exec, exec, s[2:3]
	v_mad_u32_u24 v16, v0, 6, v1
	s_and_saveexec_b64 s[2:3], s[6:7]
	s_cbranch_execz .LBB185_48
.LBB185_47:
	global_load_dwordx2 v[2:3], v[2:3], off
	s_waitcnt vmcnt(0)
	ds_write_b64 v16, v[2:3]
.LBB185_48:
	s_or_b64 exec, exec, s[2:3]
	v_or_b32_e32 v2, 0x100, v0
	v_cmp_le_u32_e32 vcc, s17, v2
	s_mov_b64 s[6:7], -1
	v_pk_mov_b32 v[4:5], s[22:23], s[22:23] op_sel:[0,1]
	s_and_saveexec_b64 s[2:3], vcc
; %bb.49:
	v_subrev_u32_e32 v2, s17, v2
	v_cmp_gt_u32_e32 vcc, s19, v2
	v_pk_mov_b32 v[4:5], s[24:25], s[24:25] op_sel:[0,1]
	s_orn2_b64 s[6:7], vcc, exec
; %bb.50:
	s_or_b64 exec, exec, s[2:3]
	s_and_saveexec_b64 s[2:3], s[6:7]
	s_cbranch_execz .LBB185_52
; %bb.51:
	v_lshlrev_b64 v[4:5], 3, v[4:5]
	v_mov_b32_e32 v3, s13
	v_add_co_u32_e32 v4, vcc, s12, v4
	v_addc_co_u32_e32 v5, vcc, v3, v5, vcc
	v_mov_b32_e32 v3, 0
	v_lshlrev_b64 v[2:3], 3, v[2:3]
	v_add_co_u32_e32 v2, vcc, v4, v2
	v_addc_co_u32_e32 v3, vcc, v5, v3, vcc
	global_load_dwordx2 v[2:3], v[2:3], off
	s_waitcnt vmcnt(0)
	ds_write_b64 v16, v[2:3] offset:2048
.LBB185_52:
	s_or_b64 exec, exec, s[2:3]
	v_or_b32_e32 v2, 0x200, v0
	v_cmp_le_u32_e32 vcc, s17, v2
	s_mov_b64 s[6:7], -1
	v_pk_mov_b32 v[4:5], s[22:23], s[22:23] op_sel:[0,1]
	s_and_saveexec_b64 s[2:3], vcc
; %bb.53:
	v_subrev_u32_e32 v2, s17, v2
	v_cmp_gt_u32_e32 vcc, s19, v2
	v_pk_mov_b32 v[4:5], s[24:25], s[24:25] op_sel:[0,1]
	s_orn2_b64 s[6:7], vcc, exec
; %bb.54:
	s_or_b64 exec, exec, s[2:3]
	s_and_saveexec_b64 s[2:3], s[6:7]
	s_cbranch_execz .LBB185_56
; %bb.55:
	v_lshlrev_b64 v[4:5], 3, v[4:5]
	v_mov_b32_e32 v3, s13
	v_add_co_u32_e32 v4, vcc, s12, v4
	v_addc_co_u32_e32 v5, vcc, v3, v5, vcc
	v_mov_b32_e32 v3, 0
	v_lshlrev_b64 v[2:3], 3, v[2:3]
	v_add_co_u32_e32 v2, vcc, v4, v2
	v_addc_co_u32_e32 v3, vcc, v5, v3, vcc
	global_load_dwordx2 v[2:3], v[2:3], off
	s_waitcnt vmcnt(0)
	ds_write_b64 v16, v[2:3] offset:4096
.LBB185_56:
	s_or_b64 exec, exec, s[2:3]
	v_or_b32_e32 v4, 0x300, v0
	v_cmp_le_u32_e32 vcc, s17, v4
                                        ; implicit-def: $vgpr16
                                        ; implicit-def: $vgpr2_vgpr3
	s_and_saveexec_b64 s[2:3], vcc
	s_xor_b64 s[2:3], exec, s[2:3]
	s_cbranch_execz .LBB185_60
; %bb.57:
	v_subrev_u32_e32 v4, s17, v4
	v_cmp_gt_u32_e32 vcc, s19, v4
	s_mov_b64 s[8:9], s[4:5]
                                        ; implicit-def: $vgpr16
                                        ; implicit-def: $vgpr2_vgpr3
	s_and_saveexec_b64 s[6:7], vcc
; %bb.58:
	v_mul_u32_u24_e32 v2, 6, v0
	s_movk_i32 s8, 0x1800
	v_mov_b32_e32 v5, 0
	v_add3_u32 v16, v1, v2, s8
	v_lshlrev_b64 v[2:3], 3, v[4:5]
	v_mov_b32_e32 v4, s29
	v_add_co_u32_e32 v2, vcc, s28, v2
	v_addc_co_u32_e32 v3, vcc, v4, v3, vcc
	s_or_b64 s[8:9], s[4:5], exec
; %bb.59:
	s_or_b64 exec, exec, s[6:7]
	s_andn2_b64 s[4:5], s[4:5], exec
	s_and_b64 s[6:7], s[8:9], exec
	s_or_b64 s[4:5], s[4:5], s[6:7]
                                        ; implicit-def: $vgpr4
.LBB185_60:
	s_andn2_saveexec_b64 s[2:3], s[2:3]
; %bb.61:
	v_lshlrev_b32_e32 v2, 3, v4
	v_mov_b32_e32 v3, s27
	v_add_co_u32_e32 v2, vcc, s26, v2
	v_mul_u32_u24_e32 v4, 6, v0
	s_movk_i32 s6, 0x1800
	v_addc_co_u32_e32 v3, vcc, 0, v3, vcc
	v_add3_u32 v16, v1, v4, s6
	s_or_b64 s[4:5], s[4:5], exec
; %bb.62:
	s_or_b64 exec, exec, s[2:3]
.LBB185_63:
	s_and_saveexec_b64 s[2:3], s[4:5]
	s_cbranch_execz .LBB185_65
; %bb.64:
	global_load_dwordx2 v[2:3], v[2:3], off
	s_waitcnt vmcnt(0)
	ds_write_b64 v16, v[2:3]
.LBB185_65:
	s_or_b64 exec, exec, s[2:3]
	s_and_b64 vcc, exec, s[0:1]
	v_add_u32_e32 v2, s18, v6
	s_waitcnt lgkmcnt(0)
	s_barrier
	s_cbranch_vccnz .LBB185_69
; %bb.66:
	v_lshlrev_b32_e32 v16, 3, v7
	v_lshlrev_b32_e32 v18, 3, v13
	;; [unrolled: 1-line block ×3, first 2 shown]
	ds_read_b64 v[16:17], v16
	ds_read_b64 v[18:19], v18
	;; [unrolled: 1-line block ×3, first 2 shown]
	v_mov_b32_e32 v3, 0
	v_lshlrev_b64 v[4:5], 3, v[2:3]
	v_mov_b32_e32 v22, s15
	v_add_co_u32_e32 v4, vcc, s14, v4
	v_addc_co_u32_e32 v5, vcc, v22, v5, vcc
	s_mov_b64 s[0:1], -1
	s_waitcnt lgkmcnt(1)
	global_store_dwordx4 v[4:5], v[16:19], off
	s_waitcnt lgkmcnt(0)
	global_store_dwordx2 v[4:5], v[20:21], off offset:16
	s_cbranch_execz .LBB185_70
	s_branch .LBB185_79
.LBB185_67:
	s_andn2_saveexec_b64 s[2:3], s[2:3]
	s_cbranch_execz .LBB185_46
.LBB185_68:
	v_lshlrev_b32_e32 v2, 3, v0
	v_mov_b32_e32 v3, s27
	v_add_co_u32_e32 v2, vcc, s26, v2
	v_addc_co_u32_e32 v3, vcc, 0, v3, vcc
	s_or_b64 s[6:7], s[6:7], exec
	s_or_b64 exec, exec, s[2:3]
	v_mad_u32_u24 v16, v0, 6, v1
	s_and_saveexec_b64 s[2:3], s[6:7]
	s_cbranch_execnz .LBB185_47
	s_branch .LBB185_48
.LBB185_69:
	s_mov_b64 s[0:1], 0
.LBB185_70:
	v_cmp_lt_u32_e32 vcc, v6, v10
	s_and_saveexec_b64 s[2:3], vcc
	s_cbranch_execz .LBB185_72
; %bb.71:
	v_lshlrev_b32_e32 v7, 3, v7
	ds_read_b64 v[16:17], v7
	v_mov_b32_e32 v3, 0
	v_lshlrev_b64 v[4:5], 3, v[2:3]
	v_mov_b32_e32 v3, s15
	v_add_co_u32_e32 v4, vcc, s14, v4
	v_addc_co_u32_e32 v5, vcc, v3, v5, vcc
	s_waitcnt lgkmcnt(0)
	global_store_dwordx2 v[4:5], v[16:17], off
.LBB185_72:
	s_or_b64 exec, exec, s[2:3]
	v_or_b32_e32 v3, 1, v6
	v_cmp_lt_u32_e32 vcc, v3, v10
	s_and_saveexec_b64 s[2:3], vcc
	s_cbranch_execz .LBB185_74
; %bb.73:
	v_lshlrev_b32_e32 v7, 3, v13
	ds_read_b64 v[16:17], v7
	v_mov_b32_e32 v3, 0
	v_lshlrev_b64 v[4:5], 3, v[2:3]
	v_mov_b32_e32 v3, s15
	v_add_co_u32_e32 v4, vcc, s14, v4
	v_addc_co_u32_e32 v5, vcc, v3, v5, vcc
	s_waitcnt lgkmcnt(0)
	global_store_dwordx2 v[4:5], v[16:17], off offset:8
.LBB185_74:
	s_or_b64 exec, exec, s[2:3]
	v_or_b32_e32 v3, 2, v6
	v_cmp_lt_u32_e32 vcc, v3, v10
	s_and_saveexec_b64 s[2:3], vcc
	s_cbranch_execz .LBB185_76
; %bb.75:
	v_lshlrev_b32_e32 v7, 3, v15
	ds_read_b64 v[16:17], v7
	v_mov_b32_e32 v3, 0
	v_lshlrev_b64 v[4:5], 3, v[2:3]
	v_mov_b32_e32 v3, s15
	v_add_co_u32_e32 v4, vcc, s14, v4
	v_addc_co_u32_e32 v5, vcc, v3, v5, vcc
	s_waitcnt lgkmcnt(0)
	global_store_dwordx2 v[4:5], v[16:17], off offset:16
.LBB185_76:
	s_or_b64 exec, exec, s[2:3]
	v_or_b32_e32 v3, 3, v6
	v_cmp_lt_u32_e32 vcc, v3, v10
	s_and_saveexec_b64 s[2:3], vcc
; %bb.77:
	v_mov_b32_e32 v3, 0
	s_or_b64 s[0:1], s[0:1], exec
; %bb.78:
	s_or_b64 exec, exec, s[2:3]
.LBB185_79:
	s_and_saveexec_b64 s[2:3], s[0:1]
	s_cbranch_execz .LBB185_81
; %bb.80:
	v_lshlrev_b32_e32 v4, 3, v14
	ds_read_b64 v[4:5], v4
	v_lshlrev_b64 v[2:3], 3, v[2:3]
	v_mov_b32_e32 v7, s15
	v_add_co_u32_e32 v2, vcc, s14, v2
	v_addc_co_u32_e32 v3, vcc, v7, v3, vcc
	s_waitcnt lgkmcnt(0)
	global_store_dwordx2 v[2:3], v[4:5], off offset:24
.LBB185_81:
	s_or_b64 exec, exec, s[2:3]
	v_lshrrev_b32_e32 v2, 3, v0
	v_and_b32_e32 v2, 30, v2
	s_mov_b32 s2, 0x5040100
	v_add_lshl_u32 v2, v2, v6, 1
	v_perm_b32 v3, v12, v11, s2
	v_perm_b32 v4, v9, v8, s2
	s_barrier
	s_barrier
	ds_write2_b32 v2, v4, v3 offset1:1
	v_lshrrev_b32_e32 v2, 4, v0
	v_and_b32_e32 v2, 12, v2
	v_or_b32_e32 v6, 0x100, v0
	v_add_u32_e32 v7, v1, v2
	v_lshrrev_b32_e32 v2, 4, v6
	v_and_b32_e32 v2, 28, v2
	v_or_b32_e32 v5, 0x200, v0
	s_mov_b32 s19, 0
	v_add_u32_e32 v8, v1, v2
	v_lshrrev_b32_e32 v2, 4, v5
	s_lshl_b64 s[0:1], s[18:19], 1
	v_and_b32_e32 v2, 44, v2
	v_or_b32_e32 v4, 0x300, v0
	s_add_u32 s0, s10, s0
	v_add_u32_e32 v9, v1, v2
	v_lshrrev_b32_e32 v2, 4, v4
	s_addc_u32 s1, s11, s1
	v_and_b32_e32 v2, 60, v2
	v_add_u32_e32 v10, v1, v2
	v_mov_b32_e32 v3, s1
	v_add_co_u32_e32 v2, vcc, s0, v1
	v_addc_co_u32_e32 v3, vcc, 0, v3, vcc
	s_and_b64 vcc, exec, s[20:21]
	s_waitcnt lgkmcnt(0)
	s_cbranch_vccz .LBB185_83
; %bb.82:
	s_barrier
	ds_read_u16 v11, v7
	ds_read_u16 v12, v8 offset:512
	ds_read_u16 v13, v9 offset:1024
	ds_read_u16 v1, v10 offset:1536
	s_waitcnt lgkmcnt(3)
	global_store_short v[2:3], v11, off
	s_waitcnt lgkmcnt(2)
	global_store_short v[2:3], v12, off offset:512
	s_waitcnt lgkmcnt(1)
	global_store_short v[2:3], v13, off offset:1024
	s_mov_b64 s[0:1], -1
	s_cbranch_execz .LBB185_84
	s_branch .LBB185_89
.LBB185_83:
	s_mov_b64 s[0:1], 0
                                        ; implicit-def: $vgpr1
.LBB185_84:
	s_barrier
	s_waitcnt lgkmcnt(0)
	ds_read_u16 v11, v8 offset:512
	ds_read_u16 v8, v9 offset:1024
	;; [unrolled: 1-line block ×3, first 2 shown]
	s_sub_i32 s2, s16, s18
	v_cmp_gt_u32_e32 vcc, s2, v0
	s_and_saveexec_b64 s[0:1], vcc
	s_cbranch_execz .LBB185_92
; %bb.85:
	ds_read_u16 v0, v7
	s_waitcnt lgkmcnt(0)
	global_store_short v[2:3], v0, off
	s_or_b64 exec, exec, s[0:1]
	v_cmp_gt_u32_e32 vcc, s2, v6
	s_and_saveexec_b64 s[0:1], vcc
	s_cbranch_execnz .LBB185_93
.LBB185_86:
	s_or_b64 exec, exec, s[0:1]
	v_cmp_gt_u32_e32 vcc, s2, v5
	s_and_saveexec_b64 s[0:1], vcc
	s_cbranch_execz .LBB185_88
.LBB185_87:
	s_waitcnt lgkmcnt(1)
	global_store_short v[2:3], v8, off offset:1024
.LBB185_88:
	s_or_b64 exec, exec, s[0:1]
	v_cmp_gt_u32_e64 s[0:1], s2, v4
.LBB185_89:
	s_and_saveexec_b64 s[2:3], s[0:1]
	s_cbranch_execz .LBB185_91
; %bb.90:
	s_waitcnt lgkmcnt(0)
	global_store_short v[2:3], v1, off offset:1536
.LBB185_91:
	s_endpgm
.LBB185_92:
	s_or_b64 exec, exec, s[0:1]
	v_cmp_gt_u32_e32 vcc, s2, v6
	s_and_saveexec_b64 s[0:1], vcc
	s_cbranch_execz .LBB185_86
.LBB185_93:
	s_waitcnt lgkmcnt(2)
	global_store_short v[2:3], v11, off offset:512
	s_or_b64 exec, exec, s[0:1]
	v_cmp_gt_u32_e32 vcc, s2, v5
	s_and_saveexec_b64 s[0:1], vcc
	s_cbranch_execnz .LBB185_87
	s_branch .LBB185_88
	.section	.rodata,"a",@progbits
	.p2align	6, 0x0
	.amdhsa_kernel _ZN7rocprim17ROCPRIM_304000_NS6detail35device_block_merge_mergepath_kernelINS1_37wrapped_merge_sort_block_merge_configINS0_14default_configE6__halfN2at4cuda3cub6detail10OpaqueTypeILi8EEEEEPS5_SD_PSB_SE_jNS1_19radix_merge_compareILb1ELb0ES5_NS0_19identity_decomposerEEEEEvT0_T1_T2_T3_T4_SM_jT5_PKSM_NS1_7vsmem_tE
		.amdhsa_group_segment_fixed_size 8208
		.amdhsa_private_segment_fixed_size 0
		.amdhsa_kernarg_size 320
		.amdhsa_user_sgpr_count 6
		.amdhsa_user_sgpr_private_segment_buffer 1
		.amdhsa_user_sgpr_dispatch_ptr 0
		.amdhsa_user_sgpr_queue_ptr 0
		.amdhsa_user_sgpr_kernarg_segment_ptr 1
		.amdhsa_user_sgpr_dispatch_id 0
		.amdhsa_user_sgpr_flat_scratch_init 0
		.amdhsa_user_sgpr_kernarg_preload_length 0
		.amdhsa_user_sgpr_kernarg_preload_offset 0
		.amdhsa_user_sgpr_private_segment_size 0
		.amdhsa_uses_dynamic_stack 0
		.amdhsa_system_sgpr_private_segment_wavefront_offset 0
		.amdhsa_system_sgpr_workgroup_id_x 1
		.amdhsa_system_sgpr_workgroup_id_y 1
		.amdhsa_system_sgpr_workgroup_id_z 1
		.amdhsa_system_sgpr_workgroup_info 0
		.amdhsa_system_vgpr_workitem_id 0
		.amdhsa_next_free_vgpr 26
		.amdhsa_next_free_sgpr 30
		.amdhsa_accum_offset 28
		.amdhsa_reserve_vcc 1
		.amdhsa_reserve_flat_scratch 0
		.amdhsa_float_round_mode_32 0
		.amdhsa_float_round_mode_16_64 0
		.amdhsa_float_denorm_mode_32 3
		.amdhsa_float_denorm_mode_16_64 3
		.amdhsa_dx10_clamp 1
		.amdhsa_ieee_mode 1
		.amdhsa_fp16_overflow 0
		.amdhsa_tg_split 0
		.amdhsa_exception_fp_ieee_invalid_op 0
		.amdhsa_exception_fp_denorm_src 0
		.amdhsa_exception_fp_ieee_div_zero 0
		.amdhsa_exception_fp_ieee_overflow 0
		.amdhsa_exception_fp_ieee_underflow 0
		.amdhsa_exception_fp_ieee_inexact 0
		.amdhsa_exception_int_div_zero 0
	.end_amdhsa_kernel
	.section	.text._ZN7rocprim17ROCPRIM_304000_NS6detail35device_block_merge_mergepath_kernelINS1_37wrapped_merge_sort_block_merge_configINS0_14default_configE6__halfN2at4cuda3cub6detail10OpaqueTypeILi8EEEEEPS5_SD_PSB_SE_jNS1_19radix_merge_compareILb1ELb0ES5_NS0_19identity_decomposerEEEEEvT0_T1_T2_T3_T4_SM_jT5_PKSM_NS1_7vsmem_tE,"axG",@progbits,_ZN7rocprim17ROCPRIM_304000_NS6detail35device_block_merge_mergepath_kernelINS1_37wrapped_merge_sort_block_merge_configINS0_14default_configE6__halfN2at4cuda3cub6detail10OpaqueTypeILi8EEEEEPS5_SD_PSB_SE_jNS1_19radix_merge_compareILb1ELb0ES5_NS0_19identity_decomposerEEEEEvT0_T1_T2_T3_T4_SM_jT5_PKSM_NS1_7vsmem_tE,comdat
.Lfunc_end185:
	.size	_ZN7rocprim17ROCPRIM_304000_NS6detail35device_block_merge_mergepath_kernelINS1_37wrapped_merge_sort_block_merge_configINS0_14default_configE6__halfN2at4cuda3cub6detail10OpaqueTypeILi8EEEEEPS5_SD_PSB_SE_jNS1_19radix_merge_compareILb1ELb0ES5_NS0_19identity_decomposerEEEEEvT0_T1_T2_T3_T4_SM_jT5_PKSM_NS1_7vsmem_tE, .Lfunc_end185-_ZN7rocprim17ROCPRIM_304000_NS6detail35device_block_merge_mergepath_kernelINS1_37wrapped_merge_sort_block_merge_configINS0_14default_configE6__halfN2at4cuda3cub6detail10OpaqueTypeILi8EEEEEPS5_SD_PSB_SE_jNS1_19radix_merge_compareILb1ELb0ES5_NS0_19identity_decomposerEEEEEvT0_T1_T2_T3_T4_SM_jT5_PKSM_NS1_7vsmem_tE
                                        ; -- End function
	.section	.AMDGPU.csdata,"",@progbits
; Kernel info:
; codeLenInByte = 3860
; NumSgprs: 34
; NumVgprs: 26
; NumAgprs: 0
; TotalNumVgprs: 26
; ScratchSize: 0
; MemoryBound: 1
; FloatMode: 240
; IeeeMode: 1
; LDSByteSize: 8208 bytes/workgroup (compile time only)
; SGPRBlocks: 4
; VGPRBlocks: 3
; NumSGPRsForWavesPerEU: 34
; NumVGPRsForWavesPerEU: 26
; AccumOffset: 28
; Occupancy: 7
; WaveLimiterHint : 1
; COMPUTE_PGM_RSRC2:SCRATCH_EN: 0
; COMPUTE_PGM_RSRC2:USER_SGPR: 6
; COMPUTE_PGM_RSRC2:TRAP_HANDLER: 0
; COMPUTE_PGM_RSRC2:TGID_X_EN: 1
; COMPUTE_PGM_RSRC2:TGID_Y_EN: 1
; COMPUTE_PGM_RSRC2:TGID_Z_EN: 1
; COMPUTE_PGM_RSRC2:TIDIG_COMP_CNT: 0
; COMPUTE_PGM_RSRC3_GFX90A:ACCUM_OFFSET: 6
; COMPUTE_PGM_RSRC3_GFX90A:TG_SPLIT: 0
	.section	.text._ZN7rocprim17ROCPRIM_304000_NS6detail33device_block_merge_oddeven_kernelINS1_37wrapped_merge_sort_block_merge_configINS0_14default_configE6__halfN2at4cuda3cub6detail10OpaqueTypeILi8EEEEEPS5_SD_PSB_SE_jNS1_19radix_merge_compareILb1ELb0ES5_NS0_19identity_decomposerEEEEEvT0_T1_T2_T3_T4_SM_T5_,"axG",@progbits,_ZN7rocprim17ROCPRIM_304000_NS6detail33device_block_merge_oddeven_kernelINS1_37wrapped_merge_sort_block_merge_configINS0_14default_configE6__halfN2at4cuda3cub6detail10OpaqueTypeILi8EEEEEPS5_SD_PSB_SE_jNS1_19radix_merge_compareILb1ELb0ES5_NS0_19identity_decomposerEEEEEvT0_T1_T2_T3_T4_SM_T5_,comdat
	.protected	_ZN7rocprim17ROCPRIM_304000_NS6detail33device_block_merge_oddeven_kernelINS1_37wrapped_merge_sort_block_merge_configINS0_14default_configE6__halfN2at4cuda3cub6detail10OpaqueTypeILi8EEEEEPS5_SD_PSB_SE_jNS1_19radix_merge_compareILb1ELb0ES5_NS0_19identity_decomposerEEEEEvT0_T1_T2_T3_T4_SM_T5_ ; -- Begin function _ZN7rocprim17ROCPRIM_304000_NS6detail33device_block_merge_oddeven_kernelINS1_37wrapped_merge_sort_block_merge_configINS0_14default_configE6__halfN2at4cuda3cub6detail10OpaqueTypeILi8EEEEEPS5_SD_PSB_SE_jNS1_19radix_merge_compareILb1ELb0ES5_NS0_19identity_decomposerEEEEEvT0_T1_T2_T3_T4_SM_T5_
	.globl	_ZN7rocprim17ROCPRIM_304000_NS6detail33device_block_merge_oddeven_kernelINS1_37wrapped_merge_sort_block_merge_configINS0_14default_configE6__halfN2at4cuda3cub6detail10OpaqueTypeILi8EEEEEPS5_SD_PSB_SE_jNS1_19radix_merge_compareILb1ELb0ES5_NS0_19identity_decomposerEEEEEvT0_T1_T2_T3_T4_SM_T5_
	.p2align	8
	.type	_ZN7rocprim17ROCPRIM_304000_NS6detail33device_block_merge_oddeven_kernelINS1_37wrapped_merge_sort_block_merge_configINS0_14default_configE6__halfN2at4cuda3cub6detail10OpaqueTypeILi8EEEEEPS5_SD_PSB_SE_jNS1_19radix_merge_compareILb1ELb0ES5_NS0_19identity_decomposerEEEEEvT0_T1_T2_T3_T4_SM_T5_,@function
_ZN7rocprim17ROCPRIM_304000_NS6detail33device_block_merge_oddeven_kernelINS1_37wrapped_merge_sort_block_merge_configINS0_14default_configE6__halfN2at4cuda3cub6detail10OpaqueTypeILi8EEEEEPS5_SD_PSB_SE_jNS1_19radix_merge_compareILb1ELb0ES5_NS0_19identity_decomposerEEEEEvT0_T1_T2_T3_T4_SM_T5_: ; @_ZN7rocprim17ROCPRIM_304000_NS6detail33device_block_merge_oddeven_kernelINS1_37wrapped_merge_sort_block_merge_configINS0_14default_configE6__halfN2at4cuda3cub6detail10OpaqueTypeILi8EEEEEPS5_SD_PSB_SE_jNS1_19radix_merge_compareILb1ELb0ES5_NS0_19identity_decomposerEEEEEvT0_T1_T2_T3_T4_SM_T5_
; %bb.0:
	s_load_dwordx2 s[16:17], s[4:5], 0x20
	s_waitcnt lgkmcnt(0)
	s_lshr_b32 s2, s16, 8
	s_cmp_lg_u32 s6, s2
	s_cselect_b64 s[0:1], -1, 0
	s_cmp_eq_u32 s6, s2
	s_cselect_b64 s[18:19], -1, 0
	s_lshl_b32 s20, s6, 8
	s_sub_i32 s2, s16, s20
	v_cmp_gt_u32_e64 s[2:3], s2, v0
	s_or_b64 s[0:1], s[0:1], s[2:3]
	s_and_saveexec_b64 s[8:9], s[0:1]
	s_cbranch_execz .LBB186_26
; %bb.1:
	s_load_dwordx8 s[8:15], s[4:5], 0x0
	s_mov_b32 s21, 0
	s_lshl_b64 s[0:1], s[20:21], 1
	v_lshlrev_b32_e32 v4, 3, v0
	v_lshlrev_b32_e32 v1, 1, v0
	s_waitcnt lgkmcnt(0)
	s_add_u32 s0, s8, s0
	s_addc_u32 s1, s9, s1
	s_lshl_b64 s[4:5], s[20:21], 3
	s_add_u32 s4, s12, s4
	s_addc_u32 s5, s13, s5
	global_load_dwordx2 v[2:3], v4, s[4:5]
	global_load_ushort v6, v1, s[0:1]
	s_lshr_b32 s0, s17, 8
	s_sub_i32 s1, 0, s0
	s_and_b32 s1, s6, s1
	s_and_b32 s0, s1, s0
	s_lshl_b32 s22, s1, 8
	s_sub_i32 s6, 0, s17
	s_cmp_eq_u32 s0, 0
	s_cselect_b64 s[0:1], -1, 0
	s_and_b64 s[4:5], s[0:1], exec
	s_cselect_b32 s21, s17, s6
	s_add_i32 s21, s21, s22
	s_cmp_lt_u32 s21, s16
	v_add_u32_e32 v4, s20, v0
	s_cbranch_scc1 .LBB186_6
; %bb.2:
	s_and_b64 vcc, exec, s[18:19]
	s_cbranch_vccz .LBB186_7
; %bb.3:
	v_cmp_gt_u32_e32 vcc, s16, v4
	s_mov_b64 s[6:7], 0
	s_mov_b64 s[4:5], 0
                                        ; implicit-def: $vgpr0_vgpr1
	s_and_saveexec_b64 s[12:13], vcc
	s_cbranch_execz .LBB186_5
; %bb.4:
	v_mov_b32_e32 v5, 0
	v_lshlrev_b64 v[0:1], 3, v[4:5]
	v_mov_b32_e32 v7, s15
	v_add_co_u32_e32 v0, vcc, s14, v0
	v_addc_co_u32_e32 v1, vcc, v7, v1, vcc
	v_lshlrev_b64 v[8:9], 1, v[4:5]
	v_mov_b32_e32 v5, s11
	v_add_co_u32_e32 v8, vcc, s10, v8
	s_mov_b64 s[4:5], exec
	v_addc_co_u32_e32 v9, vcc, v5, v9, vcc
	s_waitcnt vmcnt(0)
	global_store_short v[8:9], v6, off
.LBB186_5:
	s_or_b64 exec, exec, s[12:13]
	s_and_b64 vcc, exec, s[6:7]
	s_cbranch_vccnz .LBB186_8
	s_branch .LBB186_9
.LBB186_6:
	s_mov_b64 s[4:5], 0
                                        ; implicit-def: $vgpr0_vgpr1
	s_cbranch_execnz .LBB186_10
	s_branch .LBB186_24
.LBB186_7:
	s_mov_b64 s[4:5], 0
                                        ; implicit-def: $vgpr0_vgpr1
	s_cbranch_execz .LBB186_9
.LBB186_8:
	v_mov_b32_e32 v5, 0
	v_lshlrev_b64 v[0:1], 1, v[4:5]
	v_mov_b32_e32 v7, s11
	v_add_co_u32_e32 v0, vcc, s10, v0
	v_addc_co_u32_e32 v1, vcc, v7, v1, vcc
	s_waitcnt vmcnt(0)
	global_store_short v[0:1], v6, off
	v_lshlrev_b64 v[0:1], 3, v[4:5]
	v_mov_b32_e32 v5, s15
	v_add_co_u32_e32 v0, vcc, s14, v0
	v_addc_co_u32_e32 v1, vcc, v5, v1, vcc
	s_or_b64 s[4:5], s[4:5], exec
.LBB186_9:
	s_branch .LBB186_24
.LBB186_10:
	s_min_u32 s12, s21, s16
	s_add_i32 s6, s12, s17
	s_min_u32 s13, s6, s16
	s_min_u32 s6, s22, s12
	s_add_i32 s22, s22, s12
	v_subrev_u32_e32 v0, s22, v4
	v_add_u32_e32 v4, s6, v0
	s_and_b64 vcc, exec, s[18:19]
	s_cbranch_vccz .LBB186_18
; %bb.11:
                                        ; implicit-def: $vgpr0_vgpr1
	s_and_saveexec_b64 s[6:7], s[2:3]
	s_cbranch_execz .LBB186_17
; %bb.12:
	s_cmp_ge_u32 s21, s13
	v_mov_b32_e32 v0, s12
	s_cbranch_scc1 .LBB186_16
; %bb.13:
	s_movk_i32 s16, 0x8000
	s_waitcnt vmcnt(0)
	v_cmp_ne_u16_e32 vcc, s16, v6
	v_cndmask_b32_e32 v0, 0, v6, vcc
	v_mov_b32_e32 v1, 0xffff8000
	v_cmp_lt_i16_e32 vcc, -1, v0
	v_cndmask_b32_e32 v5, -1, v1, vcc
	v_xor_b32_e32 v5, v5, v0
	s_mov_b64 s[2:3], 0
	v_mov_b32_e32 v7, s13
	v_mov_b32_e32 v0, s12
.LBB186_14:                             ; =>This Inner Loop Header: Depth=1
	v_add_u32_e32 v8, v0, v7
	v_and_b32_e32 v9, -2, v8
	global_load_ushort v9, v9, s[8:9]
	v_lshrrev_b32_e32 v8, 1, v8
	v_add_u32_e32 v10, 1, v8
	s_waitcnt vmcnt(0)
	v_cmp_ne_u16_e32 vcc, s16, v9
	v_cndmask_b32_e32 v9, 0, v9, vcc
	v_cmp_lt_i16_e32 vcc, -1, v9
	v_cndmask_b32_e32 v11, -1, v1, vcc
	v_xor_b32_e32 v9, v11, v9
	v_cmp_gt_u16_e32 vcc, v9, v5
	v_cndmask_b32_e64 v11, 0, 1, vcc
	v_cmp_le_u16_e32 vcc, v5, v9
	v_cndmask_b32_e64 v9, 0, 1, vcc
	v_cndmask_b32_e64 v9, v9, v11, s[0:1]
	v_and_b32_e32 v9, 1, v9
	v_cmp_eq_u32_e32 vcc, 1, v9
	v_cndmask_b32_e32 v7, v8, v7, vcc
	v_cndmask_b32_e32 v0, v0, v10, vcc
	v_cmp_ge_u32_e32 vcc, v0, v7
	s_or_b64 s[2:3], vcc, s[2:3]
	s_andn2_b64 exec, exec, s[2:3]
	s_cbranch_execnz .LBB186_14
; %bb.15:
	s_or_b64 exec, exec, s[2:3]
.LBB186_16:
	v_add_u32_e32 v0, v0, v4
	v_mov_b32_e32 v1, 0
	v_lshlrev_b64 v[8:9], 1, v[0:1]
	v_mov_b32_e32 v5, s11
	v_add_co_u32_e32 v8, vcc, s10, v8
	v_addc_co_u32_e32 v9, vcc, v5, v9, vcc
	v_lshlrev_b64 v[0:1], 3, v[0:1]
	v_mov_b32_e32 v5, s15
	v_add_co_u32_e32 v0, vcc, s14, v0
	s_waitcnt vmcnt(0)
	global_store_short v[8:9], v6, off
	v_addc_co_u32_e32 v1, vcc, v5, v1, vcc
	s_or_b64 s[4:5], s[4:5], exec
.LBB186_17:
	s_or_b64 exec, exec, s[6:7]
	s_branch .LBB186_24
.LBB186_18:
                                        ; implicit-def: $vgpr0_vgpr1
	s_cbranch_execz .LBB186_24
; %bb.19:
	s_cmp_ge_u32 s21, s13
	v_mov_b32_e32 v0, s12
	s_cbranch_scc1 .LBB186_23
; %bb.20:
	s_movk_i32 s4, 0x8000
	s_waitcnt vmcnt(0)
	v_cmp_ne_u16_e32 vcc, s4, v6
	v_cndmask_b32_e32 v0, 0, v6, vcc
	v_mov_b32_e32 v1, 0xffff8000
	v_cmp_lt_i16_e32 vcc, -1, v0
	v_cndmask_b32_e32 v5, -1, v1, vcc
	v_xor_b32_e32 v5, v5, v0
	s_mov_b64 s[2:3], 0
	v_mov_b32_e32 v7, s13
	v_mov_b32_e32 v0, s12
.LBB186_21:                             ; =>This Inner Loop Header: Depth=1
	v_add_u32_e32 v8, v0, v7
	v_and_b32_e32 v9, -2, v8
	global_load_ushort v9, v9, s[8:9]
	v_lshrrev_b32_e32 v8, 1, v8
	v_add_u32_e32 v10, 1, v8
	s_waitcnt vmcnt(0)
	v_cmp_ne_u16_e32 vcc, s4, v9
	v_cndmask_b32_e32 v9, 0, v9, vcc
	v_cmp_lt_i16_e32 vcc, -1, v9
	v_cndmask_b32_e32 v11, -1, v1, vcc
	v_xor_b32_e32 v9, v11, v9
	v_cmp_gt_u16_e32 vcc, v9, v5
	v_cndmask_b32_e64 v11, 0, 1, vcc
	v_cmp_le_u16_e32 vcc, v5, v9
	v_cndmask_b32_e64 v9, 0, 1, vcc
	v_cndmask_b32_e64 v9, v9, v11, s[0:1]
	v_and_b32_e32 v9, 1, v9
	v_cmp_eq_u32_e32 vcc, 1, v9
	v_cndmask_b32_e32 v7, v8, v7, vcc
	v_cndmask_b32_e32 v0, v0, v10, vcc
	v_cmp_ge_u32_e32 vcc, v0, v7
	s_or_b64 s[2:3], vcc, s[2:3]
	s_andn2_b64 exec, exec, s[2:3]
	s_cbranch_execnz .LBB186_21
; %bb.22:
	s_or_b64 exec, exec, s[2:3]
.LBB186_23:
	v_add_u32_e32 v0, v0, v4
	v_mov_b32_e32 v1, 0
	v_lshlrev_b64 v[4:5], 1, v[0:1]
	v_mov_b32_e32 v7, s11
	v_add_co_u32_e32 v4, vcc, s10, v4
	v_addc_co_u32_e32 v5, vcc, v7, v5, vcc
	v_lshlrev_b64 v[0:1], 3, v[0:1]
	s_waitcnt vmcnt(0)
	global_store_short v[4:5], v6, off
	v_mov_b32_e32 v4, s15
	v_add_co_u32_e32 v0, vcc, s14, v0
	v_addc_co_u32_e32 v1, vcc, v4, v1, vcc
	s_mov_b64 s[4:5], -1
.LBB186_24:
	s_and_b64 exec, exec, s[4:5]
	s_cbranch_execz .LBB186_26
; %bb.25:
	s_waitcnt vmcnt(1)
	global_store_dwordx2 v[0:1], v[2:3], off
.LBB186_26:
	s_endpgm
	.section	.rodata,"a",@progbits
	.p2align	6, 0x0
	.amdhsa_kernel _ZN7rocprim17ROCPRIM_304000_NS6detail33device_block_merge_oddeven_kernelINS1_37wrapped_merge_sort_block_merge_configINS0_14default_configE6__halfN2at4cuda3cub6detail10OpaqueTypeILi8EEEEEPS5_SD_PSB_SE_jNS1_19radix_merge_compareILb1ELb0ES5_NS0_19identity_decomposerEEEEEvT0_T1_T2_T3_T4_SM_T5_
		.amdhsa_group_segment_fixed_size 0
		.amdhsa_private_segment_fixed_size 0
		.amdhsa_kernarg_size 44
		.amdhsa_user_sgpr_count 6
		.amdhsa_user_sgpr_private_segment_buffer 1
		.amdhsa_user_sgpr_dispatch_ptr 0
		.amdhsa_user_sgpr_queue_ptr 0
		.amdhsa_user_sgpr_kernarg_segment_ptr 1
		.amdhsa_user_sgpr_dispatch_id 0
		.amdhsa_user_sgpr_flat_scratch_init 0
		.amdhsa_user_sgpr_kernarg_preload_length 0
		.amdhsa_user_sgpr_kernarg_preload_offset 0
		.amdhsa_user_sgpr_private_segment_size 0
		.amdhsa_uses_dynamic_stack 0
		.amdhsa_system_sgpr_private_segment_wavefront_offset 0
		.amdhsa_system_sgpr_workgroup_id_x 1
		.amdhsa_system_sgpr_workgroup_id_y 0
		.amdhsa_system_sgpr_workgroup_id_z 0
		.amdhsa_system_sgpr_workgroup_info 0
		.amdhsa_system_vgpr_workitem_id 0
		.amdhsa_next_free_vgpr 12
		.amdhsa_next_free_sgpr 23
		.amdhsa_accum_offset 12
		.amdhsa_reserve_vcc 1
		.amdhsa_reserve_flat_scratch 0
		.amdhsa_float_round_mode_32 0
		.amdhsa_float_round_mode_16_64 0
		.amdhsa_float_denorm_mode_32 3
		.amdhsa_float_denorm_mode_16_64 3
		.amdhsa_dx10_clamp 1
		.amdhsa_ieee_mode 1
		.amdhsa_fp16_overflow 0
		.amdhsa_tg_split 0
		.amdhsa_exception_fp_ieee_invalid_op 0
		.amdhsa_exception_fp_denorm_src 0
		.amdhsa_exception_fp_ieee_div_zero 0
		.amdhsa_exception_fp_ieee_overflow 0
		.amdhsa_exception_fp_ieee_underflow 0
		.amdhsa_exception_fp_ieee_inexact 0
		.amdhsa_exception_int_div_zero 0
	.end_amdhsa_kernel
	.section	.text._ZN7rocprim17ROCPRIM_304000_NS6detail33device_block_merge_oddeven_kernelINS1_37wrapped_merge_sort_block_merge_configINS0_14default_configE6__halfN2at4cuda3cub6detail10OpaqueTypeILi8EEEEEPS5_SD_PSB_SE_jNS1_19radix_merge_compareILb1ELb0ES5_NS0_19identity_decomposerEEEEEvT0_T1_T2_T3_T4_SM_T5_,"axG",@progbits,_ZN7rocprim17ROCPRIM_304000_NS6detail33device_block_merge_oddeven_kernelINS1_37wrapped_merge_sort_block_merge_configINS0_14default_configE6__halfN2at4cuda3cub6detail10OpaqueTypeILi8EEEEEPS5_SD_PSB_SE_jNS1_19radix_merge_compareILb1ELb0ES5_NS0_19identity_decomposerEEEEEvT0_T1_T2_T3_T4_SM_T5_,comdat
.Lfunc_end186:
	.size	_ZN7rocprim17ROCPRIM_304000_NS6detail33device_block_merge_oddeven_kernelINS1_37wrapped_merge_sort_block_merge_configINS0_14default_configE6__halfN2at4cuda3cub6detail10OpaqueTypeILi8EEEEEPS5_SD_PSB_SE_jNS1_19radix_merge_compareILb1ELb0ES5_NS0_19identity_decomposerEEEEEvT0_T1_T2_T3_T4_SM_T5_, .Lfunc_end186-_ZN7rocprim17ROCPRIM_304000_NS6detail33device_block_merge_oddeven_kernelINS1_37wrapped_merge_sort_block_merge_configINS0_14default_configE6__halfN2at4cuda3cub6detail10OpaqueTypeILi8EEEEEPS5_SD_PSB_SE_jNS1_19radix_merge_compareILb1ELb0ES5_NS0_19identity_decomposerEEEEEvT0_T1_T2_T3_T4_SM_T5_
                                        ; -- End function
	.section	.AMDGPU.csdata,"",@progbits
; Kernel info:
; codeLenInByte = 928
; NumSgprs: 27
; NumVgprs: 12
; NumAgprs: 0
; TotalNumVgprs: 12
; ScratchSize: 0
; MemoryBound: 0
; FloatMode: 240
; IeeeMode: 1
; LDSByteSize: 0 bytes/workgroup (compile time only)
; SGPRBlocks: 3
; VGPRBlocks: 1
; NumSGPRsForWavesPerEU: 27
; NumVGPRsForWavesPerEU: 12
; AccumOffset: 12
; Occupancy: 8
; WaveLimiterHint : 0
; COMPUTE_PGM_RSRC2:SCRATCH_EN: 0
; COMPUTE_PGM_RSRC2:USER_SGPR: 6
; COMPUTE_PGM_RSRC2:TRAP_HANDLER: 0
; COMPUTE_PGM_RSRC2:TGID_X_EN: 1
; COMPUTE_PGM_RSRC2:TGID_Y_EN: 0
; COMPUTE_PGM_RSRC2:TGID_Z_EN: 0
; COMPUTE_PGM_RSRC2:TIDIG_COMP_CNT: 0
; COMPUTE_PGM_RSRC3_GFX90A:ACCUM_OFFSET: 2
; COMPUTE_PGM_RSRC3_GFX90A:TG_SPLIT: 0
	.section	.text._ZN7rocprim17ROCPRIM_304000_NS6detail16transform_kernelINS1_24wrapped_transform_configINS0_14default_configE6__halfEES5_PS5_S7_NS0_8identityIS5_EEEEvT1_mT2_T3_,"axG",@progbits,_ZN7rocprim17ROCPRIM_304000_NS6detail16transform_kernelINS1_24wrapped_transform_configINS0_14default_configE6__halfEES5_PS5_S7_NS0_8identityIS5_EEEEvT1_mT2_T3_,comdat
	.protected	_ZN7rocprim17ROCPRIM_304000_NS6detail16transform_kernelINS1_24wrapped_transform_configINS0_14default_configE6__halfEES5_PS5_S7_NS0_8identityIS5_EEEEvT1_mT2_T3_ ; -- Begin function _ZN7rocprim17ROCPRIM_304000_NS6detail16transform_kernelINS1_24wrapped_transform_configINS0_14default_configE6__halfEES5_PS5_S7_NS0_8identityIS5_EEEEvT1_mT2_T3_
	.globl	_ZN7rocprim17ROCPRIM_304000_NS6detail16transform_kernelINS1_24wrapped_transform_configINS0_14default_configE6__halfEES5_PS5_S7_NS0_8identityIS5_EEEEvT1_mT2_T3_
	.p2align	8
	.type	_ZN7rocprim17ROCPRIM_304000_NS6detail16transform_kernelINS1_24wrapped_transform_configINS0_14default_configE6__halfEES5_PS5_S7_NS0_8identityIS5_EEEEvT1_mT2_T3_,@function
_ZN7rocprim17ROCPRIM_304000_NS6detail16transform_kernelINS1_24wrapped_transform_configINS0_14default_configE6__halfEES5_PS5_S7_NS0_8identityIS5_EEEEvT1_mT2_T3_: ; @_ZN7rocprim17ROCPRIM_304000_NS6detail16transform_kernelINS1_24wrapped_transform_configINS0_14default_configE6__halfEES5_PS5_S7_NS0_8identityIS5_EEEEvT1_mT2_T3_
; %bb.0:
	s_load_dword s7, s[4:5], 0x20
	s_load_dwordx4 s[0:3], s[4:5], 0x0
	s_load_dwordx2 s[14:15], s[4:5], 0x10
	s_lshl_b32 s4, s6, 9
	s_mov_b32 s5, 0
	s_waitcnt lgkmcnt(0)
	s_add_i32 s7, s7, -1
	s_lshl_b64 s[16:17], s[4:5], 1
	s_add_u32 s0, s0, s16
	s_addc_u32 s1, s1, s17
	v_lshlrev_b32_e32 v4, 1, v0
	v_mov_b32_e32 v1, s1
	v_add_co_u32_e32 v2, vcc, s0, v4
	s_cmp_lg_u32 s6, s7
	v_addc_co_u32_e32 v3, vcc, 0, v1, vcc
	s_cbranch_scc0 .LBB187_2
; %bb.1:
	global_load_ushort v1, v[2:3], off
	global_load_ushort v6, v[2:3], off offset:128
	global_load_ushort v7, v[2:3], off offset:256
	;; [unrolled: 1-line block ×7, first 2 shown]
	s_add_u32 s6, s14, s16
	s_addc_u32 s7, s15, s17
	s_mov_b64 s[18:19], -1
	s_waitcnt vmcnt(7)
	global_store_short v4, v1, s[6:7]
	s_waitcnt vmcnt(7)
	global_store_short v4, v6, s[6:7] offset:128
	s_waitcnt vmcnt(7)
	global_store_short v4, v7, s[6:7] offset:256
	;; [unrolled: 2-line block ×6, first 2 shown]
	s_cbranch_execz .LBB187_3
	s_branch .LBB187_28
.LBB187_2:
	s_mov_b64 s[18:19], 0
                                        ; implicit-def: $vgpr5
.LBB187_3:
	s_sub_i32 s18, s2, s4
	v_cmp_gt_u32_e32 vcc, s18, v0
                                        ; implicit-def: $vgpr6
	s_and_saveexec_b64 s[0:1], vcc
	s_cbranch_execz .LBB187_5
; %bb.4:
	global_load_ushort v6, v[2:3], off
.LBB187_5:
	s_or_b64 exec, exec, s[0:1]
	v_or_b32_e32 v1, 64, v0
	v_cmp_gt_u32_e64 s[0:1], s18, v1
                                        ; implicit-def: $vgpr7
	s_and_saveexec_b64 s[2:3], s[0:1]
	s_cbranch_execz .LBB187_7
; %bb.6:
	global_load_ushort v7, v[2:3], off offset:128
.LBB187_7:
	s_or_b64 exec, exec, s[2:3]
	v_or_b32_e32 v1, 0x80, v0
	v_cmp_gt_u32_e64 s[2:3], s18, v1
                                        ; implicit-def: $vgpr8
	s_and_saveexec_b64 s[4:5], s[2:3]
	s_cbranch_execz .LBB187_9
; %bb.8:
	global_load_ushort v8, v[2:3], off offset:256
.LBB187_9:
	s_or_b64 exec, exec, s[4:5]
	v_or_b32_e32 v1, 0xc0, v0
	v_cmp_gt_u32_e64 s[4:5], s18, v1
                                        ; implicit-def: $vgpr9
	s_and_saveexec_b64 s[6:7], s[4:5]
	s_cbranch_execz .LBB187_11
; %bb.10:
	global_load_ushort v9, v[2:3], off offset:384
.LBB187_11:
	s_or_b64 exec, exec, s[6:7]
	v_or_b32_e32 v1, 0x100, v0
	v_cmp_gt_u32_e64 s[6:7], s18, v1
                                        ; implicit-def: $vgpr10
	s_and_saveexec_b64 s[8:9], s[6:7]
	s_cbranch_execz .LBB187_13
; %bb.12:
	global_load_ushort v10, v[2:3], off offset:512
.LBB187_13:
	s_or_b64 exec, exec, s[8:9]
	v_or_b32_e32 v1, 0x140, v0
	v_cmp_gt_u32_e64 s[8:9], s18, v1
                                        ; implicit-def: $vgpr11
	s_and_saveexec_b64 s[10:11], s[8:9]
	s_cbranch_execz .LBB187_15
; %bb.14:
	global_load_ushort v11, v[2:3], off offset:640
.LBB187_15:
	s_or_b64 exec, exec, s[10:11]
	v_or_b32_e32 v1, 0x180, v0
	v_cmp_gt_u32_e64 s[10:11], s18, v1
                                        ; implicit-def: $vgpr12
	s_and_saveexec_b64 s[12:13], s[10:11]
	s_cbranch_execz .LBB187_17
; %bb.16:
	global_load_ushort v12, v[2:3], off offset:768
.LBB187_17:
	s_or_b64 exec, exec, s[12:13]
	v_or_b32_e32 v0, 0x1c0, v0
	v_cmp_gt_u32_e64 s[18:19], s18, v0
                                        ; implicit-def: $vgpr5
	s_and_saveexec_b64 s[12:13], s[18:19]
	s_cbranch_execz .LBB187_19
; %bb.18:
	global_load_ushort v5, v[2:3], off offset:896
.LBB187_19:
	s_or_b64 exec, exec, s[12:13]
	s_add_u32 s12, s14, s16
	s_addc_u32 s13, s15, s17
	v_mov_b32_e32 v1, s13
	v_add_co_u32_e64 v0, s[12:13], s12, v4
	v_addc_co_u32_e64 v1, s[12:13], 0, v1, s[12:13]
	s_and_saveexec_b64 s[12:13], vcc
	s_xor_b64 s[12:13], exec, s[12:13]
	s_cbranch_execnz .LBB187_31
; %bb.20:
	s_or_b64 exec, exec, s[12:13]
	s_and_saveexec_b64 s[12:13], s[0:1]
	s_cbranch_execnz .LBB187_32
.LBB187_21:
	s_or_b64 exec, exec, s[12:13]
	s_and_saveexec_b64 s[0:1], s[2:3]
	s_cbranch_execnz .LBB187_33
.LBB187_22:
	s_or_b64 exec, exec, s[0:1]
	s_and_saveexec_b64 s[0:1], s[4:5]
	s_cbranch_execnz .LBB187_34
.LBB187_23:
	s_or_b64 exec, exec, s[0:1]
	s_and_saveexec_b64 s[0:1], s[6:7]
	s_cbranch_execnz .LBB187_35
.LBB187_24:
	s_or_b64 exec, exec, s[0:1]
	s_and_saveexec_b64 s[0:1], s[8:9]
	s_cbranch_execnz .LBB187_36
.LBB187_25:
	s_or_b64 exec, exec, s[0:1]
	s_and_saveexec_b64 s[0:1], s[10:11]
	s_cbranch_execz .LBB187_27
.LBB187_26:
	s_waitcnt vmcnt(0)
	global_store_short v[0:1], v12, off offset:768
.LBB187_27:
	s_or_b64 exec, exec, s[0:1]
.LBB187_28:
	s_and_saveexec_b64 s[0:1], s[18:19]
	s_cbranch_execnz .LBB187_30
; %bb.29:
	s_endpgm
.LBB187_30:
	s_add_u32 s0, s14, s16
	s_addc_u32 s1, s15, s17
	s_waitcnt vmcnt(0)
	global_store_short v4, v5, s[0:1] offset:896
	s_endpgm
.LBB187_31:
	s_waitcnt vmcnt(0)
	global_store_short v[0:1], v6, off
	s_or_b64 exec, exec, s[12:13]
	s_and_saveexec_b64 s[12:13], s[0:1]
	s_cbranch_execz .LBB187_21
.LBB187_32:
	s_waitcnt vmcnt(0)
	global_store_short v[0:1], v7, off offset:128
	s_or_b64 exec, exec, s[12:13]
	s_and_saveexec_b64 s[0:1], s[2:3]
	s_cbranch_execz .LBB187_22
.LBB187_33:
	s_waitcnt vmcnt(0)
	global_store_short v[0:1], v8, off offset:256
	s_or_b64 exec, exec, s[0:1]
	s_and_saveexec_b64 s[0:1], s[4:5]
	s_cbranch_execz .LBB187_23
.LBB187_34:
	s_waitcnt vmcnt(0)
	global_store_short v[0:1], v9, off offset:384
	s_or_b64 exec, exec, s[0:1]
	s_and_saveexec_b64 s[0:1], s[6:7]
	s_cbranch_execz .LBB187_24
.LBB187_35:
	s_waitcnt vmcnt(0)
	global_store_short v[0:1], v10, off offset:512
	s_or_b64 exec, exec, s[0:1]
	s_and_saveexec_b64 s[0:1], s[8:9]
	s_cbranch_execz .LBB187_25
.LBB187_36:
	s_waitcnt vmcnt(0)
	global_store_short v[0:1], v11, off offset:640
	s_or_b64 exec, exec, s[0:1]
	s_and_saveexec_b64 s[0:1], s[10:11]
	s_cbranch_execnz .LBB187_26
	s_branch .LBB187_27
	.section	.rodata,"a",@progbits
	.p2align	6, 0x0
	.amdhsa_kernel _ZN7rocprim17ROCPRIM_304000_NS6detail16transform_kernelINS1_24wrapped_transform_configINS0_14default_configE6__halfEES5_PS5_S7_NS0_8identityIS5_EEEEvT1_mT2_T3_
		.amdhsa_group_segment_fixed_size 0
		.amdhsa_private_segment_fixed_size 0
		.amdhsa_kernarg_size 288
		.amdhsa_user_sgpr_count 6
		.amdhsa_user_sgpr_private_segment_buffer 1
		.amdhsa_user_sgpr_dispatch_ptr 0
		.amdhsa_user_sgpr_queue_ptr 0
		.amdhsa_user_sgpr_kernarg_segment_ptr 1
		.amdhsa_user_sgpr_dispatch_id 0
		.amdhsa_user_sgpr_flat_scratch_init 0
		.amdhsa_user_sgpr_kernarg_preload_length 0
		.amdhsa_user_sgpr_kernarg_preload_offset 0
		.amdhsa_user_sgpr_private_segment_size 0
		.amdhsa_uses_dynamic_stack 0
		.amdhsa_system_sgpr_private_segment_wavefront_offset 0
		.amdhsa_system_sgpr_workgroup_id_x 1
		.amdhsa_system_sgpr_workgroup_id_y 0
		.amdhsa_system_sgpr_workgroup_id_z 0
		.amdhsa_system_sgpr_workgroup_info 0
		.amdhsa_system_vgpr_workitem_id 0
		.amdhsa_next_free_vgpr 13
		.amdhsa_next_free_sgpr 20
		.amdhsa_accum_offset 16
		.amdhsa_reserve_vcc 1
		.amdhsa_reserve_flat_scratch 0
		.amdhsa_float_round_mode_32 0
		.amdhsa_float_round_mode_16_64 0
		.amdhsa_float_denorm_mode_32 3
		.amdhsa_float_denorm_mode_16_64 3
		.amdhsa_dx10_clamp 1
		.amdhsa_ieee_mode 1
		.amdhsa_fp16_overflow 0
		.amdhsa_tg_split 0
		.amdhsa_exception_fp_ieee_invalid_op 0
		.amdhsa_exception_fp_denorm_src 0
		.amdhsa_exception_fp_ieee_div_zero 0
		.amdhsa_exception_fp_ieee_overflow 0
		.amdhsa_exception_fp_ieee_underflow 0
		.amdhsa_exception_fp_ieee_inexact 0
		.amdhsa_exception_int_div_zero 0
	.end_amdhsa_kernel
	.section	.text._ZN7rocprim17ROCPRIM_304000_NS6detail16transform_kernelINS1_24wrapped_transform_configINS0_14default_configE6__halfEES5_PS5_S7_NS0_8identityIS5_EEEEvT1_mT2_T3_,"axG",@progbits,_ZN7rocprim17ROCPRIM_304000_NS6detail16transform_kernelINS1_24wrapped_transform_configINS0_14default_configE6__halfEES5_PS5_S7_NS0_8identityIS5_EEEEvT1_mT2_T3_,comdat
.Lfunc_end187:
	.size	_ZN7rocprim17ROCPRIM_304000_NS6detail16transform_kernelINS1_24wrapped_transform_configINS0_14default_configE6__halfEES5_PS5_S7_NS0_8identityIS5_EEEEvT1_mT2_T3_, .Lfunc_end187-_ZN7rocprim17ROCPRIM_304000_NS6detail16transform_kernelINS1_24wrapped_transform_configINS0_14default_configE6__halfEES5_PS5_S7_NS0_8identityIS5_EEEEvT1_mT2_T3_
                                        ; -- End function
	.section	.AMDGPU.csdata,"",@progbits
; Kernel info:
; codeLenInByte = 836
; NumSgprs: 24
; NumVgprs: 13
; NumAgprs: 0
; TotalNumVgprs: 13
; ScratchSize: 0
; MemoryBound: 0
; FloatMode: 240
; IeeeMode: 1
; LDSByteSize: 0 bytes/workgroup (compile time only)
; SGPRBlocks: 2
; VGPRBlocks: 1
; NumSGPRsForWavesPerEU: 24
; NumVGPRsForWavesPerEU: 13
; AccumOffset: 16
; Occupancy: 8
; WaveLimiterHint : 1
; COMPUTE_PGM_RSRC2:SCRATCH_EN: 0
; COMPUTE_PGM_RSRC2:USER_SGPR: 6
; COMPUTE_PGM_RSRC2:TRAP_HANDLER: 0
; COMPUTE_PGM_RSRC2:TGID_X_EN: 1
; COMPUTE_PGM_RSRC2:TGID_Y_EN: 0
; COMPUTE_PGM_RSRC2:TGID_Z_EN: 0
; COMPUTE_PGM_RSRC2:TIDIG_COMP_CNT: 0
; COMPUTE_PGM_RSRC3_GFX90A:ACCUM_OFFSET: 3
; COMPUTE_PGM_RSRC3_GFX90A:TG_SPLIT: 0
	.section	.text._ZN7rocprim17ROCPRIM_304000_NS6detail26onesweep_histograms_kernelINS1_34wrapped_radix_sort_onesweep_configINS0_14default_configE6__halfN2at4cuda3cub6detail10OpaqueTypeILi8EEEEELb1EPKS5_mNS0_19identity_decomposerEEEvT1_PT2_SH_SH_T3_jj,"axG",@progbits,_ZN7rocprim17ROCPRIM_304000_NS6detail26onesweep_histograms_kernelINS1_34wrapped_radix_sort_onesweep_configINS0_14default_configE6__halfN2at4cuda3cub6detail10OpaqueTypeILi8EEEEELb1EPKS5_mNS0_19identity_decomposerEEEvT1_PT2_SH_SH_T3_jj,comdat
	.protected	_ZN7rocprim17ROCPRIM_304000_NS6detail26onesweep_histograms_kernelINS1_34wrapped_radix_sort_onesweep_configINS0_14default_configE6__halfN2at4cuda3cub6detail10OpaqueTypeILi8EEEEELb1EPKS5_mNS0_19identity_decomposerEEEvT1_PT2_SH_SH_T3_jj ; -- Begin function _ZN7rocprim17ROCPRIM_304000_NS6detail26onesweep_histograms_kernelINS1_34wrapped_radix_sort_onesweep_configINS0_14default_configE6__halfN2at4cuda3cub6detail10OpaqueTypeILi8EEEEELb1EPKS5_mNS0_19identity_decomposerEEEvT1_PT2_SH_SH_T3_jj
	.globl	_ZN7rocprim17ROCPRIM_304000_NS6detail26onesweep_histograms_kernelINS1_34wrapped_radix_sort_onesweep_configINS0_14default_configE6__halfN2at4cuda3cub6detail10OpaqueTypeILi8EEEEELb1EPKS5_mNS0_19identity_decomposerEEEvT1_PT2_SH_SH_T3_jj
	.p2align	8
	.type	_ZN7rocprim17ROCPRIM_304000_NS6detail26onesweep_histograms_kernelINS1_34wrapped_radix_sort_onesweep_configINS0_14default_configE6__halfN2at4cuda3cub6detail10OpaqueTypeILi8EEEEELb1EPKS5_mNS0_19identity_decomposerEEEvT1_PT2_SH_SH_T3_jj,@function
_ZN7rocprim17ROCPRIM_304000_NS6detail26onesweep_histograms_kernelINS1_34wrapped_radix_sort_onesweep_configINS0_14default_configE6__halfN2at4cuda3cub6detail10OpaqueTypeILi8EEEEELb1EPKS5_mNS0_19identity_decomposerEEEvT1_PT2_SH_SH_T3_jj: ; @_ZN7rocprim17ROCPRIM_304000_NS6detail26onesweep_histograms_kernelINS1_34wrapped_radix_sort_onesweep_configINS0_14default_configE6__halfN2at4cuda3cub6detail10OpaqueTypeILi8EEEEELb1EPKS5_mNS0_19identity_decomposerEEEvT1_PT2_SH_SH_T3_jj
; %bb.0:
	s_load_dwordx8 s[24:31], s[4:5], 0x0
	s_load_dwordx2 s[34:35], s[4:5], 0x24
	s_mov_b32 s7, 0
	s_mul_i32 s1, s6, 0x1800
	s_mul_hi_u32 s0, s6, 0x1800
	s_waitcnt lgkmcnt(0)
	v_pk_mov_b32 v[2:3], s[30:31], s[30:31] op_sel:[0,1]
	v_cmp_ge_u64_e32 vcc, s[6:7], v[2:3]
	s_add_u32 s24, s24, s1
	s_addc_u32 s25, s25, s0
	s_mov_b64 s[0:1], -1
	v_lshlrev_b32_e32 v1, 1, v0
	s_cbranch_vccz .LBB188_86
; %bb.1:
	s_mul_i32 s0, s30, 0xfffff400
	s_add_i32 s28, s0, s28
	v_mov_b32_e32 v3, s25
	v_add_co_u32_e32 v2, vcc, s24, v1
	v_addc_co_u32_e32 v3, vcc, 0, v3, vcc
	v_cmp_gt_u32_e64 s[22:23], s28, v0
                                        ; implicit-def: $vgpr15
	s_and_saveexec_b64 s[0:1], s[22:23]
	s_cbranch_execz .LBB188_3
; %bb.2:
	global_load_ushort v15, v[2:3], off
.LBB188_3:
	s_or_b64 exec, exec, s[0:1]
	v_or_b32_e32 v4, 0x100, v0
	v_cmp_gt_u32_e64 s[20:21], s28, v4
                                        ; implicit-def: $vgpr14
	s_and_saveexec_b64 s[0:1], s[20:21]
	s_cbranch_execz .LBB188_5
; %bb.4:
	global_load_ushort v14, v[2:3], off offset:512
.LBB188_5:
	s_or_b64 exec, exec, s[0:1]
	v_or_b32_e32 v4, 0x200, v0
	v_cmp_gt_u32_e64 s[18:19], s28, v4
                                        ; implicit-def: $vgpr13
	s_and_saveexec_b64 s[0:1], s[18:19]
	s_cbranch_execz .LBB188_7
; %bb.6:
	global_load_ushort v13, v[2:3], off offset:1024
.LBB188_7:
	s_or_b64 exec, exec, s[0:1]
	v_or_b32_e32 v4, 0x300, v0
	v_cmp_gt_u32_e64 s[16:17], s28, v4
                                        ; implicit-def: $vgpr12
	s_and_saveexec_b64 s[0:1], s[16:17]
	s_cbranch_execz .LBB188_9
; %bb.8:
	global_load_ushort v12, v[2:3], off offset:1536
.LBB188_9:
	s_or_b64 exec, exec, s[0:1]
	v_or_b32_e32 v4, 0x400, v0
	v_cmp_gt_u32_e64 s[14:15], s28, v4
                                        ; implicit-def: $vgpr11
	s_and_saveexec_b64 s[0:1], s[14:15]
	s_cbranch_execz .LBB188_11
; %bb.10:
	global_load_ushort v11, v[2:3], off offset:2048
.LBB188_11:
	s_or_b64 exec, exec, s[0:1]
	v_or_b32_e32 v4, 0x500, v0
	v_cmp_gt_u32_e64 s[12:13], s28, v4
                                        ; implicit-def: $vgpr10
	s_and_saveexec_b64 s[0:1], s[12:13]
	s_cbranch_execz .LBB188_13
; %bb.12:
	global_load_ushort v10, v[2:3], off offset:2560
.LBB188_13:
	s_or_b64 exec, exec, s[0:1]
	v_or_b32_e32 v4, 0x600, v0
	v_cmp_gt_u32_e64 s[10:11], s28, v4
                                        ; implicit-def: $vgpr9
	s_and_saveexec_b64 s[0:1], s[10:11]
	s_cbranch_execz .LBB188_15
; %bb.14:
	global_load_ushort v9, v[2:3], off offset:3072
.LBB188_15:
	s_or_b64 exec, exec, s[0:1]
	v_or_b32_e32 v4, 0x700, v0
	v_cmp_gt_u32_e64 s[8:9], s28, v4
                                        ; implicit-def: $vgpr8
	s_and_saveexec_b64 s[0:1], s[8:9]
	s_cbranch_execz .LBB188_17
; %bb.16:
	global_load_ushort v8, v[2:3], off offset:3584
.LBB188_17:
	s_or_b64 exec, exec, s[0:1]
	v_or_b32_e32 v4, 0x800, v0
	v_cmp_gt_u32_e64 s[6:7], s28, v4
                                        ; implicit-def: $vgpr7
	s_and_saveexec_b64 s[0:1], s[6:7]
	s_cbranch_execz .LBB188_19
; %bb.18:
	v_add_co_u32_e32 v4, vcc, 0x1000, v2
	v_addc_co_u32_e32 v5, vcc, 0, v3, vcc
	global_load_ushort v7, v[4:5], off
.LBB188_19:
	s_or_b64 exec, exec, s[0:1]
	v_or_b32_e32 v4, 0x900, v0
	v_cmp_gt_u32_e64 s[4:5], s28, v4
                                        ; implicit-def: $vgpr6
	s_and_saveexec_b64 s[0:1], s[4:5]
	s_cbranch_execz .LBB188_21
; %bb.20:
	v_add_co_u32_e32 v4, vcc, 0x1000, v2
	v_addc_co_u32_e32 v5, vcc, 0, v3, vcc
	global_load_ushort v6, v[4:5], off offset:512
.LBB188_21:
	s_or_b64 exec, exec, s[0:1]
	v_or_b32_e32 v4, 0xa00, v0
	v_cmp_gt_u32_e64 s[2:3], s28, v4
                                        ; implicit-def: $vgpr5
	s_and_saveexec_b64 s[0:1], s[2:3]
	s_cbranch_execz .LBB188_23
; %bb.22:
	v_add_co_u32_e32 v4, vcc, 0x1000, v2
	v_addc_co_u32_e32 v5, vcc, 0, v3, vcc
	global_load_ushort v5, v[4:5], off offset:1024
.LBB188_23:
	s_or_b64 exec, exec, s[0:1]
	v_or_b32_e32 v4, 0xb00, v0
	v_cmp_gt_u32_e64 s[0:1], s28, v4
                                        ; implicit-def: $vgpr4
	s_and_saveexec_b64 s[28:29], s[0:1]
	s_cbranch_execz .LBB188_25
; %bb.24:
	v_add_co_u32_e32 v2, vcc, 0x1000, v2
	v_addc_co_u32_e32 v3, vcc, 0, v3, vcc
	global_load_ushort v4, v[2:3], off offset:1536
.LBB188_25:
	s_or_b64 exec, exec, s[28:29]
	v_lshlrev_b32_e32 v2, 2, v0
	s_mov_b32 s33, 0
	s_mov_b64 s[28:29], 0
	v_mov_b32_e32 v3, 0
	s_branch .LBB188_27
.LBB188_26:                             ;   in Loop: Header=BB188_27 Depth=1
	s_or_b64 exec, exec, s[36:37]
	s_add_i32 s33, s33, 2
	v_cmp_eq_u32_e64 s[30:31], 8, s33
	s_or_b64 s[28:29], s[30:31], s[28:29]
	v_add_u32_e32 v2, 0x800, v2
	s_andn2_b64 exec, exec, s[28:29]
	s_cbranch_execz .LBB188_31
.LBB188_27:                             ; =>This Inner Loop Header: Depth=1
	s_or_b32 s30, s33, 1
	v_cmp_le_u32_e64 s[30:31], s30, 7
	v_cmp_le_u32_e64 s[38:39], s33, 7
	s_and_saveexec_b64 s[36:37], s[38:39]
	s_cbranch_execz .LBB188_29
; %bb.28:                               ;   in Loop: Header=BB188_27 Depth=1
	ds_write_b32 v2, v3
.LBB188_29:                             ;   in Loop: Header=BB188_27 Depth=1
	s_or_b64 exec, exec, s[36:37]
	s_and_saveexec_b64 s[36:37], s[30:31]
	s_cbranch_execz .LBB188_26
; %bb.30:                               ;   in Loop: Header=BB188_27 Depth=1
	ds_write_b32 v2, v3 offset:1024
	s_branch .LBB188_26
.LBB188_31:
	s_or_b64 exec, exec, s[28:29]
	s_cmp_gt_u32 s35, s34
	s_cselect_b64 s[28:29], -1, 0
	s_cmp_le_u32 s35, s34
	s_waitcnt lgkmcnt(0)
	s_barrier
	s_cbranch_scc1 .LBB188_80
; %bb.32:
	v_mov_b32_e32 v3, 0x7fff
	s_waitcnt vmcnt(0)
	v_cmp_gt_i16_e32 vcc, 0, v15
	v_cndmask_b32_e64 v16, v3, 0, vcc
	v_and_b32_e32 v2, 3, v0
	v_xor_b32_e32 v15, v16, v15
	s_movk_i32 s30, 0x8000
	v_cmp_ne_u16_e32 vcc, s30, v15
	v_lshlrev_b32_e32 v2, 2, v2
	s_sub_i32 s33, s35, s34
	v_cndmask_b32_e32 v3, v3, v15, vcc
	v_mov_b32_e32 v15, 1
	s_mov_b32 s36, s33
	v_mov_b32_e32 v16, v2
	s_mov_b32 s37, s34
	s_branch .LBB188_34
.LBB188_33:                             ;   in Loop: Header=BB188_34 Depth=1
	s_or_b64 exec, exec, s[30:31]
	s_add_i32 s37, s37, 8
	s_add_i32 s36, s36, -8
	s_cmp_ge_u32 s37, s35
	v_add_u32_e32 v16, 0x1000, v16
	s_cbranch_scc1 .LBB188_36
.LBB188_34:                             ; =>This Inner Loop Header: Depth=1
	s_and_saveexec_b64 s[30:31], s[22:23]
	s_cbranch_execz .LBB188_33
; %bb.35:                               ;   in Loop: Header=BB188_34 Depth=1
	s_min_u32 s38, s36, 8
	v_lshrrev_b32_sdwa v17, s37, v3 dst_sel:DWORD dst_unused:UNUSED_PAD src0_sel:DWORD src1_sel:WORD_0
	v_bfe_u32 v17, v17, 0, s38
	v_lshl_add_u32 v17, v17, 4, v16
	ds_add_u32 v17, v15
	s_branch .LBB188_33
.LBB188_36:
	v_mov_b32_e32 v3, 0x7fff
	v_cmp_gt_i16_e32 vcc, 0, v14
	v_cndmask_b32_e64 v15, v3, 0, vcc
	v_xor_b32_e32 v14, v15, v14
	s_movk_i32 s22, 0x8000
	v_cmp_ne_u16_e32 vcc, s22, v14
	v_cndmask_b32_e32 v3, v3, v14, vcc
	v_mov_b32_e32 v14, 1
	s_mov_b32 s30, s33
	v_mov_b32_e32 v15, v2
	s_mov_b32 s31, s34
	s_branch .LBB188_38
.LBB188_37:                             ;   in Loop: Header=BB188_38 Depth=1
	s_or_b64 exec, exec, s[22:23]
	s_add_i32 s31, s31, 8
	s_add_i32 s30, s30, -8
	s_cmp_lt_u32 s31, s35
	v_add_u32_e32 v15, 0x1000, v15
	s_cbranch_scc0 .LBB188_40
.LBB188_38:                             ; =>This Inner Loop Header: Depth=1
	s_and_saveexec_b64 s[22:23], s[20:21]
	s_cbranch_execz .LBB188_37
; %bb.39:                               ;   in Loop: Header=BB188_38 Depth=1
	s_min_u32 s36, s30, 8
	v_lshrrev_b32_sdwa v16, s31, v3 dst_sel:DWORD dst_unused:UNUSED_PAD src0_sel:DWORD src1_sel:WORD_0
	v_bfe_u32 v16, v16, 0, s36
	v_lshl_add_u32 v16, v16, 4, v15
	ds_add_u32 v16, v14
	s_branch .LBB188_37
.LBB188_40:
	v_mov_b32_e32 v3, 0x7fff
	v_cmp_gt_i16_e32 vcc, 0, v13
	v_cndmask_b32_e64 v14, v3, 0, vcc
	v_xor_b32_e32 v13, v14, v13
	s_movk_i32 s20, 0x8000
	v_cmp_ne_u16_e32 vcc, s20, v13
	v_cndmask_b32_e32 v3, v3, v13, vcc
	v_mov_b32_e32 v13, 1
	s_mov_b32 s22, s33
	v_mov_b32_e32 v14, v2
	s_mov_b32 s23, s34
	s_branch .LBB188_42
.LBB188_41:                             ;   in Loop: Header=BB188_42 Depth=1
	s_or_b64 exec, exec, s[20:21]
	s_add_i32 s23, s23, 8
	s_add_i32 s22, s22, -8
	s_cmp_lt_u32 s23, s35
	v_add_u32_e32 v14, 0x1000, v14
	s_cbranch_scc0 .LBB188_44
.LBB188_42:                             ; =>This Inner Loop Header: Depth=1
	s_and_saveexec_b64 s[20:21], s[18:19]
	s_cbranch_execz .LBB188_41
; %bb.43:                               ;   in Loop: Header=BB188_42 Depth=1
	s_min_u32 s30, s22, 8
	v_lshrrev_b32_sdwa v15, s23, v3 dst_sel:DWORD dst_unused:UNUSED_PAD src0_sel:DWORD src1_sel:WORD_0
	v_bfe_u32 v15, v15, 0, s30
	v_lshl_add_u32 v15, v15, 4, v14
	ds_add_u32 v15, v13
	s_branch .LBB188_41
.LBB188_44:
	;; [unrolled: 30-line block ×10, first 2 shown]
	v_mov_b32_e32 v3, 0x7fff
	v_cmp_gt_i16_e32 vcc, 0, v4
	v_cndmask_b32_e64 v5, v3, 0, vcc
	v_xor_b32_e32 v4, v5, v4
	s_movk_i32 s2, 0x8000
	v_cmp_ne_u16_e32 vcc, s2, v4
	v_cndmask_b32_e32 v3, v3, v4, vcc
	v_mov_b32_e32 v4, 1
	s_mov_b32 s4, s34
	s_branch .LBB188_78
.LBB188_77:                             ;   in Loop: Header=BB188_78 Depth=1
	s_or_b64 exec, exec, s[2:3]
	s_add_i32 s4, s4, 8
	s_add_i32 s33, s33, -8
	s_cmp_lt_u32 s4, s35
	v_add_u32_e32 v2, 0x1000, v2
	s_cbranch_scc0 .LBB188_80
.LBB188_78:                             ; =>This Inner Loop Header: Depth=1
	s_and_saveexec_b64 s[2:3], s[0:1]
	s_cbranch_execz .LBB188_77
; %bb.79:                               ;   in Loop: Header=BB188_78 Depth=1
	s_min_u32 s5, s33, 8
	v_lshrrev_b32_sdwa v5, s4, v3 dst_sel:DWORD dst_unused:UNUSED_PAD src0_sel:DWORD src1_sel:WORD_0
	v_bfe_u32 v5, v5, 0, s5
	v_lshl_add_u32 v5, v5, 4, v2
	ds_add_u32 v5, v4
	s_branch .LBB188_77
.LBB188_80:
	s_and_b64 vcc, exec, s[28:29]
	s_waitcnt lgkmcnt(0)
	s_barrier
	s_cbranch_vccz .LBB188_85
; %bb.81:
	s_movk_i32 s0, 0x100
	v_cmp_gt_u32_e32 vcc, s0, v0
	s_waitcnt vmcnt(0)
	v_lshlrev_b32_e32 v4, 4, v0
	v_mov_b32_e32 v3, 0
	v_mov_b32_e32 v2, v0
	s_mov_b32 s4, s34
	s_branch .LBB188_83
.LBB188_82:                             ;   in Loop: Header=BB188_83 Depth=1
	s_or_b64 exec, exec, s[2:3]
	s_add_i32 s4, s4, 8
	v_add_u32_e32 v2, 0x100, v2
	s_cmp_lt_u32 s4, s35
	v_add_u32_e32 v4, 0x1000, v4
	s_cbranch_scc0 .LBB188_85
.LBB188_83:                             ; =>This Inner Loop Header: Depth=1
	s_and_saveexec_b64 s[2:3], vcc
	s_cbranch_execz .LBB188_82
; %bb.84:                               ;   in Loop: Header=BB188_83 Depth=1
	ds_read2_b32 v[6:7], v4 offset1:1
	ds_read2_b32 v[8:9], v4 offset0:2 offset1:3
	v_lshlrev_b64 v[10:11], 3, v[2:3]
	v_mov_b32_e32 v5, s27
	s_waitcnt lgkmcnt(1)
	v_add_u32_e32 v6, v7, v6
	s_waitcnt lgkmcnt(0)
	v_add3_u32 v6, v6, v8, v9
	v_add_co_u32_e64 v8, s[0:1], s26, v10
	v_addc_co_u32_e64 v9, s[0:1], v5, v11, s[0:1]
	v_mov_b32_e32 v7, v3
	global_atomic_add_x2 v[8:9], v[6:7], off
	s_branch .LBB188_82
.LBB188_85:
	s_mov_b64 s[0:1], 0
.LBB188_86:
	s_and_b64 vcc, exec, s[0:1]
	s_cbranch_vccz .LBB188_134
; %bb.87:
	v_mov_b32_e32 v2, s25
	v_add_co_u32_e32 v3, vcc, s24, v1
	s_waitcnt vmcnt(0)
	v_addc_co_u32_e32 v4, vcc, 0, v2, vcc
	global_load_ushort v14, v1, s[24:25] offset:512
	global_load_ushort v13, v1, s[24:25] offset:1024
	;; [unrolled: 1-line block ×7, first 2 shown]
	v_add_co_u32_e32 v2, vcc, 0x1000, v3
	v_addc_co_u32_e32 v3, vcc, 0, v4, vcc
	global_load_ushort v9, v[2:3], off
	global_load_ushort v7, v[2:3], off offset:512
	global_load_ushort v5, v[2:3], off offset:1024
	global_load_ushort v15, v1, s[24:25]
	global_load_ushort v4, v[2:3], off offset:1536
	s_cmp_eq_u32 s34, 0
	s_cselect_b64 s[0:1], -1, 0
	s_cmp_eq_u32 s35, 16
	s_cselect_b64 s[2:3], -1, 0
	s_and_b64 s[2:3], s[0:1], s[2:3]
	s_mov_b32 s6, 0
	s_mov_b64 s[0:1], -1
	s_and_b64 vcc, exec, s[2:3]
	v_lshlrev_b32_e32 v1, 2, v0
	s_cbranch_vccnz .LBB188_125
; %bb.88:
	v_lshlrev_b32_e32 v2, 2, v0
	s_mov_b64 s[0:1], 0
	v_mov_b32_e32 v3, 0
	s_branch .LBB188_90
.LBB188_89:                             ;   in Loop: Header=BB188_90 Depth=1
	s_or_b64 exec, exec, s[4:5]
	s_add_i32 s6, s6, 2
	v_cmp_eq_u32_e64 s[2:3], 8, s6
	s_or_b64 s[0:1], s[2:3], s[0:1]
	v_add_u32_e32 v2, 0x800, v2
	s_andn2_b64 exec, exec, s[0:1]
	s_cbranch_execz .LBB188_94
.LBB188_90:                             ; =>This Inner Loop Header: Depth=1
	s_or_b32 s2, s6, 1
	v_cmp_le_u32_e64 s[2:3], s2, 7
	v_cmp_le_u32_e64 s[8:9], s6, 7
	s_and_saveexec_b64 s[4:5], s[8:9]
	s_cbranch_execz .LBB188_92
; %bb.91:                               ;   in Loop: Header=BB188_90 Depth=1
	ds_write_b32 v2, v3
.LBB188_92:                             ;   in Loop: Header=BB188_90 Depth=1
	s_or_b64 exec, exec, s[4:5]
	s_and_saveexec_b64 s[4:5], s[2:3]
	s_cbranch_execz .LBB188_89
; %bb.93:                               ;   in Loop: Header=BB188_90 Depth=1
	ds_write_b32 v2, v3 offset:1024
	s_branch .LBB188_89
.LBB188_94:
	s_or_b64 exec, exec, s[0:1]
	s_cmp_gt_u32 s35, s34
	s_cselect_b64 s[0:1], -1, 0
	s_cmp_le_u32 s35, s34
	s_waitcnt lgkmcnt(0)
	s_barrier
	s_cbranch_scc1 .LBB188_119
; %bb.95:
	v_mov_b32_e32 v3, 0x7fff
	s_waitcnt vmcnt(1)
	v_cmp_gt_i16_e32 vcc, 0, v15
	v_cndmask_b32_e64 v16, v3, 0, vcc
	v_and_b32_e32 v2, 3, v0
	v_xor_b32_e32 v16, v16, v15
	s_movk_i32 s2, 0x8000
	v_cmp_ne_u16_e32 vcc, s2, v16
	v_lshlrev_b32_e32 v2, 2, v2
	s_sub_i32 s2, s35, s34
	v_cndmask_b32_e32 v3, v3, v16, vcc
	v_mov_b32_e32 v16, 1
	s_mov_b32 s3, s2
	v_mov_b32_e32 v17, v2
	s_mov_b32 s4, s34
.LBB188_96:                             ; =>This Inner Loop Header: Depth=1
	s_min_u32 s5, s3, 8
	v_lshrrev_b32_sdwa v18, s4, v3 dst_sel:DWORD dst_unused:UNUSED_PAD src0_sel:DWORD src1_sel:WORD_0
	v_bfe_u32 v18, v18, 0, s5
	v_lshl_add_u32 v18, v18, 4, v17
	ds_add_u32 v18, v16
	s_add_i32 s4, s4, 8
	s_add_i32 s3, s3, -8
	s_cmp_ge_u32 s4, s35
	v_add_u32_e32 v17, 0x1000, v17
	s_cbranch_scc0 .LBB188_96
; %bb.97:
	v_mov_b32_e32 v3, 0x7fff
	v_cmp_gt_i16_e32 vcc, 0, v14
	v_cndmask_b32_e64 v16, v3, 0, vcc
	v_xor_b32_e32 v16, v16, v14
	s_movk_i32 s3, 0x8000
	v_cmp_ne_u16_e32 vcc, s3, v16
	v_cndmask_b32_e32 v3, v3, v16, vcc
	v_mov_b32_e32 v16, 1
	s_mov_b32 s3, s2
	v_mov_b32_e32 v17, v2
	s_mov_b32 s4, s34
.LBB188_98:                             ; =>This Inner Loop Header: Depth=1
	s_min_u32 s5, s3, 8
	v_lshrrev_b32_sdwa v18, s4, v3 dst_sel:DWORD dst_unused:UNUSED_PAD src0_sel:DWORD src1_sel:WORD_0
	v_bfe_u32 v18, v18, 0, s5
	v_lshl_add_u32 v18, v18, 4, v17
	ds_add_u32 v18, v16
	s_add_i32 s4, s4, 8
	s_add_i32 s3, s3, -8
	s_cmp_lt_u32 s4, s35
	v_add_u32_e32 v17, 0x1000, v17
	s_cbranch_scc1 .LBB188_98
; %bb.99:
	v_mov_b32_e32 v3, 0x7fff
	v_cmp_gt_i16_e32 vcc, 0, v13
	v_cndmask_b32_e64 v16, v3, 0, vcc
	v_xor_b32_e32 v16, v16, v13
	s_movk_i32 s3, 0x8000
	v_cmp_ne_u16_e32 vcc, s3, v16
	v_cndmask_b32_e32 v3, v3, v16, vcc
	v_mov_b32_e32 v16, 1
	s_mov_b32 s3, s2
	v_mov_b32_e32 v17, v2
	s_mov_b32 s4, s34
.LBB188_100:                            ; =>This Inner Loop Header: Depth=1
	s_min_u32 s5, s3, 8
	v_lshrrev_b32_sdwa v18, s4, v3 dst_sel:DWORD dst_unused:UNUSED_PAD src0_sel:DWORD src1_sel:WORD_0
	v_bfe_u32 v18, v18, 0, s5
	v_lshl_add_u32 v18, v18, 4, v17
	ds_add_u32 v18, v16
	s_add_i32 s4, s4, 8
	s_add_i32 s3, s3, -8
	s_cmp_lt_u32 s4, s35
	v_add_u32_e32 v17, 0x1000, v17
	s_cbranch_scc1 .LBB188_100
; %bb.101:
	v_mov_b32_e32 v3, 0x7fff
	v_cmp_gt_i16_e32 vcc, 0, v12
	v_cndmask_b32_e64 v16, v3, 0, vcc
	v_xor_b32_e32 v16, v16, v12
	s_movk_i32 s3, 0x8000
	v_cmp_ne_u16_e32 vcc, s3, v16
	v_cndmask_b32_e32 v3, v3, v16, vcc
	v_mov_b32_e32 v16, 1
	s_mov_b32 s3, s2
	v_mov_b32_e32 v17, v2
	s_mov_b32 s4, s34
.LBB188_102:                            ; =>This Inner Loop Header: Depth=1
	s_min_u32 s5, s3, 8
	v_lshrrev_b32_sdwa v18, s4, v3 dst_sel:DWORD dst_unused:UNUSED_PAD src0_sel:DWORD src1_sel:WORD_0
	v_bfe_u32 v18, v18, 0, s5
	v_lshl_add_u32 v18, v18, 4, v17
	ds_add_u32 v18, v16
	s_add_i32 s4, s4, 8
	s_add_i32 s3, s3, -8
	s_cmp_lt_u32 s4, s35
	v_add_u32_e32 v17, 0x1000, v17
	s_cbranch_scc1 .LBB188_102
	;; [unrolled: 23-line block ×9, first 2 shown]
; %bb.117:
	v_mov_b32_e32 v3, 0x7fff
	s_waitcnt vmcnt(0)
	v_cmp_gt_i16_e32 vcc, 0, v4
	v_cndmask_b32_e64 v16, v3, 0, vcc
	v_xor_b32_e32 v16, v16, v4
	s_movk_i32 s3, 0x8000
	v_cmp_ne_u16_e32 vcc, s3, v16
	v_cndmask_b32_e32 v3, v3, v16, vcc
	v_mov_b32_e32 v16, 1
	s_mov_b32 s3, s34
.LBB188_118:                            ; =>This Inner Loop Header: Depth=1
	s_min_u32 s4, s2, 8
	v_lshrrev_b32_sdwa v17, s3, v3 dst_sel:DWORD dst_unused:UNUSED_PAD src0_sel:DWORD src1_sel:WORD_0
	v_bfe_u32 v17, v17, 0, s4
	v_lshl_add_u32 v17, v17, 4, v2
	ds_add_u32 v17, v16
	s_add_i32 s3, s3, 8
	s_add_i32 s2, s2, -8
	s_cmp_lt_u32 s3, s35
	v_add_u32_e32 v2, 0x1000, v2
	s_cbranch_scc1 .LBB188_118
.LBB188_119:
	s_and_b64 vcc, exec, s[0:1]
	s_waitcnt lgkmcnt(0)
	s_barrier
	s_cbranch_vccz .LBB188_124
; %bb.120:
	s_movk_i32 s0, 0x100
	v_cmp_gt_u32_e32 vcc, s0, v0
	v_lshlrev_b32_e32 v16, 4, v0
	v_mov_b32_e32 v3, 0
	v_mov_b32_e32 v2, v0
	s_branch .LBB188_122
.LBB188_121:                            ;   in Loop: Header=BB188_122 Depth=1
	s_or_b64 exec, exec, s[2:3]
	s_add_i32 s34, s34, 8
	v_add_u32_e32 v2, 0x100, v2
	s_cmp_ge_u32 s34, s35
	v_add_u32_e32 v16, 0x1000, v16
	s_cbranch_scc1 .LBB188_124
.LBB188_122:                            ; =>This Inner Loop Header: Depth=1
	s_and_saveexec_b64 s[2:3], vcc
	s_cbranch_execz .LBB188_121
; %bb.123:                              ;   in Loop: Header=BB188_122 Depth=1
	ds_read2_b32 v[18:19], v16 offset1:1
	ds_read2_b32 v[20:21], v16 offset0:2 offset1:3
	v_lshlrev_b64 v[22:23], 3, v[2:3]
	v_mov_b32_e32 v17, s27
	s_waitcnt lgkmcnt(1)
	v_add_u32_e32 v18, v19, v18
	s_waitcnt lgkmcnt(0)
	v_add3_u32 v18, v18, v20, v21
	v_add_co_u32_e64 v20, s[0:1], s26, v22
	v_addc_co_u32_e64 v21, s[0:1], v17, v23, s[0:1]
	v_mov_b32_e32 v19, v3
	global_atomic_add_x2 v[20:21], v[18:19], off
	s_branch .LBB188_121
.LBB188_124:
	s_mov_b64 s[0:1], 0
.LBB188_125:
	s_and_b64 vcc, exec, s[0:1]
	s_cbranch_vccz .LBB188_134
; %bb.126:
	s_mov_b32 s6, 0
	s_mov_b64 s[0:1], 0
	v_mov_b32_e32 v2, 0
	v_mov_b32_e32 v3, v1
	s_branch .LBB188_128
.LBB188_127:                            ;   in Loop: Header=BB188_128 Depth=1
	s_or_b64 exec, exec, s[4:5]
	s_add_i32 s6, s6, 2
	v_cmp_eq_u32_e64 s[2:3], 8, s6
	s_or_b64 s[0:1], s[2:3], s[0:1]
	v_add_u32_e32 v3, 0x800, v3
	s_andn2_b64 exec, exec, s[0:1]
	s_cbranch_execz .LBB188_132
.LBB188_128:                            ; =>This Inner Loop Header: Depth=1
	s_or_b32 s2, s6, 1
	v_cmp_le_u32_e64 s[2:3], s2, 7
	v_cmp_le_u32_e64 s[8:9], s6, 7
	s_and_saveexec_b64 s[4:5], s[8:9]
	s_cbranch_execz .LBB188_130
; %bb.129:                              ;   in Loop: Header=BB188_128 Depth=1
	ds_write_b32 v3, v2
.LBB188_130:                            ;   in Loop: Header=BB188_128 Depth=1
	s_or_b64 exec, exec, s[4:5]
	s_and_saveexec_b64 s[4:5], s[2:3]
	s_cbranch_execz .LBB188_127
; %bb.131:                              ;   in Loop: Header=BB188_128 Depth=1
	ds_write_b32 v3, v2 offset:1024
	s_branch .LBB188_127
.LBB188_132:
	s_or_b64 exec, exec, s[0:1]
	v_mov_b32_e32 v2, 0x7fff
	s_waitcnt vmcnt(1)
	v_cmp_gt_i16_e32 vcc, 0, v15
	v_cndmask_b32_e64 v3, v2, 0, vcc
	v_cmp_gt_i16_e32 vcc, 0, v14
	v_xor_b32_e32 v3, v3, v15
	v_cndmask_b32_e64 v15, v2, 0, vcc
	v_cmp_gt_i16_e32 vcc, 0, v13
	v_xor_b32_e32 v14, v15, v14
	;; [unrolled: 3-line block ×10, first 2 shown]
	v_cndmask_b32_e64 v15, v2, 0, vcc
	s_waitcnt vmcnt(0)
	v_cmp_gt_i16_e32 vcc, 0, v4
	s_movk_i32 s0, 0x8000
	v_xor_b32_e32 v5, v15, v5
	v_cndmask_b32_e64 v15, v2, 0, vcc
	v_cmp_ne_u16_e32 vcc, s0, v3
	v_cndmask_b32_e32 v3, v2, v3, vcc
	v_and_b32_e32 v3, 0xffff, v3
	v_xor_b32_e32 v4, v15, v4
	v_and_b32_e32 v15, 3, v0
	v_lshlrev_b32_e32 v16, 2, v3
	s_movk_i32 s1, 0x3fc
	v_and_or_b32 v16, v16, s1, v15
	v_bfe_u32 v3, v3, 8, 8
	v_lshlrev_b32_e32 v16, 2, v16
	v_mov_b32_e32 v17, 1
	v_lshl_or_b32 v3, v3, 2, v15
	s_waitcnt lgkmcnt(0)
	s_barrier
	ds_add_u32 v16, v17
	v_lshlrev_b32_e32 v3, 2, v3
	v_cmp_ne_u16_e32 vcc, s0, v14
	ds_add_u32 v3, v17 offset:4096
	v_cndmask_b32_e32 v3, v2, v14, vcc
	v_and_b32_e32 v3, 0xffff, v3
	v_lshlrev_b32_e32 v14, 2, v3
	v_and_or_b32 v14, v14, s1, v15
	v_bfe_u32 v3, v3, 8, 8
	v_lshlrev_b32_e32 v14, 2, v14
	v_lshl_or_b32 v3, v3, 2, v15
	ds_add_u32 v14, v17
	v_lshlrev_b32_e32 v3, 2, v3
	v_cmp_ne_u16_e32 vcc, s0, v13
	ds_add_u32 v3, v17 offset:4096
	v_cndmask_b32_e32 v3, v2, v13, vcc
	v_and_b32_e32 v3, 0xffff, v3
	v_lshlrev_b32_e32 v13, 2, v3
	v_and_or_b32 v13, v13, s1, v15
	v_bfe_u32 v3, v3, 8, 8
	v_lshlrev_b32_e32 v13, 2, v13
	v_lshl_or_b32 v3, v3, 2, v15
	;; [unrolled: 11-line block ×9, first 2 shown]
	ds_add_u32 v6, v17
	v_lshlrev_b32_e32 v3, 2, v3
	v_cmp_ne_u16_e32 vcc, s0, v5
	ds_add_u32 v3, v17 offset:4096
	v_cndmask_b32_e32 v3, v2, v5, vcc
	v_and_b32_e32 v3, 0xffff, v3
	v_lshlrev_b32_e32 v5, 2, v3
	v_and_or_b32 v5, v5, s1, v15
	v_bfe_u32 v3, v3, 8, 8
	v_cmp_ne_u16_e32 vcc, s0, v4
	v_lshlrev_b32_e32 v5, 2, v5
	v_lshl_or_b32 v3, v3, 2, v15
	v_cndmask_b32_e32 v2, v2, v4, vcc
	ds_add_u32 v5, v17
	v_lshlrev_b32_e32 v3, 2, v3
	v_and_b32_e32 v2, 0xffff, v2
	ds_add_u32 v3, v17 offset:4096
	v_lshlrev_b32_e32 v3, 2, v2
	v_and_or_b32 v3, v3, s1, v15
	v_bfe_u32 v2, v2, 8, 8
	v_lshlrev_b32_e32 v3, 2, v3
	v_lshl_or_b32 v2, v2, 2, v15
	ds_add_u32 v3, v17
	v_lshlrev_b32_e32 v2, 2, v2
	ds_add_u32 v2, v17 offset:4096
	s_movk_i32 s0, 0x100
	v_cmp_gt_u32_e32 vcc, s0, v0
	s_waitcnt lgkmcnt(0)
	s_barrier
	s_and_saveexec_b64 s[0:1], vcc
	s_cbranch_execz .LBB188_134
; %bb.133:
	v_lshlrev_b32_e32 v6, 2, v1
	ds_read2_b32 v[2:3], v6 offset1:1
	ds_read2_b32 v[4:5], v6 offset0:2 offset1:3
	v_lshlrev_b32_e32 v7, 3, v0
	v_mov_b32_e32 v1, 0
	v_or_b32_e32 v8, 0x1000, v6
	s_waitcnt lgkmcnt(1)
	v_add_u32_e32 v0, v3, v2
	s_waitcnt lgkmcnt(0)
	v_add3_u32 v0, v0, v4, v5
	global_atomic_add_x2 v7, v[0:1], s[26:27]
	v_add_u32_e32 v0, 0x1008, v6
	ds_read2_b32 v[2:3], v8 offset1:1
	ds_read2_b32 v[4:5], v0 offset1:1
	s_waitcnt lgkmcnt(1)
	v_add_u32_e32 v0, v3, v2
	s_waitcnt lgkmcnt(0)
	v_add3_u32 v0, v0, v4, v5
	global_atomic_add_x2 v7, v[0:1], s[26:27] offset:2048
.LBB188_134:
	s_endpgm
	.section	.rodata,"a",@progbits
	.p2align	6, 0x0
	.amdhsa_kernel _ZN7rocprim17ROCPRIM_304000_NS6detail26onesweep_histograms_kernelINS1_34wrapped_radix_sort_onesweep_configINS0_14default_configE6__halfN2at4cuda3cub6detail10OpaqueTypeILi8EEEEELb1EPKS5_mNS0_19identity_decomposerEEEvT1_PT2_SH_SH_T3_jj
		.amdhsa_group_segment_fixed_size 8192
		.amdhsa_private_segment_fixed_size 0
		.amdhsa_kernarg_size 44
		.amdhsa_user_sgpr_count 6
		.amdhsa_user_sgpr_private_segment_buffer 1
		.amdhsa_user_sgpr_dispatch_ptr 0
		.amdhsa_user_sgpr_queue_ptr 0
		.amdhsa_user_sgpr_kernarg_segment_ptr 1
		.amdhsa_user_sgpr_dispatch_id 0
		.amdhsa_user_sgpr_flat_scratch_init 0
		.amdhsa_user_sgpr_kernarg_preload_length 0
		.amdhsa_user_sgpr_kernarg_preload_offset 0
		.amdhsa_user_sgpr_private_segment_size 0
		.amdhsa_uses_dynamic_stack 0
		.amdhsa_system_sgpr_private_segment_wavefront_offset 0
		.amdhsa_system_sgpr_workgroup_id_x 1
		.amdhsa_system_sgpr_workgroup_id_y 0
		.amdhsa_system_sgpr_workgroup_id_z 0
		.amdhsa_system_sgpr_workgroup_info 0
		.amdhsa_system_vgpr_workitem_id 0
		.amdhsa_next_free_vgpr 24
		.amdhsa_next_free_sgpr 40
		.amdhsa_accum_offset 24
		.amdhsa_reserve_vcc 1
		.amdhsa_reserve_flat_scratch 0
		.amdhsa_float_round_mode_32 0
		.amdhsa_float_round_mode_16_64 0
		.amdhsa_float_denorm_mode_32 3
		.amdhsa_float_denorm_mode_16_64 3
		.amdhsa_dx10_clamp 1
		.amdhsa_ieee_mode 1
		.amdhsa_fp16_overflow 0
		.amdhsa_tg_split 0
		.amdhsa_exception_fp_ieee_invalid_op 0
		.amdhsa_exception_fp_denorm_src 0
		.amdhsa_exception_fp_ieee_div_zero 0
		.amdhsa_exception_fp_ieee_overflow 0
		.amdhsa_exception_fp_ieee_underflow 0
		.amdhsa_exception_fp_ieee_inexact 0
		.amdhsa_exception_int_div_zero 0
	.end_amdhsa_kernel
	.section	.text._ZN7rocprim17ROCPRIM_304000_NS6detail26onesweep_histograms_kernelINS1_34wrapped_radix_sort_onesweep_configINS0_14default_configE6__halfN2at4cuda3cub6detail10OpaqueTypeILi8EEEEELb1EPKS5_mNS0_19identity_decomposerEEEvT1_PT2_SH_SH_T3_jj,"axG",@progbits,_ZN7rocprim17ROCPRIM_304000_NS6detail26onesweep_histograms_kernelINS1_34wrapped_radix_sort_onesweep_configINS0_14default_configE6__halfN2at4cuda3cub6detail10OpaqueTypeILi8EEEEELb1EPKS5_mNS0_19identity_decomposerEEEvT1_PT2_SH_SH_T3_jj,comdat
.Lfunc_end188:
	.size	_ZN7rocprim17ROCPRIM_304000_NS6detail26onesweep_histograms_kernelINS1_34wrapped_radix_sort_onesweep_configINS0_14default_configE6__halfN2at4cuda3cub6detail10OpaqueTypeILi8EEEEELb1EPKS5_mNS0_19identity_decomposerEEEvT1_PT2_SH_SH_T3_jj, .Lfunc_end188-_ZN7rocprim17ROCPRIM_304000_NS6detail26onesweep_histograms_kernelINS1_34wrapped_radix_sort_onesweep_configINS0_14default_configE6__halfN2at4cuda3cub6detail10OpaqueTypeILi8EEEEELb1EPKS5_mNS0_19identity_decomposerEEEvT1_PT2_SH_SH_T3_jj
                                        ; -- End function
	.section	.AMDGPU.csdata,"",@progbits
; Kernel info:
; codeLenInByte = 5628
; NumSgprs: 44
; NumVgprs: 24
; NumAgprs: 0
; TotalNumVgprs: 24
; ScratchSize: 0
; MemoryBound: 0
; FloatMode: 240
; IeeeMode: 1
; LDSByteSize: 8192 bytes/workgroup (compile time only)
; SGPRBlocks: 5
; VGPRBlocks: 2
; NumSGPRsForWavesPerEU: 44
; NumVGPRsForWavesPerEU: 24
; AccumOffset: 24
; Occupancy: 8
; WaveLimiterHint : 1
; COMPUTE_PGM_RSRC2:SCRATCH_EN: 0
; COMPUTE_PGM_RSRC2:USER_SGPR: 6
; COMPUTE_PGM_RSRC2:TRAP_HANDLER: 0
; COMPUTE_PGM_RSRC2:TGID_X_EN: 1
; COMPUTE_PGM_RSRC2:TGID_Y_EN: 0
; COMPUTE_PGM_RSRC2:TGID_Z_EN: 0
; COMPUTE_PGM_RSRC2:TIDIG_COMP_CNT: 0
; COMPUTE_PGM_RSRC3_GFX90A:ACCUM_OFFSET: 5
; COMPUTE_PGM_RSRC3_GFX90A:TG_SPLIT: 0
	.section	.text._ZN7rocprim17ROCPRIM_304000_NS6detail31onesweep_scan_histograms_kernelINS1_34wrapped_radix_sort_onesweep_configINS0_14default_configE6__halfN2at4cuda3cub6detail10OpaqueTypeILi8EEEEEmEEvPT0_,"axG",@progbits,_ZN7rocprim17ROCPRIM_304000_NS6detail31onesweep_scan_histograms_kernelINS1_34wrapped_radix_sort_onesweep_configINS0_14default_configE6__halfN2at4cuda3cub6detail10OpaqueTypeILi8EEEEEmEEvPT0_,comdat
	.protected	_ZN7rocprim17ROCPRIM_304000_NS6detail31onesweep_scan_histograms_kernelINS1_34wrapped_radix_sort_onesweep_configINS0_14default_configE6__halfN2at4cuda3cub6detail10OpaqueTypeILi8EEEEEmEEvPT0_ ; -- Begin function _ZN7rocprim17ROCPRIM_304000_NS6detail31onesweep_scan_histograms_kernelINS1_34wrapped_radix_sort_onesweep_configINS0_14default_configE6__halfN2at4cuda3cub6detail10OpaqueTypeILi8EEEEEmEEvPT0_
	.globl	_ZN7rocprim17ROCPRIM_304000_NS6detail31onesweep_scan_histograms_kernelINS1_34wrapped_radix_sort_onesweep_configINS0_14default_configE6__halfN2at4cuda3cub6detail10OpaqueTypeILi8EEEEEmEEvPT0_
	.p2align	8
	.type	_ZN7rocprim17ROCPRIM_304000_NS6detail31onesweep_scan_histograms_kernelINS1_34wrapped_radix_sort_onesweep_configINS0_14default_configE6__halfN2at4cuda3cub6detail10OpaqueTypeILi8EEEEEmEEvPT0_,@function
_ZN7rocprim17ROCPRIM_304000_NS6detail31onesweep_scan_histograms_kernelINS1_34wrapped_radix_sort_onesweep_configINS0_14default_configE6__halfN2at4cuda3cub6detail10OpaqueTypeILi8EEEEEmEEvPT0_: ; @_ZN7rocprim17ROCPRIM_304000_NS6detail31onesweep_scan_histograms_kernelINS1_34wrapped_radix_sort_onesweep_configINS0_14default_configE6__halfN2at4cuda3cub6detail10OpaqueTypeILi8EEEEEmEEvPT0_
; %bb.0:
	s_load_dwordx2 s[0:1], s[4:5], 0x0
	s_lshl_b32 s2, s6, 8
	s_mov_b32 s3, 0
	s_lshl_b64 s[2:3], s[2:3], 3
	v_lshlrev_b32_e32 v5, 3, v0
	s_waitcnt lgkmcnt(0)
	s_add_u32 s6, s0, s2
	s_movk_i32 s0, 0x100
	s_addc_u32 s7, s1, s3
	v_cmp_gt_u32_e32 vcc, s0, v0
                                        ; implicit-def: $vgpr2_vgpr3
	s_and_saveexec_b64 s[0:1], vcc
	s_cbranch_execz .LBB189_2
; %bb.1:
	global_load_dwordx2 v[2:3], v5, s[6:7]
.LBB189_2:
	s_or_b64 exec, exec, s[0:1]
	s_waitcnt vmcnt(0)
	v_mov_b32_dpp v4, v2 row_shr:1 row_mask:0xf bank_mask:0xf
	v_add_co_u32_e64 v4, s[0:1], v2, v4
	v_mbcnt_lo_u32_b32 v1, -1, 0
	v_addc_co_u32_e64 v8, s[0:1], 0, v3, s[0:1]
	v_mbcnt_hi_u32_b32 v6, -1, v1
	v_mov_b32_dpp v7, v3 row_shr:1 row_mask:0xf bank_mask:0xf
	v_add_co_u32_e64 v9, s[0:1], 0, v4
	v_and_b32_e32 v1, 15, v6
	v_addc_co_u32_e64 v7, s[0:1], v7, v8, s[0:1]
	v_cmp_eq_u32_e64 s[0:1], 0, v1
	v_cndmask_b32_e64 v4, v4, v2, s[0:1]
	v_cndmask_b32_e64 v7, v7, v3, s[0:1]
	v_cndmask_b32_e64 v8, v9, v2, s[0:1]
	v_mov_b32_dpp v9, v4 row_shr:2 row_mask:0xf bank_mask:0xf
	v_mov_b32_dpp v10, v7 row_shr:2 row_mask:0xf bank_mask:0xf
	v_add_co_u32_e64 v9, s[0:1], v9, v8
	v_addc_co_u32_e64 v10, s[0:1], v10, v7, s[0:1]
	v_cmp_lt_u32_e64 s[0:1], 1, v1
	v_cndmask_b32_e64 v4, v4, v9, s[0:1]
	v_cndmask_b32_e64 v7, v7, v10, s[0:1]
	v_cndmask_b32_e64 v8, v8, v9, s[0:1]
	v_mov_b32_dpp v9, v4 row_shr:4 row_mask:0xf bank_mask:0xf
	v_mov_b32_dpp v10, v7 row_shr:4 row_mask:0xf bank_mask:0xf
	v_add_co_u32_e64 v9, s[0:1], v9, v8
	v_addc_co_u32_e64 v10, s[0:1], v10, v7, s[0:1]
	v_cmp_lt_u32_e64 s[0:1], 3, v1
	;; [unrolled: 8-line block ×3, first 2 shown]
	v_cndmask_b32_e64 v11, v4, v9, s[0:1]
	v_cndmask_b32_e64 v1, v7, v10, s[0:1]
	;; [unrolled: 1-line block ×3, first 2 shown]
	v_mov_b32_dpp v7, v11 row_bcast:15 row_mask:0xf bank_mask:0xf
	v_mov_b32_dpp v8, v1 row_bcast:15 row_mask:0xf bank_mask:0xf
	v_and_b32_e32 v10, 16, v6
	v_add_co_u32_e64 v7, s[0:1], v7, v4
	v_addc_co_u32_e64 v9, s[0:1], v8, v1, s[0:1]
	v_cmp_eq_u32_e64 s[2:3], 0, v10
	v_cndmask_b32_e64 v10, v9, v1, s[2:3]
	v_cndmask_b32_e64 v8, v7, v11, s[2:3]
	v_cmp_eq_u32_e64 s[0:1], 0, v6
	v_mov_b32_dpp v10, v10 row_bcast:31 row_mask:0xf bank_mask:0xf
	v_mov_b32_dpp v8, v8 row_bcast:31 row_mask:0xf bank_mask:0xf
	v_cmp_ne_u32_e64 s[4:5], 0, v6
	s_and_saveexec_b64 s[8:9], s[4:5]
; %bb.3:
	v_cndmask_b32_e64 v1, v9, v1, s[2:3]
	v_cndmask_b32_e64 v2, v7, v4, s[2:3]
	v_cmp_lt_u32_e64 s[2:3], 31, v6
	v_cndmask_b32_e64 v4, 0, v8, s[2:3]
	v_cndmask_b32_e64 v3, 0, v10, s[2:3]
	v_add_co_u32_e64 v2, s[2:3], v4, v2
	v_addc_co_u32_e64 v3, s[2:3], v3, v1, s[2:3]
; %bb.4:
	s_or_b64 exec, exec, s[8:9]
	v_or_b32_e32 v1, 63, v0
	v_lshrrev_b32_e32 v4, 6, v0
	v_cmp_eq_u32_e64 s[2:3], v1, v0
	s_and_saveexec_b64 s[4:5], s[2:3]
	s_cbranch_execz .LBB189_6
; %bb.5:
	v_lshlrev_b32_e32 v1, 3, v4
	ds_write_b64 v1, v[2:3]
.LBB189_6:
	s_or_b64 exec, exec, s[4:5]
	v_cmp_gt_u32_e64 s[2:3], 4, v0
	s_waitcnt lgkmcnt(0)
	s_barrier
	s_and_saveexec_b64 s[4:5], s[2:3]
	s_cbranch_execz .LBB189_8
; %bb.7:
	ds_read_b64 v[8:9], v5
	v_and_b32_e32 v1, 3, v6
	s_waitcnt lgkmcnt(0)
	v_mov_b32_dpp v7, v8 row_shr:1 row_mask:0xf bank_mask:0xf
	v_add_co_u32_e64 v7, s[2:3], v8, v7
	v_addc_co_u32_e64 v11, s[2:3], 0, v9, s[2:3]
	v_mov_b32_dpp v10, v9 row_shr:1 row_mask:0xf bank_mask:0xf
	v_add_co_u32_e64 v12, s[2:3], 0, v7
	v_addc_co_u32_e64 v10, s[2:3], v10, v11, s[2:3]
	v_cmp_eq_u32_e64 s[2:3], 0, v1
	v_cndmask_b32_e64 v7, v7, v8, s[2:3]
	v_cndmask_b32_e64 v9, v10, v9, s[2:3]
	;; [unrolled: 1-line block ×3, first 2 shown]
	v_mov_b32_dpp v7, v7 row_shr:2 row_mask:0xf bank_mask:0xf
	v_cmp_lt_u32_e64 s[2:3], 1, v1
	v_mov_b32_dpp v8, v9 row_shr:2 row_mask:0xf bank_mask:0xf
	v_cndmask_b32_e64 v1, 0, v7, s[2:3]
	v_cndmask_b32_e64 v7, 0, v8, s[2:3]
	v_add_co_u32_e64 v8, s[2:3], v1, v10
	v_addc_co_u32_e64 v9, s[2:3], v7, v9, s[2:3]
	ds_write_b64 v5, v[8:9]
.LBB189_8:
	s_or_b64 exec, exec, s[4:5]
	v_cmp_lt_u32_e64 s[2:3], 63, v0
	v_pk_mov_b32 v[0:1], 0, 0
	s_waitcnt lgkmcnt(0)
	s_barrier
	s_and_saveexec_b64 s[4:5], s[2:3]
	s_cbranch_execz .LBB189_10
; %bb.9:
	v_lshl_add_u32 v0, v4, 3, -8
	ds_read_b64 v[0:1], v0
.LBB189_10:
	s_or_b64 exec, exec, s[4:5]
	s_waitcnt lgkmcnt(0)
	v_add_co_u32_e64 v2, s[2:3], v0, v2
	v_addc_co_u32_e64 v3, s[2:3], v1, v3, s[2:3]
	v_add_u32_e32 v4, -1, v6
	v_and_b32_e32 v7, 64, v6
	v_cmp_lt_i32_e64 s[2:3], v4, v7
	v_cndmask_b32_e64 v4, v4, v6, s[2:3]
	v_lshlrev_b32_e32 v4, 2, v4
	ds_bpermute_b32 v2, v4, v2
	ds_bpermute_b32 v3, v4, v3
	s_and_saveexec_b64 s[2:3], vcc
	s_cbranch_execz .LBB189_12
; %bb.11:
	s_waitcnt lgkmcnt(0)
	v_cndmask_b32_e64 v1, v3, v1, s[0:1]
	v_cndmask_b32_e64 v0, v2, v0, s[0:1]
	global_store_dwordx2 v5, v[0:1], s[6:7]
.LBB189_12:
	s_endpgm
	.section	.rodata,"a",@progbits
	.p2align	6, 0x0
	.amdhsa_kernel _ZN7rocprim17ROCPRIM_304000_NS6detail31onesweep_scan_histograms_kernelINS1_34wrapped_radix_sort_onesweep_configINS0_14default_configE6__halfN2at4cuda3cub6detail10OpaqueTypeILi8EEEEEmEEvPT0_
		.amdhsa_group_segment_fixed_size 32
		.amdhsa_private_segment_fixed_size 0
		.amdhsa_kernarg_size 8
		.amdhsa_user_sgpr_count 6
		.amdhsa_user_sgpr_private_segment_buffer 1
		.amdhsa_user_sgpr_dispatch_ptr 0
		.amdhsa_user_sgpr_queue_ptr 0
		.amdhsa_user_sgpr_kernarg_segment_ptr 1
		.amdhsa_user_sgpr_dispatch_id 0
		.amdhsa_user_sgpr_flat_scratch_init 0
		.amdhsa_user_sgpr_kernarg_preload_length 0
		.amdhsa_user_sgpr_kernarg_preload_offset 0
		.amdhsa_user_sgpr_private_segment_size 0
		.amdhsa_uses_dynamic_stack 0
		.amdhsa_system_sgpr_private_segment_wavefront_offset 0
		.amdhsa_system_sgpr_workgroup_id_x 1
		.amdhsa_system_sgpr_workgroup_id_y 0
		.amdhsa_system_sgpr_workgroup_id_z 0
		.amdhsa_system_sgpr_workgroup_info 0
		.amdhsa_system_vgpr_workitem_id 0
		.amdhsa_next_free_vgpr 13
		.amdhsa_next_free_sgpr 10
		.amdhsa_accum_offset 16
		.amdhsa_reserve_vcc 1
		.amdhsa_reserve_flat_scratch 0
		.amdhsa_float_round_mode_32 0
		.amdhsa_float_round_mode_16_64 0
		.amdhsa_float_denorm_mode_32 3
		.amdhsa_float_denorm_mode_16_64 3
		.amdhsa_dx10_clamp 1
		.amdhsa_ieee_mode 1
		.amdhsa_fp16_overflow 0
		.amdhsa_tg_split 0
		.amdhsa_exception_fp_ieee_invalid_op 0
		.amdhsa_exception_fp_denorm_src 0
		.amdhsa_exception_fp_ieee_div_zero 0
		.amdhsa_exception_fp_ieee_overflow 0
		.amdhsa_exception_fp_ieee_underflow 0
		.amdhsa_exception_fp_ieee_inexact 0
		.amdhsa_exception_int_div_zero 0
	.end_amdhsa_kernel
	.section	.text._ZN7rocprim17ROCPRIM_304000_NS6detail31onesweep_scan_histograms_kernelINS1_34wrapped_radix_sort_onesweep_configINS0_14default_configE6__halfN2at4cuda3cub6detail10OpaqueTypeILi8EEEEEmEEvPT0_,"axG",@progbits,_ZN7rocprim17ROCPRIM_304000_NS6detail31onesweep_scan_histograms_kernelINS1_34wrapped_radix_sort_onesweep_configINS0_14default_configE6__halfN2at4cuda3cub6detail10OpaqueTypeILi8EEEEEmEEvPT0_,comdat
.Lfunc_end189:
	.size	_ZN7rocprim17ROCPRIM_304000_NS6detail31onesweep_scan_histograms_kernelINS1_34wrapped_radix_sort_onesweep_configINS0_14default_configE6__halfN2at4cuda3cub6detail10OpaqueTypeILi8EEEEEmEEvPT0_, .Lfunc_end189-_ZN7rocprim17ROCPRIM_304000_NS6detail31onesweep_scan_histograms_kernelINS1_34wrapped_radix_sort_onesweep_configINS0_14default_configE6__halfN2at4cuda3cub6detail10OpaqueTypeILi8EEEEEmEEvPT0_
                                        ; -- End function
	.section	.AMDGPU.csdata,"",@progbits
; Kernel info:
; codeLenInByte = 900
; NumSgprs: 14
; NumVgprs: 13
; NumAgprs: 0
; TotalNumVgprs: 13
; ScratchSize: 0
; MemoryBound: 0
; FloatMode: 240
; IeeeMode: 1
; LDSByteSize: 32 bytes/workgroup (compile time only)
; SGPRBlocks: 1
; VGPRBlocks: 1
; NumSGPRsForWavesPerEU: 14
; NumVGPRsForWavesPerEU: 13
; AccumOffset: 16
; Occupancy: 8
; WaveLimiterHint : 0
; COMPUTE_PGM_RSRC2:SCRATCH_EN: 0
; COMPUTE_PGM_RSRC2:USER_SGPR: 6
; COMPUTE_PGM_RSRC2:TRAP_HANDLER: 0
; COMPUTE_PGM_RSRC2:TGID_X_EN: 1
; COMPUTE_PGM_RSRC2:TGID_Y_EN: 0
; COMPUTE_PGM_RSRC2:TGID_Z_EN: 0
; COMPUTE_PGM_RSRC2:TIDIG_COMP_CNT: 0
; COMPUTE_PGM_RSRC3_GFX90A:ACCUM_OFFSET: 3
; COMPUTE_PGM_RSRC3_GFX90A:TG_SPLIT: 0
	.section	.text._ZN7rocprim17ROCPRIM_304000_NS6detail16transform_kernelINS1_24wrapped_transform_configINS0_14default_configE6__halfEES5_PKS5_PS5_NS0_8identityIS5_EEEEvT1_mT2_T3_,"axG",@progbits,_ZN7rocprim17ROCPRIM_304000_NS6detail16transform_kernelINS1_24wrapped_transform_configINS0_14default_configE6__halfEES5_PKS5_PS5_NS0_8identityIS5_EEEEvT1_mT2_T3_,comdat
	.protected	_ZN7rocprim17ROCPRIM_304000_NS6detail16transform_kernelINS1_24wrapped_transform_configINS0_14default_configE6__halfEES5_PKS5_PS5_NS0_8identityIS5_EEEEvT1_mT2_T3_ ; -- Begin function _ZN7rocprim17ROCPRIM_304000_NS6detail16transform_kernelINS1_24wrapped_transform_configINS0_14default_configE6__halfEES5_PKS5_PS5_NS0_8identityIS5_EEEEvT1_mT2_T3_
	.globl	_ZN7rocprim17ROCPRIM_304000_NS6detail16transform_kernelINS1_24wrapped_transform_configINS0_14default_configE6__halfEES5_PKS5_PS5_NS0_8identityIS5_EEEEvT1_mT2_T3_
	.p2align	8
	.type	_ZN7rocprim17ROCPRIM_304000_NS6detail16transform_kernelINS1_24wrapped_transform_configINS0_14default_configE6__halfEES5_PKS5_PS5_NS0_8identityIS5_EEEEvT1_mT2_T3_,@function
_ZN7rocprim17ROCPRIM_304000_NS6detail16transform_kernelINS1_24wrapped_transform_configINS0_14default_configE6__halfEES5_PKS5_PS5_NS0_8identityIS5_EEEEvT1_mT2_T3_: ; @_ZN7rocprim17ROCPRIM_304000_NS6detail16transform_kernelINS1_24wrapped_transform_configINS0_14default_configE6__halfEES5_PKS5_PS5_NS0_8identityIS5_EEEEvT1_mT2_T3_
; %bb.0:
	s_load_dword s7, s[4:5], 0x20
	s_load_dwordx4 s[0:3], s[4:5], 0x0
	s_load_dwordx2 s[14:15], s[4:5], 0x10
	s_lshl_b32 s4, s6, 9
	s_mov_b32 s5, 0
	s_waitcnt lgkmcnt(0)
	s_add_i32 s7, s7, -1
	s_lshl_b64 s[16:17], s[4:5], 1
	s_add_u32 s0, s0, s16
	s_addc_u32 s1, s1, s17
	v_lshlrev_b32_e32 v4, 1, v0
	v_mov_b32_e32 v1, s1
	v_add_co_u32_e32 v2, vcc, s0, v4
	s_cmp_lg_u32 s6, s7
	v_addc_co_u32_e32 v3, vcc, 0, v1, vcc
	s_cbranch_scc0 .LBB190_2
; %bb.1:
	global_load_ushort v1, v[2:3], off
	global_load_ushort v6, v[2:3], off offset:128
	global_load_ushort v7, v[2:3], off offset:256
	;; [unrolled: 1-line block ×7, first 2 shown]
	s_add_u32 s6, s14, s16
	s_addc_u32 s7, s15, s17
	s_mov_b64 s[18:19], -1
	s_waitcnt vmcnt(7)
	global_store_short v4, v1, s[6:7]
	s_waitcnt vmcnt(7)
	global_store_short v4, v6, s[6:7] offset:128
	s_waitcnt vmcnt(7)
	global_store_short v4, v7, s[6:7] offset:256
	;; [unrolled: 2-line block ×6, first 2 shown]
	s_cbranch_execz .LBB190_3
	s_branch .LBB190_28
.LBB190_2:
	s_mov_b64 s[18:19], 0
                                        ; implicit-def: $vgpr5
.LBB190_3:
	s_sub_i32 s18, s2, s4
	v_cmp_gt_u32_e32 vcc, s18, v0
                                        ; implicit-def: $vgpr6
	s_and_saveexec_b64 s[0:1], vcc
	s_cbranch_execz .LBB190_5
; %bb.4:
	global_load_ushort v6, v[2:3], off
.LBB190_5:
	s_or_b64 exec, exec, s[0:1]
	v_or_b32_e32 v1, 64, v0
	v_cmp_gt_u32_e64 s[0:1], s18, v1
                                        ; implicit-def: $vgpr7
	s_and_saveexec_b64 s[2:3], s[0:1]
	s_cbranch_execz .LBB190_7
; %bb.6:
	global_load_ushort v7, v[2:3], off offset:128
.LBB190_7:
	s_or_b64 exec, exec, s[2:3]
	v_or_b32_e32 v1, 0x80, v0
	v_cmp_gt_u32_e64 s[2:3], s18, v1
                                        ; implicit-def: $vgpr8
	s_and_saveexec_b64 s[4:5], s[2:3]
	s_cbranch_execz .LBB190_9
; %bb.8:
	global_load_ushort v8, v[2:3], off offset:256
.LBB190_9:
	s_or_b64 exec, exec, s[4:5]
	v_or_b32_e32 v1, 0xc0, v0
	v_cmp_gt_u32_e64 s[4:5], s18, v1
                                        ; implicit-def: $vgpr9
	s_and_saveexec_b64 s[6:7], s[4:5]
	s_cbranch_execz .LBB190_11
; %bb.10:
	global_load_ushort v9, v[2:3], off offset:384
.LBB190_11:
	s_or_b64 exec, exec, s[6:7]
	v_or_b32_e32 v1, 0x100, v0
	v_cmp_gt_u32_e64 s[6:7], s18, v1
                                        ; implicit-def: $vgpr10
	s_and_saveexec_b64 s[8:9], s[6:7]
	s_cbranch_execz .LBB190_13
; %bb.12:
	global_load_ushort v10, v[2:3], off offset:512
.LBB190_13:
	s_or_b64 exec, exec, s[8:9]
	v_or_b32_e32 v1, 0x140, v0
	v_cmp_gt_u32_e64 s[8:9], s18, v1
                                        ; implicit-def: $vgpr11
	s_and_saveexec_b64 s[10:11], s[8:9]
	s_cbranch_execz .LBB190_15
; %bb.14:
	global_load_ushort v11, v[2:3], off offset:640
.LBB190_15:
	s_or_b64 exec, exec, s[10:11]
	v_or_b32_e32 v1, 0x180, v0
	v_cmp_gt_u32_e64 s[10:11], s18, v1
                                        ; implicit-def: $vgpr12
	s_and_saveexec_b64 s[12:13], s[10:11]
	s_cbranch_execz .LBB190_17
; %bb.16:
	global_load_ushort v12, v[2:3], off offset:768
.LBB190_17:
	s_or_b64 exec, exec, s[12:13]
	v_or_b32_e32 v0, 0x1c0, v0
	v_cmp_gt_u32_e64 s[18:19], s18, v0
                                        ; implicit-def: $vgpr5
	s_and_saveexec_b64 s[12:13], s[18:19]
	s_cbranch_execz .LBB190_19
; %bb.18:
	global_load_ushort v5, v[2:3], off offset:896
.LBB190_19:
	s_or_b64 exec, exec, s[12:13]
	s_add_u32 s12, s14, s16
	s_addc_u32 s13, s15, s17
	v_mov_b32_e32 v1, s13
	v_add_co_u32_e64 v0, s[12:13], s12, v4
	v_addc_co_u32_e64 v1, s[12:13], 0, v1, s[12:13]
	s_and_saveexec_b64 s[12:13], vcc
	s_xor_b64 s[12:13], exec, s[12:13]
	s_cbranch_execnz .LBB190_31
; %bb.20:
	s_or_b64 exec, exec, s[12:13]
	s_and_saveexec_b64 s[12:13], s[0:1]
	s_cbranch_execnz .LBB190_32
.LBB190_21:
	s_or_b64 exec, exec, s[12:13]
	s_and_saveexec_b64 s[0:1], s[2:3]
	s_cbranch_execnz .LBB190_33
.LBB190_22:
	s_or_b64 exec, exec, s[0:1]
	s_and_saveexec_b64 s[0:1], s[4:5]
	s_cbranch_execnz .LBB190_34
.LBB190_23:
	s_or_b64 exec, exec, s[0:1]
	s_and_saveexec_b64 s[0:1], s[6:7]
	s_cbranch_execnz .LBB190_35
.LBB190_24:
	s_or_b64 exec, exec, s[0:1]
	s_and_saveexec_b64 s[0:1], s[8:9]
	s_cbranch_execnz .LBB190_36
.LBB190_25:
	s_or_b64 exec, exec, s[0:1]
	s_and_saveexec_b64 s[0:1], s[10:11]
	s_cbranch_execz .LBB190_27
.LBB190_26:
	s_waitcnt vmcnt(0)
	global_store_short v[0:1], v12, off offset:768
.LBB190_27:
	s_or_b64 exec, exec, s[0:1]
.LBB190_28:
	s_and_saveexec_b64 s[0:1], s[18:19]
	s_cbranch_execnz .LBB190_30
; %bb.29:
	s_endpgm
.LBB190_30:
	s_add_u32 s0, s14, s16
	s_addc_u32 s1, s15, s17
	s_waitcnt vmcnt(0)
	global_store_short v4, v5, s[0:1] offset:896
	s_endpgm
.LBB190_31:
	s_waitcnt vmcnt(0)
	global_store_short v[0:1], v6, off
	s_or_b64 exec, exec, s[12:13]
	s_and_saveexec_b64 s[12:13], s[0:1]
	s_cbranch_execz .LBB190_21
.LBB190_32:
	s_waitcnt vmcnt(0)
	global_store_short v[0:1], v7, off offset:128
	s_or_b64 exec, exec, s[12:13]
	s_and_saveexec_b64 s[0:1], s[2:3]
	s_cbranch_execz .LBB190_22
.LBB190_33:
	s_waitcnt vmcnt(0)
	global_store_short v[0:1], v8, off offset:256
	s_or_b64 exec, exec, s[0:1]
	s_and_saveexec_b64 s[0:1], s[4:5]
	s_cbranch_execz .LBB190_23
.LBB190_34:
	s_waitcnt vmcnt(0)
	global_store_short v[0:1], v9, off offset:384
	s_or_b64 exec, exec, s[0:1]
	s_and_saveexec_b64 s[0:1], s[6:7]
	s_cbranch_execz .LBB190_24
.LBB190_35:
	s_waitcnt vmcnt(0)
	global_store_short v[0:1], v10, off offset:512
	s_or_b64 exec, exec, s[0:1]
	s_and_saveexec_b64 s[0:1], s[8:9]
	s_cbranch_execz .LBB190_25
.LBB190_36:
	s_waitcnt vmcnt(0)
	global_store_short v[0:1], v11, off offset:640
	s_or_b64 exec, exec, s[0:1]
	s_and_saveexec_b64 s[0:1], s[10:11]
	s_cbranch_execnz .LBB190_26
	s_branch .LBB190_27
	.section	.rodata,"a",@progbits
	.p2align	6, 0x0
	.amdhsa_kernel _ZN7rocprim17ROCPRIM_304000_NS6detail16transform_kernelINS1_24wrapped_transform_configINS0_14default_configE6__halfEES5_PKS5_PS5_NS0_8identityIS5_EEEEvT1_mT2_T3_
		.amdhsa_group_segment_fixed_size 0
		.amdhsa_private_segment_fixed_size 0
		.amdhsa_kernarg_size 288
		.amdhsa_user_sgpr_count 6
		.amdhsa_user_sgpr_private_segment_buffer 1
		.amdhsa_user_sgpr_dispatch_ptr 0
		.amdhsa_user_sgpr_queue_ptr 0
		.amdhsa_user_sgpr_kernarg_segment_ptr 1
		.amdhsa_user_sgpr_dispatch_id 0
		.amdhsa_user_sgpr_flat_scratch_init 0
		.amdhsa_user_sgpr_kernarg_preload_length 0
		.amdhsa_user_sgpr_kernarg_preload_offset 0
		.amdhsa_user_sgpr_private_segment_size 0
		.amdhsa_uses_dynamic_stack 0
		.amdhsa_system_sgpr_private_segment_wavefront_offset 0
		.amdhsa_system_sgpr_workgroup_id_x 1
		.amdhsa_system_sgpr_workgroup_id_y 0
		.amdhsa_system_sgpr_workgroup_id_z 0
		.amdhsa_system_sgpr_workgroup_info 0
		.amdhsa_system_vgpr_workitem_id 0
		.amdhsa_next_free_vgpr 13
		.amdhsa_next_free_sgpr 20
		.amdhsa_accum_offset 16
		.amdhsa_reserve_vcc 1
		.amdhsa_reserve_flat_scratch 0
		.amdhsa_float_round_mode_32 0
		.amdhsa_float_round_mode_16_64 0
		.amdhsa_float_denorm_mode_32 3
		.amdhsa_float_denorm_mode_16_64 3
		.amdhsa_dx10_clamp 1
		.amdhsa_ieee_mode 1
		.amdhsa_fp16_overflow 0
		.amdhsa_tg_split 0
		.amdhsa_exception_fp_ieee_invalid_op 0
		.amdhsa_exception_fp_denorm_src 0
		.amdhsa_exception_fp_ieee_div_zero 0
		.amdhsa_exception_fp_ieee_overflow 0
		.amdhsa_exception_fp_ieee_underflow 0
		.amdhsa_exception_fp_ieee_inexact 0
		.amdhsa_exception_int_div_zero 0
	.end_amdhsa_kernel
	.section	.text._ZN7rocprim17ROCPRIM_304000_NS6detail16transform_kernelINS1_24wrapped_transform_configINS0_14default_configE6__halfEES5_PKS5_PS5_NS0_8identityIS5_EEEEvT1_mT2_T3_,"axG",@progbits,_ZN7rocprim17ROCPRIM_304000_NS6detail16transform_kernelINS1_24wrapped_transform_configINS0_14default_configE6__halfEES5_PKS5_PS5_NS0_8identityIS5_EEEEvT1_mT2_T3_,comdat
.Lfunc_end190:
	.size	_ZN7rocprim17ROCPRIM_304000_NS6detail16transform_kernelINS1_24wrapped_transform_configINS0_14default_configE6__halfEES5_PKS5_PS5_NS0_8identityIS5_EEEEvT1_mT2_T3_, .Lfunc_end190-_ZN7rocprim17ROCPRIM_304000_NS6detail16transform_kernelINS1_24wrapped_transform_configINS0_14default_configE6__halfEES5_PKS5_PS5_NS0_8identityIS5_EEEEvT1_mT2_T3_
                                        ; -- End function
	.section	.AMDGPU.csdata,"",@progbits
; Kernel info:
; codeLenInByte = 836
; NumSgprs: 24
; NumVgprs: 13
; NumAgprs: 0
; TotalNumVgprs: 13
; ScratchSize: 0
; MemoryBound: 0
; FloatMode: 240
; IeeeMode: 1
; LDSByteSize: 0 bytes/workgroup (compile time only)
; SGPRBlocks: 2
; VGPRBlocks: 1
; NumSGPRsForWavesPerEU: 24
; NumVGPRsForWavesPerEU: 13
; AccumOffset: 16
; Occupancy: 8
; WaveLimiterHint : 1
; COMPUTE_PGM_RSRC2:SCRATCH_EN: 0
; COMPUTE_PGM_RSRC2:USER_SGPR: 6
; COMPUTE_PGM_RSRC2:TRAP_HANDLER: 0
; COMPUTE_PGM_RSRC2:TGID_X_EN: 1
; COMPUTE_PGM_RSRC2:TGID_Y_EN: 0
; COMPUTE_PGM_RSRC2:TGID_Z_EN: 0
; COMPUTE_PGM_RSRC2:TIDIG_COMP_CNT: 0
; COMPUTE_PGM_RSRC3_GFX90A:ACCUM_OFFSET: 3
; COMPUTE_PGM_RSRC3_GFX90A:TG_SPLIT: 0
	.section	.text._ZN7rocprim17ROCPRIM_304000_NS6detail25onesweep_iteration_kernelINS1_34wrapped_radix_sort_onesweep_configINS0_14default_configE6__halfN2at4cuda3cub6detail10OpaqueTypeILi8EEEEELb1EPKS5_PS5_PKSB_PSB_mNS0_19identity_decomposerEEEvT1_T2_T3_T4_jPT5_SP_PNS1_23onesweep_lookback_stateET6_jjj,"axG",@progbits,_ZN7rocprim17ROCPRIM_304000_NS6detail25onesweep_iteration_kernelINS1_34wrapped_radix_sort_onesweep_configINS0_14default_configE6__halfN2at4cuda3cub6detail10OpaqueTypeILi8EEEEELb1EPKS5_PS5_PKSB_PSB_mNS0_19identity_decomposerEEEvT1_T2_T3_T4_jPT5_SP_PNS1_23onesweep_lookback_stateET6_jjj,comdat
	.protected	_ZN7rocprim17ROCPRIM_304000_NS6detail25onesweep_iteration_kernelINS1_34wrapped_radix_sort_onesweep_configINS0_14default_configE6__halfN2at4cuda3cub6detail10OpaqueTypeILi8EEEEELb1EPKS5_PS5_PKSB_PSB_mNS0_19identity_decomposerEEEvT1_T2_T3_T4_jPT5_SP_PNS1_23onesweep_lookback_stateET6_jjj ; -- Begin function _ZN7rocprim17ROCPRIM_304000_NS6detail25onesweep_iteration_kernelINS1_34wrapped_radix_sort_onesweep_configINS0_14default_configE6__halfN2at4cuda3cub6detail10OpaqueTypeILi8EEEEELb1EPKS5_PS5_PKSB_PSB_mNS0_19identity_decomposerEEEvT1_T2_T3_T4_jPT5_SP_PNS1_23onesweep_lookback_stateET6_jjj
	.globl	_ZN7rocprim17ROCPRIM_304000_NS6detail25onesweep_iteration_kernelINS1_34wrapped_radix_sort_onesweep_configINS0_14default_configE6__halfN2at4cuda3cub6detail10OpaqueTypeILi8EEEEELb1EPKS5_PS5_PKSB_PSB_mNS0_19identity_decomposerEEEvT1_T2_T3_T4_jPT5_SP_PNS1_23onesweep_lookback_stateET6_jjj
	.p2align	8
	.type	_ZN7rocprim17ROCPRIM_304000_NS6detail25onesweep_iteration_kernelINS1_34wrapped_radix_sort_onesweep_configINS0_14default_configE6__halfN2at4cuda3cub6detail10OpaqueTypeILi8EEEEELb1EPKS5_PS5_PKSB_PSB_mNS0_19identity_decomposerEEEvT1_T2_T3_T4_jPT5_SP_PNS1_23onesweep_lookback_stateET6_jjj,@function
_ZN7rocprim17ROCPRIM_304000_NS6detail25onesweep_iteration_kernelINS1_34wrapped_radix_sort_onesweep_configINS0_14default_configE6__halfN2at4cuda3cub6detail10OpaqueTypeILi8EEEEELb1EPKS5_PS5_PKSB_PSB_mNS0_19identity_decomposerEEEvT1_T2_T3_T4_jPT5_SP_PNS1_23onesweep_lookback_stateET6_jjj: ; @_ZN7rocprim17ROCPRIM_304000_NS6detail25onesweep_iteration_kernelINS1_34wrapped_radix_sort_onesweep_configINS0_14default_configE6__halfN2at4cuda3cub6detail10OpaqueTypeILi8EEEEELb1EPKS5_PS5_PKSB_PSB_mNS0_19identity_decomposerEEEvT1_T2_T3_T4_jPT5_SP_PNS1_23onesweep_lookback_stateET6_jjj
; %bb.0:
	s_load_dwordx4 s[68:71], s[4:5], 0x44
	s_load_dwordx8 s[56:63], s[4:5], 0x0
	s_load_dwordx4 s[64:67], s[4:5], 0x28
	s_load_dwordx2 s[72:73], s[4:5], 0x38
	s_mov_b32 s7, s6
	s_waitcnt lgkmcnt(0)
	s_cmp_ge_u32 s6, s70
	s_mul_i32 s54, s6, 0xc00
	v_mbcnt_lo_u32_b32 v1, -1, 0
	s_cbranch_scc0 .LBB191_129
; %bb.1:
	s_load_dword s2, s[4:5], 0x20
	s_mulk_i32 s70, 0xf400
	s_mov_b32 s55, 0
	s_lshl_b64 s[0:1], s[54:55], 1
	v_and_b32_e32 v2, 0x3ff, v0
	s_waitcnt lgkmcnt(0)
	s_add_i32 s70, s70, s2
	s_add_u32 s0, s56, s0
	v_mbcnt_hi_u32_b32 v13, -1, v1
	s_addc_u32 s1, s57, s1
	v_and_b32_e32 v3, 0xc0, v2
	v_lshlrev_b32_e32 v4, 1, v13
	v_mul_u32_u24_e32 v12, 12, v3
	v_mov_b32_e32 v5, s1
	v_add_co_u32_e32 v4, vcc, s0, v4
	v_addc_co_u32_e32 v5, vcc, 0, v5, vcc
	v_lshlrev_b32_e32 v6, 1, v12
	v_add_co_u32_e32 v4, vcc, v4, v6
	v_addc_co_u32_e32 v5, vcc, 0, v5, vcc
	v_or_b32_e32 v7, v13, v12
	v_cmp_gt_u32_e32 vcc, s70, v7
	v_mov_b32_e32 v10, -1
	v_mov_b32_e32 v6, -1
	s_and_saveexec_b64 s[0:1], vcc
	s_cbranch_execz .LBB191_3
; %bb.2:
	global_load_ushort v6, v[4:5], off
.LBB191_3:
	s_or_b64 exec, exec, s[0:1]
	v_add_u32_e32 v8, 64, v7
	v_cmp_gt_u32_e64 s[0:1], s70, v8
	s_and_saveexec_b64 s[2:3], s[0:1]
	s_cbranch_execz .LBB191_5
; %bb.4:
	global_load_ushort v10, v[4:5], off offset:128
.LBB191_5:
	s_or_b64 exec, exec, s[2:3]
	v_add_u32_e32 v8, 0x80, v7
	v_cmp_gt_u32_e64 s[2:3], s70, v8
	v_mov_b32_e32 v24, -1
	v_mov_b32_e32 v19, -1
	s_and_saveexec_b64 s[8:9], s[2:3]
	s_cbranch_execz .LBB191_7
; %bb.6:
	global_load_ushort v19, v[4:5], off offset:256
.LBB191_7:
	s_or_b64 exec, exec, s[8:9]
	v_add_u32_e32 v8, 0xc0, v7
	v_cmp_gt_u32_e64 s[50:51], s70, v8
	s_and_saveexec_b64 s[8:9], s[50:51]
	s_cbranch_execz .LBB191_9
; %bb.8:
	global_load_ushort v24, v[4:5], off offset:384
.LBB191_9:
	s_or_b64 exec, exec, s[8:9]
	v_add_u32_e32 v8, 0x100, v7
	v_cmp_gt_u32_e64 s[8:9], s70, v8
	v_mov_b32_e32 v36, -1
	v_mov_b32_e32 v30, -1
	s_and_saveexec_b64 s[10:11], s[8:9]
	s_cbranch_execz .LBB191_11
; %bb.10:
	global_load_ushort v30, v[4:5], off offset:512
.LBB191_11:
	;; [unrolled: 18-line block ×5, first 2 shown]
	s_or_b64 exec, exec, s[10:11]
	v_add_u32_e32 v7, 0x2c0, v7
	v_cmp_gt_u32_e64 s[10:11], s70, v7
	s_and_saveexec_b64 s[24:25], s[10:11]
	s_cbranch_execz .LBB191_25
; %bb.24:
	global_load_ushort v16, v[4:5], off offset:1408
.LBB191_25:
	s_or_b64 exec, exec, s[24:25]
	s_load_dword s24, s[4:5], 0x5c
	s_load_dword s33, s[4:5], 0x50
	s_add_u32 s25, s4, 0x50
	s_addc_u32 s26, s5, 0
	v_mov_b32_e32 v4, 0
	s_waitcnt lgkmcnt(0)
	s_lshr_b32 s27, s24, 16
	s_cmp_lt_u32 s6, s33
	s_cselect_b32 s24, 12, 18
	s_add_u32 s24, s25, s24
	s_addc_u32 s25, s26, 0
	global_load_ushort v7, v4, s[24:25]
	v_mov_b32_e32 v15, 0x7fff
	s_waitcnt vmcnt(1)
	v_cmp_gt_i16_e64 s[24:25], 0, v6
	v_mul_u32_u24_e32 v8, 5, v2
	v_cndmask_b32_e64 v14, v15, 0, s[24:25]
	s_movk_i32 s28, 0x8000
	v_lshlrev_b32_e32 v9, 2, v8
	v_xor_b32_e32 v8, v14, v6
	v_cmp_ne_u16_e64 s[24:25], s28, v8
	v_cndmask_b32_e64 v6, v15, v8, s[24:25]
	s_lshl_b32 s24, -1, s69
	v_lshrrev_b32_sdwa v6, s68, v6 dst_sel:DWORD dst_unused:UNUSED_PAD src0_sel:DWORD src1_sel:WORD_0
	s_not_b32 s74, s24
	v_and_b32_e32 v14, s74, v6
	v_and_b32_e32 v6, 1, v14
	v_bfe_u32 v5, v0, 10, 10
	v_bfe_u32 v11, v0, 20, 10
	v_add_co_u32_e64 v18, s[24:25], -1, v6
	v_mad_u32_u24 v11, v11, s27, v5
	v_lshlrev_b32_e32 v5, 30, v14
	v_addc_co_u32_e64 v20, s[24:25], 0, -1, s[24:25]
	v_cmp_ne_u32_e64 s[24:25], 0, v6
	v_cmp_gt_i64_e64 s[26:27], 0, v[4:5]
	v_not_b32_e32 v6, v5
	v_lshlrev_b32_e32 v5, 29, v14
	v_xor_b32_e32 v20, s25, v20
	v_xor_b32_e32 v18, s24, v18
	v_ashrrev_i32_e32 v6, 31, v6
	v_cmp_gt_i64_e64 s[24:25], 0, v[4:5]
	v_not_b32_e32 v22, v5
	v_lshlrev_b32_e32 v5, 28, v14
	v_and_b32_e32 v20, exec_hi, v20
	v_and_b32_e32 v18, exec_lo, v18
	v_xor_b32_e32 v23, s27, v6
	v_xor_b32_e32 v6, s26, v6
	v_ashrrev_i32_e32 v22, 31, v22
	v_cmp_gt_i64_e64 s[26:27], 0, v[4:5]
	v_not_b32_e32 v25, v5
	v_lshlrev_b32_e32 v5, 27, v14
	v_and_b32_e32 v20, v20, v23
	v_and_b32_e32 v6, v18, v6
	v_xor_b32_e32 v18, s25, v22
	v_xor_b32_e32 v22, s24, v22
	v_ashrrev_i32_e32 v23, 31, v25
	v_cmp_gt_i64_e64 s[24:25], 0, v[4:5]
	v_not_b32_e32 v25, v5
	v_lshlrev_b32_e32 v5, 26, v14
	v_and_b32_e32 v18, v20, v18
	v_and_b32_e32 v6, v6, v22
	v_xor_b32_e32 v20, s27, v23
	v_xor_b32_e32 v22, s26, v23
	v_ashrrev_i32_e32 v23, 31, v25
	v_not_b32_e32 v25, v5
	v_cmp_gt_i64_e64 s[26:27], 0, v[4:5]
	v_lshlrev_b32_e32 v5, 25, v14
	v_and_b32_e32 v18, v18, v20
	v_and_b32_e32 v6, v6, v22
	v_xor_b32_e32 v20, s25, v23
	v_xor_b32_e32 v22, s24, v23
	v_ashrrev_i32_e32 v23, 31, v25
	v_cmp_gt_i64_e64 s[24:25], 0, v[4:5]
	v_not_b32_e32 v5, v5
	v_and_b32_e32 v18, v18, v20
	v_and_b32_e32 v6, v6, v22
	v_xor_b32_e32 v20, s27, v23
	v_xor_b32_e32 v22, s26, v23
	v_ashrrev_i32_e32 v5, 31, v5
	v_and_b32_e32 v18, v18, v20
	v_and_b32_e32 v20, v6, v22
	v_mul_u32_u24_e32 v17, 5, v14
	v_xor_b32_e32 v22, s25, v5
	v_xor_b32_e32 v5, s24, v5
	ds_write2_b32 v9, v4, v4 offset0:4 offset1:5
	ds_write2_b32 v9, v4, v4 offset0:6 offset1:7
	ds_write_b32 v9, v4 offset:32
	s_waitcnt lgkmcnt(0)
	s_barrier
	s_waitcnt lgkmcnt(0)
	; wave barrier
	s_waitcnt vmcnt(0)
	v_mad_u64_u32 v[6:7], s[26:27], v11, v7, v[2:3]
	v_lshrrev_b32_e32 v23, 6, v6
	v_add_lshl_u32 v11, v23, v17, 2
	v_and_b32_e32 v17, v20, v5
	v_lshlrev_b32_e32 v5, 24, v14
	v_cmp_gt_i64_e64 s[24:25], 0, v[4:5]
	v_not_b32_e32 v5, v5
	v_ashrrev_i32_e32 v5, 31, v5
	v_and_b32_e32 v6, v18, v22
	v_xor_b32_e32 v7, s25, v5
	v_xor_b32_e32 v5, s24, v5
	v_and_b32_e32 v7, v6, v7
	v_and_b32_e32 v6, v17, v5
	v_mbcnt_lo_u32_b32 v5, v6, 0
	v_mbcnt_hi_u32_b32 v14, v7, v5
	v_cmp_eq_u32_e64 s[24:25], 0, v14
	v_cmp_ne_u64_e64 s[26:27], 0, v[6:7]
	s_and_b64 s[26:27], s[26:27], s[24:25]
	s_and_saveexec_b64 s[24:25], s[26:27]
	s_cbranch_execz .LBB191_27
; %bb.26:
	v_bcnt_u32_b32 v5, v6, 0
	v_bcnt_u32_b32 v5, v7, v5
	ds_write_b32 v11, v5 offset:16
.LBB191_27:
	s_or_b64 exec, exec, s[24:25]
	v_cmp_gt_i16_e64 s[24:25], 0, v10
	v_cndmask_b32_e64 v5, v15, 0, s[24:25]
	v_xor_b32_e32 v10, v5, v10
	v_cmp_ne_u16_e64 s[24:25], s28, v10
	v_cndmask_b32_e64 v5, v15, v10, s[24:25]
	v_lshrrev_b32_sdwa v5, s68, v5 dst_sel:DWORD dst_unused:UNUSED_PAD src0_sel:DWORD src1_sel:WORD_0
	v_and_b32_e32 v6, s74, v5
	v_mul_u32_u24_e32 v5, 5, v6
	v_add_lshl_u32 v17, v23, v5, 2
	v_and_b32_e32 v5, 1, v6
	v_add_co_u32_e64 v7, s[24:25], -1, v5
	v_addc_co_u32_e64 v18, s[24:25], 0, -1, s[24:25]
	v_cmp_ne_u32_e64 s[24:25], 0, v5
	v_xor_b32_e32 v5, s25, v18
	v_and_b32_e32 v18, exec_hi, v5
	v_lshlrev_b32_e32 v5, 30, v6
	v_xor_b32_e32 v7, s24, v7
	v_cmp_gt_i64_e64 s[24:25], 0, v[4:5]
	v_not_b32_e32 v5, v5
	v_ashrrev_i32_e32 v5, 31, v5
	v_and_b32_e32 v7, exec_lo, v7
	v_xor_b32_e32 v20, s25, v5
	v_xor_b32_e32 v5, s24, v5
	v_and_b32_e32 v7, v7, v5
	v_lshlrev_b32_e32 v5, 29, v6
	v_cmp_gt_i64_e64 s[24:25], 0, v[4:5]
	v_not_b32_e32 v5, v5
	v_ashrrev_i32_e32 v5, 31, v5
	v_and_b32_e32 v18, v18, v20
	v_xor_b32_e32 v20, s25, v5
	v_xor_b32_e32 v5, s24, v5
	v_and_b32_e32 v7, v7, v5
	v_lshlrev_b32_e32 v5, 28, v6
	v_cmp_gt_i64_e64 s[24:25], 0, v[4:5]
	v_not_b32_e32 v5, v5
	v_ashrrev_i32_e32 v5, 31, v5
	v_and_b32_e32 v18, v18, v20
	;; [unrolled: 8-line block ×5, first 2 shown]
	v_xor_b32_e32 v20, s25, v5
	v_xor_b32_e32 v5, s24, v5
	v_and_b32_e32 v7, v7, v5
	v_lshlrev_b32_e32 v5, 24, v6
	v_cmp_gt_i64_e64 s[24:25], 0, v[4:5]
	v_not_b32_e32 v4, v5
	v_ashrrev_i32_e32 v4, 31, v4
	v_xor_b32_e32 v5, s25, v4
	v_xor_b32_e32 v4, s24, v4
	; wave barrier
	ds_read_b32 v15, v17 offset:16
	v_and_b32_e32 v18, v18, v20
	v_and_b32_e32 v4, v7, v4
	;; [unrolled: 1-line block ×3, first 2 shown]
	v_mbcnt_lo_u32_b32 v6, v4, 0
	v_mbcnt_hi_u32_b32 v18, v5, v6
	v_cmp_eq_u32_e64 s[24:25], 0, v18
	v_cmp_ne_u64_e64 s[26:27], 0, v[4:5]
	s_and_b64 s[26:27], s[26:27], s[24:25]
	; wave barrier
	s_and_saveexec_b64 s[24:25], s[26:27]
	s_cbranch_execz .LBB191_29
; %bb.28:
	v_bcnt_u32_b32 v4, v4, 0
	v_bcnt_u32_b32 v4, v5, v4
	s_waitcnt lgkmcnt(0)
	v_add_u32_e32 v4, v15, v4
	ds_write_b32 v17, v4 offset:16
.LBB191_29:
	s_or_b64 exec, exec, s[24:25]
	v_mov_b32_e32 v26, 0x7fff
	v_cmp_gt_i16_e64 s[24:25], 0, v19
	v_cndmask_b32_e64 v5, v26, 0, s[24:25]
	v_xor_b32_e32 v19, v5, v19
	v_cmp_ne_u16_e64 s[24:25], s28, v19
	v_cndmask_b32_e64 v5, v26, v19, s[24:25]
	v_lshrrev_b32_sdwa v5, s68, v5 dst_sel:DWORD dst_unused:UNUSED_PAD src0_sel:DWORD src1_sel:WORD_0
	v_and_b32_e32 v6, s74, v5
	v_mul_u32_u24_e32 v5, 5, v6
	v_add_lshl_u32 v22, v23, v5, 2
	v_and_b32_e32 v5, 1, v6
	v_add_co_u32_e64 v7, s[24:25], -1, v5
	v_addc_co_u32_e64 v25, s[24:25], 0, -1, s[24:25]
	v_cmp_ne_u32_e64 s[24:25], 0, v5
	v_xor_b32_e32 v5, s25, v25
	v_mov_b32_e32 v4, 0
	v_and_b32_e32 v25, exec_hi, v5
	v_lshlrev_b32_e32 v5, 30, v6
	v_xor_b32_e32 v7, s24, v7
	v_cmp_gt_i64_e64 s[24:25], 0, v[4:5]
	v_not_b32_e32 v5, v5
	v_ashrrev_i32_e32 v5, 31, v5
	v_and_b32_e32 v7, exec_lo, v7
	v_xor_b32_e32 v28, s25, v5
	v_xor_b32_e32 v5, s24, v5
	v_and_b32_e32 v7, v7, v5
	v_lshlrev_b32_e32 v5, 29, v6
	v_cmp_gt_i64_e64 s[24:25], 0, v[4:5]
	v_not_b32_e32 v5, v5
	v_ashrrev_i32_e32 v5, 31, v5
	v_and_b32_e32 v25, v25, v28
	v_xor_b32_e32 v28, s25, v5
	v_xor_b32_e32 v5, s24, v5
	v_and_b32_e32 v7, v7, v5
	v_lshlrev_b32_e32 v5, 28, v6
	v_cmp_gt_i64_e64 s[24:25], 0, v[4:5]
	v_not_b32_e32 v5, v5
	v_ashrrev_i32_e32 v5, 31, v5
	v_and_b32_e32 v25, v25, v28
	;; [unrolled: 8-line block ×5, first 2 shown]
	v_xor_b32_e32 v28, s25, v5
	v_xor_b32_e32 v5, s24, v5
	v_and_b32_e32 v25, v25, v28
	v_and_b32_e32 v28, v7, v5
	v_lshlrev_b32_e32 v5, 24, v6
	v_cmp_gt_i64_e64 s[24:25], 0, v[4:5]
	v_not_b32_e32 v5, v5
	v_ashrrev_i32_e32 v5, 31, v5
	v_xor_b32_e32 v6, s25, v5
	v_xor_b32_e32 v5, s24, v5
	; wave barrier
	ds_read_b32 v20, v22 offset:16
	v_and_b32_e32 v7, v25, v6
	v_and_b32_e32 v6, v28, v5
	v_mbcnt_lo_u32_b32 v5, v6, 0
	v_mbcnt_hi_u32_b32 v25, v7, v5
	v_cmp_eq_u32_e64 s[24:25], 0, v25
	v_cmp_ne_u64_e64 s[26:27], 0, v[6:7]
	s_and_b64 s[26:27], s[26:27], s[24:25]
	; wave barrier
	s_and_saveexec_b64 s[24:25], s[26:27]
	s_cbranch_execz .LBB191_31
; %bb.30:
	v_bcnt_u32_b32 v5, v6, 0
	v_bcnt_u32_b32 v5, v7, v5
	s_waitcnt lgkmcnt(0)
	v_add_u32_e32 v5, v20, v5
	ds_write_b32 v22, v5 offset:16
.LBB191_31:
	s_or_b64 exec, exec, s[24:25]
	v_cmp_gt_i16_e64 s[24:25], 0, v24
	v_cndmask_b32_e64 v5, v26, 0, s[24:25]
	v_xor_b32_e32 v24, v5, v24
	v_cmp_ne_u16_e64 s[24:25], s28, v24
	v_cndmask_b32_e64 v5, v26, v24, s[24:25]
	v_lshrrev_b32_sdwa v5, s68, v5 dst_sel:DWORD dst_unused:UNUSED_PAD src0_sel:DWORD src1_sel:WORD_0
	v_and_b32_e32 v6, s74, v5
	v_mul_u32_u24_e32 v5, 5, v6
	v_add_lshl_u32 v28, v23, v5, 2
	v_and_b32_e32 v5, 1, v6
	v_add_co_u32_e64 v7, s[24:25], -1, v5
	v_addc_co_u32_e64 v29, s[24:25], 0, -1, s[24:25]
	v_cmp_ne_u32_e64 s[24:25], 0, v5
	v_xor_b32_e32 v5, s25, v29
	v_and_b32_e32 v29, exec_hi, v5
	v_lshlrev_b32_e32 v5, 30, v6
	v_xor_b32_e32 v7, s24, v7
	v_cmp_gt_i64_e64 s[24:25], 0, v[4:5]
	v_not_b32_e32 v5, v5
	v_ashrrev_i32_e32 v5, 31, v5
	v_and_b32_e32 v7, exec_lo, v7
	v_xor_b32_e32 v31, s25, v5
	v_xor_b32_e32 v5, s24, v5
	v_and_b32_e32 v7, v7, v5
	v_lshlrev_b32_e32 v5, 29, v6
	v_cmp_gt_i64_e64 s[24:25], 0, v[4:5]
	v_not_b32_e32 v5, v5
	v_ashrrev_i32_e32 v5, 31, v5
	v_and_b32_e32 v29, v29, v31
	v_xor_b32_e32 v31, s25, v5
	v_xor_b32_e32 v5, s24, v5
	v_and_b32_e32 v7, v7, v5
	v_lshlrev_b32_e32 v5, 28, v6
	v_cmp_gt_i64_e64 s[24:25], 0, v[4:5]
	v_not_b32_e32 v5, v5
	v_ashrrev_i32_e32 v5, 31, v5
	v_and_b32_e32 v29, v29, v31
	;; [unrolled: 8-line block ×5, first 2 shown]
	v_xor_b32_e32 v31, s25, v5
	v_xor_b32_e32 v5, s24, v5
	v_and_b32_e32 v7, v7, v5
	v_lshlrev_b32_e32 v5, 24, v6
	v_cmp_gt_i64_e64 s[24:25], 0, v[4:5]
	v_not_b32_e32 v4, v5
	v_ashrrev_i32_e32 v4, 31, v4
	v_xor_b32_e32 v5, s25, v4
	v_xor_b32_e32 v4, s24, v4
	; wave barrier
	ds_read_b32 v26, v28 offset:16
	v_and_b32_e32 v29, v29, v31
	v_and_b32_e32 v4, v7, v4
	;; [unrolled: 1-line block ×3, first 2 shown]
	v_mbcnt_lo_u32_b32 v6, v4, 0
	v_mbcnt_hi_u32_b32 v29, v5, v6
	v_cmp_eq_u32_e64 s[24:25], 0, v29
	v_cmp_ne_u64_e64 s[26:27], 0, v[4:5]
	s_and_b64 s[26:27], s[26:27], s[24:25]
	; wave barrier
	s_and_saveexec_b64 s[24:25], s[26:27]
	s_cbranch_execz .LBB191_33
; %bb.32:
	v_bcnt_u32_b32 v4, v4, 0
	v_bcnt_u32_b32 v4, v5, v4
	s_waitcnt lgkmcnt(0)
	v_add_u32_e32 v4, v26, v4
	ds_write_b32 v28, v4 offset:16
.LBB191_33:
	s_or_b64 exec, exec, s[24:25]
	v_mov_b32_e32 v37, 0x7fff
	v_cmp_gt_i16_e64 s[24:25], 0, v30
	v_cndmask_b32_e64 v5, v37, 0, s[24:25]
	v_xor_b32_e32 v30, v5, v30
	v_cmp_ne_u16_e64 s[24:25], s28, v30
	v_cndmask_b32_e64 v5, v37, v30, s[24:25]
	v_lshrrev_b32_sdwa v5, s68, v5 dst_sel:DWORD dst_unused:UNUSED_PAD src0_sel:DWORD src1_sel:WORD_0
	v_and_b32_e32 v6, s74, v5
	v_mul_u32_u24_e32 v5, 5, v6
	v_add_lshl_u32 v33, v23, v5, 2
	v_and_b32_e32 v5, 1, v6
	v_add_co_u32_e64 v7, s[24:25], -1, v5
	v_addc_co_u32_e64 v34, s[24:25], 0, -1, s[24:25]
	v_cmp_ne_u32_e64 s[24:25], 0, v5
	v_xor_b32_e32 v5, s25, v34
	v_mov_b32_e32 v4, 0
	v_and_b32_e32 v34, exec_hi, v5
	v_lshlrev_b32_e32 v5, 30, v6
	v_xor_b32_e32 v7, s24, v7
	v_cmp_gt_i64_e64 s[24:25], 0, v[4:5]
	v_not_b32_e32 v5, v5
	v_ashrrev_i32_e32 v5, 31, v5
	v_and_b32_e32 v7, exec_lo, v7
	v_xor_b32_e32 v38, s25, v5
	v_xor_b32_e32 v5, s24, v5
	v_and_b32_e32 v7, v7, v5
	v_lshlrev_b32_e32 v5, 29, v6
	v_cmp_gt_i64_e64 s[24:25], 0, v[4:5]
	v_not_b32_e32 v5, v5
	v_ashrrev_i32_e32 v5, 31, v5
	v_and_b32_e32 v34, v34, v38
	v_xor_b32_e32 v38, s25, v5
	v_xor_b32_e32 v5, s24, v5
	v_and_b32_e32 v7, v7, v5
	v_lshlrev_b32_e32 v5, 28, v6
	v_cmp_gt_i64_e64 s[24:25], 0, v[4:5]
	v_not_b32_e32 v5, v5
	v_ashrrev_i32_e32 v5, 31, v5
	v_and_b32_e32 v34, v34, v38
	;; [unrolled: 8-line block ×5, first 2 shown]
	v_xor_b32_e32 v38, s25, v5
	v_xor_b32_e32 v5, s24, v5
	v_and_b32_e32 v34, v34, v38
	v_and_b32_e32 v38, v7, v5
	v_lshlrev_b32_e32 v5, 24, v6
	v_cmp_gt_i64_e64 s[24:25], 0, v[4:5]
	v_not_b32_e32 v5, v5
	v_ashrrev_i32_e32 v5, 31, v5
	v_xor_b32_e32 v6, s25, v5
	v_xor_b32_e32 v5, s24, v5
	; wave barrier
	ds_read_b32 v31, v33 offset:16
	v_and_b32_e32 v7, v34, v6
	v_and_b32_e32 v6, v38, v5
	v_mbcnt_lo_u32_b32 v5, v6, 0
	v_mbcnt_hi_u32_b32 v34, v7, v5
	v_cmp_eq_u32_e64 s[24:25], 0, v34
	v_cmp_ne_u64_e64 s[26:27], 0, v[6:7]
	s_and_b64 s[26:27], s[26:27], s[24:25]
	; wave barrier
	s_and_saveexec_b64 s[24:25], s[26:27]
	s_cbranch_execz .LBB191_35
; %bb.34:
	v_bcnt_u32_b32 v5, v6, 0
	v_bcnt_u32_b32 v5, v7, v5
	s_waitcnt lgkmcnt(0)
	v_add_u32_e32 v5, v31, v5
	ds_write_b32 v33, v5 offset:16
.LBB191_35:
	s_or_b64 exec, exec, s[24:25]
	v_cmp_gt_i16_e64 s[24:25], 0, v36
	v_cndmask_b32_e64 v5, v37, 0, s[24:25]
	v_xor_b32_e32 v46, v5, v36
	v_cmp_ne_u16_e64 s[24:25], s28, v46
	v_cndmask_b32_e64 v5, v37, v46, s[24:25]
	v_lshrrev_b32_sdwa v5, s68, v5 dst_sel:DWORD dst_unused:UNUSED_PAD src0_sel:DWORD src1_sel:WORD_0
	v_and_b32_e32 v6, s74, v5
	v_mul_u32_u24_e32 v5, 5, v6
	v_add_lshl_u32 v37, v23, v5, 2
	v_and_b32_e32 v5, 1, v6
	v_add_co_u32_e64 v7, s[24:25], -1, v5
	v_addc_co_u32_e64 v38, s[24:25], 0, -1, s[24:25]
	v_cmp_ne_u32_e64 s[24:25], 0, v5
	v_xor_b32_e32 v5, s25, v38
	v_and_b32_e32 v38, exec_hi, v5
	v_lshlrev_b32_e32 v5, 30, v6
	v_xor_b32_e32 v7, s24, v7
	v_cmp_gt_i64_e64 s[24:25], 0, v[4:5]
	v_not_b32_e32 v5, v5
	v_ashrrev_i32_e32 v5, 31, v5
	v_and_b32_e32 v7, exec_lo, v7
	v_xor_b32_e32 v40, s25, v5
	v_xor_b32_e32 v5, s24, v5
	v_and_b32_e32 v7, v7, v5
	v_lshlrev_b32_e32 v5, 29, v6
	v_cmp_gt_i64_e64 s[24:25], 0, v[4:5]
	v_not_b32_e32 v5, v5
	v_ashrrev_i32_e32 v5, 31, v5
	v_and_b32_e32 v38, v38, v40
	v_xor_b32_e32 v40, s25, v5
	v_xor_b32_e32 v5, s24, v5
	v_and_b32_e32 v7, v7, v5
	v_lshlrev_b32_e32 v5, 28, v6
	v_cmp_gt_i64_e64 s[24:25], 0, v[4:5]
	v_not_b32_e32 v5, v5
	v_ashrrev_i32_e32 v5, 31, v5
	v_and_b32_e32 v38, v38, v40
	;; [unrolled: 8-line block ×5, first 2 shown]
	v_xor_b32_e32 v40, s25, v5
	v_xor_b32_e32 v5, s24, v5
	v_and_b32_e32 v7, v7, v5
	v_lshlrev_b32_e32 v5, 24, v6
	v_cmp_gt_i64_e64 s[24:25], 0, v[4:5]
	v_not_b32_e32 v4, v5
	v_ashrrev_i32_e32 v4, 31, v4
	v_xor_b32_e32 v5, s25, v4
	v_xor_b32_e32 v4, s24, v4
	; wave barrier
	ds_read_b32 v36, v37 offset:16
	v_and_b32_e32 v38, v38, v40
	v_and_b32_e32 v4, v7, v4
	;; [unrolled: 1-line block ×3, first 2 shown]
	v_mbcnt_lo_u32_b32 v6, v4, 0
	v_mbcnt_hi_u32_b32 v38, v5, v6
	v_cmp_eq_u32_e64 s[24:25], 0, v38
	v_cmp_ne_u64_e64 s[26:27], 0, v[4:5]
	s_and_b64 s[26:27], s[26:27], s[24:25]
	; wave barrier
	s_and_saveexec_b64 s[24:25], s[26:27]
	s_cbranch_execz .LBB191_37
; %bb.36:
	v_bcnt_u32_b32 v4, v4, 0
	v_bcnt_u32_b32 v4, v5, v4
	s_waitcnt lgkmcnt(0)
	v_add_u32_e32 v4, v36, v4
	ds_write_b32 v37, v4 offset:16
.LBB191_37:
	s_or_b64 exec, exec, s[24:25]
	v_mov_b32_e32 v41, 0x7fff
	v_cmp_gt_i16_e64 s[24:25], 0, v39
	v_cndmask_b32_e64 v5, v41, 0, s[24:25]
	v_xor_b32_e32 v47, v5, v39
	v_cmp_ne_u16_e64 s[24:25], s28, v47
	v_cndmask_b32_e64 v5, v41, v47, s[24:25]
	v_lshrrev_b32_sdwa v5, s68, v5 dst_sel:DWORD dst_unused:UNUSED_PAD src0_sel:DWORD src1_sel:WORD_0
	v_and_b32_e32 v6, s74, v5
	v_mul_u32_u24_e32 v5, 5, v6
	v_add_lshl_u32 v40, v23, v5, 2
	v_and_b32_e32 v5, 1, v6
	v_add_co_u32_e64 v7, s[24:25], -1, v5
	v_addc_co_u32_e64 v42, s[24:25], 0, -1, s[24:25]
	v_cmp_ne_u32_e64 s[24:25], 0, v5
	v_xor_b32_e32 v5, s25, v42
	v_mov_b32_e32 v4, 0
	v_and_b32_e32 v42, exec_hi, v5
	v_lshlrev_b32_e32 v5, 30, v6
	v_xor_b32_e32 v7, s24, v7
	v_cmp_gt_i64_e64 s[24:25], 0, v[4:5]
	v_not_b32_e32 v5, v5
	v_ashrrev_i32_e32 v5, 31, v5
	v_and_b32_e32 v7, exec_lo, v7
	v_xor_b32_e32 v43, s25, v5
	v_xor_b32_e32 v5, s24, v5
	v_and_b32_e32 v7, v7, v5
	v_lshlrev_b32_e32 v5, 29, v6
	v_cmp_gt_i64_e64 s[24:25], 0, v[4:5]
	v_not_b32_e32 v5, v5
	v_ashrrev_i32_e32 v5, 31, v5
	v_and_b32_e32 v42, v42, v43
	v_xor_b32_e32 v43, s25, v5
	v_xor_b32_e32 v5, s24, v5
	v_and_b32_e32 v7, v7, v5
	v_lshlrev_b32_e32 v5, 28, v6
	v_cmp_gt_i64_e64 s[24:25], 0, v[4:5]
	v_not_b32_e32 v5, v5
	v_ashrrev_i32_e32 v5, 31, v5
	v_and_b32_e32 v42, v42, v43
	;; [unrolled: 8-line block ×5, first 2 shown]
	v_xor_b32_e32 v43, s25, v5
	v_xor_b32_e32 v5, s24, v5
	v_and_b32_e32 v42, v42, v43
	v_and_b32_e32 v43, v7, v5
	v_lshlrev_b32_e32 v5, 24, v6
	v_cmp_gt_i64_e64 s[24:25], 0, v[4:5]
	v_not_b32_e32 v5, v5
	v_ashrrev_i32_e32 v5, 31, v5
	v_xor_b32_e32 v6, s25, v5
	v_xor_b32_e32 v5, s24, v5
	; wave barrier
	ds_read_b32 v39, v40 offset:16
	v_and_b32_e32 v7, v42, v6
	v_and_b32_e32 v6, v43, v5
	v_mbcnt_lo_u32_b32 v5, v6, 0
	v_mbcnt_hi_u32_b32 v49, v7, v5
	v_cmp_eq_u32_e64 s[24:25], 0, v49
	v_cmp_ne_u64_e64 s[26:27], 0, v[6:7]
	s_and_b64 s[26:27], s[26:27], s[24:25]
	; wave barrier
	s_and_saveexec_b64 s[24:25], s[26:27]
	s_cbranch_execz .LBB191_39
; %bb.38:
	v_bcnt_u32_b32 v5, v6, 0
	v_bcnt_u32_b32 v5, v7, v5
	s_waitcnt lgkmcnt(0)
	v_add_u32_e32 v5, v39, v5
	ds_write_b32 v40, v5 offset:16
.LBB191_39:
	s_or_b64 exec, exec, s[24:25]
	v_cmp_gt_i16_e64 s[24:25], 0, v35
	v_cndmask_b32_e64 v5, v41, 0, s[24:25]
	v_xor_b32_e32 v48, v5, v35
	v_cmp_ne_u16_e64 s[24:25], s28, v48
	v_cndmask_b32_e64 v5, v41, v48, s[24:25]
	v_lshrrev_b32_sdwa v5, s68, v5 dst_sel:DWORD dst_unused:UNUSED_PAD src0_sel:DWORD src1_sel:WORD_0
	v_and_b32_e32 v6, s74, v5
	v_mul_u32_u24_e32 v5, 5, v6
	v_add_lshl_u32 v41, v23, v5, 2
	v_and_b32_e32 v5, 1, v6
	v_add_co_u32_e64 v7, s[24:25], -1, v5
	v_addc_co_u32_e64 v42, s[24:25], 0, -1, s[24:25]
	v_cmp_ne_u32_e64 s[24:25], 0, v5
	v_xor_b32_e32 v5, s25, v42
	v_and_b32_e32 v42, exec_hi, v5
	v_lshlrev_b32_e32 v5, 30, v6
	v_xor_b32_e32 v7, s24, v7
	v_cmp_gt_i64_e64 s[24:25], 0, v[4:5]
	v_not_b32_e32 v5, v5
	v_ashrrev_i32_e32 v5, 31, v5
	v_and_b32_e32 v7, exec_lo, v7
	v_xor_b32_e32 v43, s25, v5
	v_xor_b32_e32 v5, s24, v5
	v_and_b32_e32 v7, v7, v5
	v_lshlrev_b32_e32 v5, 29, v6
	v_cmp_gt_i64_e64 s[24:25], 0, v[4:5]
	v_not_b32_e32 v5, v5
	v_ashrrev_i32_e32 v5, 31, v5
	v_and_b32_e32 v42, v42, v43
	v_xor_b32_e32 v43, s25, v5
	v_xor_b32_e32 v5, s24, v5
	v_and_b32_e32 v7, v7, v5
	v_lshlrev_b32_e32 v5, 28, v6
	v_cmp_gt_i64_e64 s[24:25], 0, v[4:5]
	v_not_b32_e32 v5, v5
	v_ashrrev_i32_e32 v5, 31, v5
	v_and_b32_e32 v42, v42, v43
	;; [unrolled: 8-line block ×5, first 2 shown]
	v_xor_b32_e32 v43, s25, v5
	v_xor_b32_e32 v5, s24, v5
	v_and_b32_e32 v7, v7, v5
	v_lshlrev_b32_e32 v5, 24, v6
	v_cmp_gt_i64_e64 s[24:25], 0, v[4:5]
	v_not_b32_e32 v4, v5
	v_ashrrev_i32_e32 v4, 31, v4
	v_xor_b32_e32 v5, s25, v4
	v_xor_b32_e32 v4, s24, v4
	; wave barrier
	ds_read_b32 v35, v41 offset:16
	v_and_b32_e32 v42, v42, v43
	v_and_b32_e32 v4, v7, v4
	;; [unrolled: 1-line block ×3, first 2 shown]
	v_mbcnt_lo_u32_b32 v6, v4, 0
	v_mbcnt_hi_u32_b32 v50, v5, v6
	v_cmp_eq_u32_e64 s[24:25], 0, v50
	v_cmp_ne_u64_e64 s[26:27], 0, v[4:5]
	s_and_b64 s[26:27], s[26:27], s[24:25]
	; wave barrier
	s_and_saveexec_b64 s[24:25], s[26:27]
	s_cbranch_execz .LBB191_41
; %bb.40:
	v_bcnt_u32_b32 v4, v4, 0
	v_bcnt_u32_b32 v4, v5, v4
	s_waitcnt lgkmcnt(0)
	v_add_u32_e32 v4, v35, v4
	ds_write_b32 v41, v4 offset:16
.LBB191_41:
	s_or_b64 exec, exec, s[24:25]
	v_mov_b32_e32 v43, 0x7fff
	v_cmp_gt_i16_e64 s[24:25], 0, v32
	v_cndmask_b32_e64 v5, v43, 0, s[24:25]
	v_xor_b32_e32 v32, v5, v32
	v_cmp_ne_u16_e64 s[24:25], s28, v32
	v_cndmask_b32_e64 v5, v43, v32, s[24:25]
	v_lshrrev_b32_sdwa v5, s68, v5 dst_sel:DWORD dst_unused:UNUSED_PAD src0_sel:DWORD src1_sel:WORD_0
	v_and_b32_e32 v6, s74, v5
	v_mul_u32_u24_e32 v5, 5, v6
	v_add_lshl_u32 v42, v23, v5, 2
	v_and_b32_e32 v5, 1, v6
	v_add_co_u32_e64 v7, s[24:25], -1, v5
	v_addc_co_u32_e64 v44, s[24:25], 0, -1, s[24:25]
	v_cmp_ne_u32_e64 s[24:25], 0, v5
	v_xor_b32_e32 v5, s25, v44
	v_mov_b32_e32 v4, 0
	v_and_b32_e32 v44, exec_hi, v5
	v_lshlrev_b32_e32 v5, 30, v6
	v_xor_b32_e32 v7, s24, v7
	v_cmp_gt_i64_e64 s[24:25], 0, v[4:5]
	v_not_b32_e32 v5, v5
	v_ashrrev_i32_e32 v5, 31, v5
	v_and_b32_e32 v7, exec_lo, v7
	v_xor_b32_e32 v45, s25, v5
	v_xor_b32_e32 v5, s24, v5
	v_and_b32_e32 v7, v7, v5
	v_lshlrev_b32_e32 v5, 29, v6
	v_cmp_gt_i64_e64 s[24:25], 0, v[4:5]
	v_not_b32_e32 v5, v5
	v_ashrrev_i32_e32 v5, 31, v5
	v_and_b32_e32 v44, v44, v45
	v_xor_b32_e32 v45, s25, v5
	v_xor_b32_e32 v5, s24, v5
	v_and_b32_e32 v7, v7, v5
	v_lshlrev_b32_e32 v5, 28, v6
	v_cmp_gt_i64_e64 s[24:25], 0, v[4:5]
	v_not_b32_e32 v5, v5
	v_ashrrev_i32_e32 v5, 31, v5
	v_and_b32_e32 v44, v44, v45
	;; [unrolled: 8-line block ×5, first 2 shown]
	v_xor_b32_e32 v45, s25, v5
	v_xor_b32_e32 v5, s24, v5
	v_and_b32_e32 v44, v44, v45
	v_and_b32_e32 v45, v7, v5
	v_lshlrev_b32_e32 v5, 24, v6
	v_cmp_gt_i64_e64 s[24:25], 0, v[4:5]
	v_not_b32_e32 v5, v5
	v_ashrrev_i32_e32 v5, 31, v5
	v_xor_b32_e32 v6, s25, v5
	v_xor_b32_e32 v5, s24, v5
	; wave barrier
	ds_read_b32 v51, v42 offset:16
	v_and_b32_e32 v7, v44, v6
	v_and_b32_e32 v6, v45, v5
	v_mbcnt_lo_u32_b32 v5, v6, 0
	v_mbcnt_hi_u32_b32 v52, v7, v5
	v_cmp_eq_u32_e64 s[24:25], 0, v52
	v_cmp_ne_u64_e64 s[26:27], 0, v[6:7]
	s_and_b64 s[26:27], s[26:27], s[24:25]
	; wave barrier
	s_and_saveexec_b64 s[24:25], s[26:27]
	s_cbranch_execz .LBB191_43
; %bb.42:
	v_bcnt_u32_b32 v5, v6, 0
	v_bcnt_u32_b32 v5, v7, v5
	s_waitcnt lgkmcnt(0)
	v_add_u32_e32 v5, v51, v5
	ds_write_b32 v42, v5 offset:16
.LBB191_43:
	s_or_b64 exec, exec, s[24:25]
	v_cmp_gt_i16_e64 s[24:25], 0, v27
	v_cndmask_b32_e64 v5, v43, 0, s[24:25]
	v_xor_b32_e32 v27, v5, v27
	v_cmp_ne_u16_e64 s[24:25], s28, v27
	v_cndmask_b32_e64 v5, v43, v27, s[24:25]
	v_lshrrev_b32_sdwa v5, s68, v5 dst_sel:DWORD dst_unused:UNUSED_PAD src0_sel:DWORD src1_sel:WORD_0
	v_and_b32_e32 v6, s74, v5
	v_mul_u32_u24_e32 v5, 5, v6
	v_add_lshl_u32 v43, v23, v5, 2
	v_and_b32_e32 v5, 1, v6
	v_add_co_u32_e64 v7, s[24:25], -1, v5
	v_addc_co_u32_e64 v44, s[24:25], 0, -1, s[24:25]
	v_cmp_ne_u32_e64 s[24:25], 0, v5
	v_xor_b32_e32 v5, s25, v44
	v_and_b32_e32 v44, exec_hi, v5
	v_lshlrev_b32_e32 v5, 30, v6
	v_xor_b32_e32 v7, s24, v7
	v_cmp_gt_i64_e64 s[24:25], 0, v[4:5]
	v_not_b32_e32 v5, v5
	v_ashrrev_i32_e32 v5, 31, v5
	v_and_b32_e32 v7, exec_lo, v7
	v_xor_b32_e32 v45, s25, v5
	v_xor_b32_e32 v5, s24, v5
	v_and_b32_e32 v7, v7, v5
	v_lshlrev_b32_e32 v5, 29, v6
	v_cmp_gt_i64_e64 s[24:25], 0, v[4:5]
	v_not_b32_e32 v5, v5
	v_ashrrev_i32_e32 v5, 31, v5
	v_and_b32_e32 v44, v44, v45
	v_xor_b32_e32 v45, s25, v5
	v_xor_b32_e32 v5, s24, v5
	v_and_b32_e32 v7, v7, v5
	v_lshlrev_b32_e32 v5, 28, v6
	v_cmp_gt_i64_e64 s[24:25], 0, v[4:5]
	v_not_b32_e32 v5, v5
	v_ashrrev_i32_e32 v5, 31, v5
	v_and_b32_e32 v44, v44, v45
	;; [unrolled: 8-line block ×5, first 2 shown]
	v_xor_b32_e32 v45, s25, v5
	v_xor_b32_e32 v5, s24, v5
	v_and_b32_e32 v7, v7, v5
	v_lshlrev_b32_e32 v5, 24, v6
	v_cmp_gt_i64_e64 s[24:25], 0, v[4:5]
	v_not_b32_e32 v4, v5
	v_ashrrev_i32_e32 v4, 31, v4
	v_xor_b32_e32 v5, s25, v4
	v_xor_b32_e32 v4, s24, v4
	; wave barrier
	ds_read_b32 v53, v43 offset:16
	v_and_b32_e32 v44, v44, v45
	v_and_b32_e32 v4, v7, v4
	;; [unrolled: 1-line block ×3, first 2 shown]
	v_mbcnt_lo_u32_b32 v6, v4, 0
	v_mbcnt_hi_u32_b32 v54, v5, v6
	v_cmp_eq_u32_e64 s[24:25], 0, v54
	v_cmp_ne_u64_e64 s[26:27], 0, v[4:5]
	s_and_b64 s[26:27], s[26:27], s[24:25]
	; wave barrier
	s_and_saveexec_b64 s[24:25], s[26:27]
	s_cbranch_execz .LBB191_45
; %bb.44:
	v_bcnt_u32_b32 v4, v4, 0
	v_bcnt_u32_b32 v4, v5, v4
	s_waitcnt lgkmcnt(0)
	v_add_u32_e32 v4, v53, v4
	ds_write_b32 v43, v4 offset:16
.LBB191_45:
	s_or_b64 exec, exec, s[24:25]
	v_mov_b32_e32 v45, 0x7fff
	v_cmp_gt_i16_e64 s[24:25], 0, v21
	v_cndmask_b32_e64 v5, v45, 0, s[24:25]
	v_xor_b32_e32 v21, v5, v21
	v_cmp_ne_u16_e64 s[24:25], s28, v21
	v_cndmask_b32_e64 v5, v45, v21, s[24:25]
	v_lshrrev_b32_sdwa v5, s68, v5 dst_sel:DWORD dst_unused:UNUSED_PAD src0_sel:DWORD src1_sel:WORD_0
	v_and_b32_e32 v6, s74, v5
	v_mul_u32_u24_e32 v5, 5, v6
	v_add_lshl_u32 v44, v23, v5, 2
	v_and_b32_e32 v5, 1, v6
	v_add_co_u32_e64 v7, s[24:25], -1, v5
	v_addc_co_u32_e64 v56, s[24:25], 0, -1, s[24:25]
	v_cmp_ne_u32_e64 s[24:25], 0, v5
	v_xor_b32_e32 v5, s25, v56
	v_mov_b32_e32 v4, 0
	v_and_b32_e32 v56, exec_hi, v5
	v_lshlrev_b32_e32 v5, 30, v6
	v_xor_b32_e32 v7, s24, v7
	v_cmp_gt_i64_e64 s[24:25], 0, v[4:5]
	v_not_b32_e32 v5, v5
	v_ashrrev_i32_e32 v5, 31, v5
	v_and_b32_e32 v7, exec_lo, v7
	v_xor_b32_e32 v57, s25, v5
	v_xor_b32_e32 v5, s24, v5
	v_and_b32_e32 v7, v7, v5
	v_lshlrev_b32_e32 v5, 29, v6
	v_cmp_gt_i64_e64 s[24:25], 0, v[4:5]
	v_not_b32_e32 v5, v5
	v_ashrrev_i32_e32 v5, 31, v5
	v_and_b32_e32 v56, v56, v57
	v_xor_b32_e32 v57, s25, v5
	v_xor_b32_e32 v5, s24, v5
	v_and_b32_e32 v7, v7, v5
	v_lshlrev_b32_e32 v5, 28, v6
	v_cmp_gt_i64_e64 s[24:25], 0, v[4:5]
	v_not_b32_e32 v5, v5
	v_ashrrev_i32_e32 v5, 31, v5
	v_and_b32_e32 v56, v56, v57
	v_xor_b32_e32 v57, s25, v5
	v_xor_b32_e32 v5, s24, v5
	v_and_b32_e32 v7, v7, v5
	v_lshlrev_b32_e32 v5, 27, v6
	v_cmp_gt_i64_e64 s[24:25], 0, v[4:5]
	v_not_b32_e32 v5, v5
	v_ashrrev_i32_e32 v5, 31, v5
	v_and_b32_e32 v56, v56, v57
	v_xor_b32_e32 v57, s25, v5
	v_xor_b32_e32 v5, s24, v5
	v_and_b32_e32 v7, v7, v5
	v_lshlrev_b32_e32 v5, 26, v6
	v_cmp_gt_i64_e64 s[24:25], 0, v[4:5]
	v_not_b32_e32 v5, v5
	v_ashrrev_i32_e32 v5, 31, v5
	v_and_b32_e32 v56, v56, v57
	v_xor_b32_e32 v57, s25, v5
	v_xor_b32_e32 v5, s24, v5
	v_and_b32_e32 v7, v7, v5
	v_lshlrev_b32_e32 v5, 25, v6
	v_cmp_gt_i64_e64 s[24:25], 0, v[4:5]
	v_not_b32_e32 v5, v5
	v_ashrrev_i32_e32 v5, 31, v5
	v_and_b32_e32 v56, v56, v57
	v_xor_b32_e32 v57, s25, v5
	v_xor_b32_e32 v5, s24, v5
	v_and_b32_e32 v56, v56, v57
	v_and_b32_e32 v57, v7, v5
	v_lshlrev_b32_e32 v5, 24, v6
	v_cmp_gt_i64_e64 s[24:25], 0, v[4:5]
	v_not_b32_e32 v5, v5
	v_ashrrev_i32_e32 v5, 31, v5
	v_xor_b32_e32 v6, s25, v5
	v_xor_b32_e32 v5, s24, v5
	; wave barrier
	ds_read_b32 v55, v44 offset:16
	v_and_b32_e32 v7, v56, v6
	v_and_b32_e32 v6, v57, v5
	v_mbcnt_lo_u32_b32 v5, v6, 0
	v_mbcnt_hi_u32_b32 v56, v7, v5
	v_cmp_eq_u32_e64 s[24:25], 0, v56
	v_cmp_ne_u64_e64 s[26:27], 0, v[6:7]
	s_and_b64 s[26:27], s[26:27], s[24:25]
	; wave barrier
	s_and_saveexec_b64 s[24:25], s[26:27]
	s_cbranch_execz .LBB191_47
; %bb.46:
	v_bcnt_u32_b32 v5, v6, 0
	v_bcnt_u32_b32 v5, v7, v5
	s_waitcnt lgkmcnt(0)
	v_add_u32_e32 v5, v55, v5
	ds_write_b32 v44, v5 offset:16
.LBB191_47:
	s_or_b64 exec, exec, s[24:25]
	v_cmp_gt_i16_e64 s[24:25], 0, v16
	v_cndmask_b32_e64 v5, v45, 0, s[24:25]
	v_xor_b32_e32 v16, v5, v16
	v_cmp_ne_u16_e64 s[24:25], s28, v16
	v_cndmask_b32_e64 v5, v45, v16, s[24:25]
	v_lshrrev_b32_sdwa v5, s68, v5 dst_sel:DWORD dst_unused:UNUSED_PAD src0_sel:DWORD src1_sel:WORD_0
	v_and_b32_e32 v6, s74, v5
	v_mul_u32_u24_e32 v5, 5, v6
	v_add_lshl_u32 v45, v5, v23, 2
	v_and_b32_e32 v5, 1, v6
	v_add_co_u32_e64 v7, s[24:25], -1, v5
	v_addc_co_u32_e64 v58, s[24:25], 0, -1, s[24:25]
	v_cmp_ne_u32_e64 s[24:25], 0, v5
	v_xor_b32_e32 v5, s25, v58
	v_and_b32_e32 v58, exec_hi, v5
	v_lshlrev_b32_e32 v5, 30, v6
	v_xor_b32_e32 v7, s24, v7
	v_cmp_gt_i64_e64 s[24:25], 0, v[4:5]
	v_not_b32_e32 v5, v5
	v_ashrrev_i32_e32 v5, 31, v5
	v_and_b32_e32 v7, exec_lo, v7
	v_xor_b32_e32 v59, s25, v5
	v_xor_b32_e32 v5, s24, v5
	v_and_b32_e32 v7, v7, v5
	v_lshlrev_b32_e32 v5, 29, v6
	v_cmp_gt_i64_e64 s[24:25], 0, v[4:5]
	v_not_b32_e32 v5, v5
	v_ashrrev_i32_e32 v5, 31, v5
	v_and_b32_e32 v58, v58, v59
	v_xor_b32_e32 v59, s25, v5
	v_xor_b32_e32 v5, s24, v5
	v_and_b32_e32 v7, v7, v5
	v_lshlrev_b32_e32 v5, 28, v6
	v_cmp_gt_i64_e64 s[24:25], 0, v[4:5]
	v_not_b32_e32 v5, v5
	v_ashrrev_i32_e32 v5, 31, v5
	v_and_b32_e32 v58, v58, v59
	;; [unrolled: 8-line block ×5, first 2 shown]
	v_xor_b32_e32 v59, s25, v5
	v_xor_b32_e32 v5, s24, v5
	v_and_b32_e32 v7, v7, v5
	v_lshlrev_b32_e32 v5, 24, v6
	v_cmp_gt_i64_e64 s[24:25], 0, v[4:5]
	v_not_b32_e32 v4, v5
	v_ashrrev_i32_e32 v4, 31, v4
	v_xor_b32_e32 v5, s25, v4
	v_xor_b32_e32 v4, s24, v4
	; wave barrier
	ds_read_b32 v23, v45 offset:16
	v_and_b32_e32 v58, v58, v59
	v_and_b32_e32 v4, v7, v4
	;; [unrolled: 1-line block ×3, first 2 shown]
	v_mbcnt_lo_u32_b32 v6, v4, 0
	v_mbcnt_hi_u32_b32 v58, v5, v6
	v_cmp_eq_u32_e64 s[24:25], 0, v58
	v_cmp_ne_u64_e64 s[26:27], 0, v[4:5]
	v_add_u32_e32 v57, 16, v9
	s_and_b64 s[26:27], s[26:27], s[24:25]
	; wave barrier
	s_and_saveexec_b64 s[24:25], s[26:27]
	s_cbranch_execz .LBB191_49
; %bb.48:
	v_bcnt_u32_b32 v4, v4, 0
	v_bcnt_u32_b32 v4, v5, v4
	s_waitcnt lgkmcnt(0)
	v_add_u32_e32 v4, v23, v4
	ds_write_b32 v45, v4 offset:16
.LBB191_49:
	s_or_b64 exec, exec, s[24:25]
	; wave barrier
	s_waitcnt lgkmcnt(0)
	s_barrier
	ds_read2_b32 v[6:7], v9 offset0:4 offset1:5
	ds_read2_b32 v[4:5], v57 offset0:2 offset1:3
	ds_read_b32 v59, v57 offset:16
	v_min_u32_e32 v3, 0xc0, v3
	v_or_b32_e32 v3, 63, v3
	s_waitcnt lgkmcnt(1)
	v_add3_u32 v60, v7, v6, v4
	s_waitcnt lgkmcnt(0)
	v_add3_u32 v59, v60, v5, v59
	v_and_b32_e32 v60, 15, v13
	v_cmp_ne_u32_e64 s[24:25], 0, v60
	v_mov_b32_dpp v61, v59 row_shr:1 row_mask:0xf bank_mask:0xf
	v_cndmask_b32_e64 v61, 0, v61, s[24:25]
	v_add_u32_e32 v59, v61, v59
	v_cmp_lt_u32_e64 s[24:25], 1, v60
	s_nop 0
	v_mov_b32_dpp v61, v59 row_shr:2 row_mask:0xf bank_mask:0xf
	v_cndmask_b32_e64 v61, 0, v61, s[24:25]
	v_add_u32_e32 v59, v59, v61
	v_cmp_lt_u32_e64 s[24:25], 3, v60
	s_nop 0
	;; [unrolled: 5-line block ×3, first 2 shown]
	v_mov_b32_dpp v61, v59 row_shr:8 row_mask:0xf bank_mask:0xf
	v_cndmask_b32_e64 v60, 0, v61, s[24:25]
	v_add_u32_e32 v59, v59, v60
	v_bfe_i32 v61, v13, 4, 1
	v_cmp_lt_u32_e64 s[24:25], 31, v13
	v_mov_b32_dpp v60, v59 row_bcast:15 row_mask:0xf bank_mask:0xf
	v_and_b32_e32 v60, v61, v60
	v_add_u32_e32 v59, v59, v60
	s_nop 1
	v_mov_b32_dpp v60, v59 row_bcast:31 row_mask:0xf bank_mask:0xf
	v_cndmask_b32_e64 v60, 0, v60, s[24:25]
	v_add_u32_e32 v59, v59, v60
	v_lshrrev_b32_e32 v60, 6, v2
	v_cmp_eq_u32_e64 s[24:25], v3, v2
	s_and_saveexec_b64 s[26:27], s[24:25]
	s_cbranch_execz .LBB191_51
; %bb.50:
	v_lshlrev_b32_e32 v3, 2, v60
	ds_write_b32 v3, v59
.LBB191_51:
	s_or_b64 exec, exec, s[26:27]
	v_cmp_gt_u32_e64 s[24:25], 4, v2
	s_waitcnt lgkmcnt(0)
	s_barrier
	s_and_saveexec_b64 s[26:27], s[24:25]
	s_cbranch_execz .LBB191_53
; %bb.52:
	v_lshlrev_b32_e32 v3, 2, v2
	ds_read_b32 v61, v3
	v_and_b32_e32 v62, 3, v13
	v_cmp_ne_u32_e64 s[24:25], 0, v62
	s_waitcnt lgkmcnt(0)
	v_mov_b32_dpp v63, v61 row_shr:1 row_mask:0xf bank_mask:0xf
	v_cndmask_b32_e64 v63, 0, v63, s[24:25]
	v_add_u32_e32 v61, v63, v61
	v_cmp_lt_u32_e64 s[24:25], 1, v62
	s_nop 0
	v_mov_b32_dpp v63, v61 row_shr:2 row_mask:0xf bank_mask:0xf
	v_cndmask_b32_e64 v62, 0, v63, s[24:25]
	v_add_u32_e32 v61, v61, v62
	ds_write_b32 v3, v61
.LBB191_53:
	s_or_b64 exec, exec, s[26:27]
	v_cmp_lt_u32_e64 s[24:25], 63, v2
	v_mov_b32_e32 v3, 0
	s_waitcnt lgkmcnt(0)
	s_barrier
	s_and_saveexec_b64 s[26:27], s[24:25]
	s_cbranch_execz .LBB191_55
; %bb.54:
	v_lshl_add_u32 v3, v60, 2, -4
	ds_read_b32 v3, v3
.LBB191_55:
	s_or_b64 exec, exec, s[26:27]
	v_add_u32_e32 v60, -1, v13
	v_and_b32_e32 v61, 64, v13
	v_cmp_lt_i32_e64 s[24:25], v60, v61
	v_cndmask_b32_e64 v60, v60, v13, s[24:25]
	s_waitcnt lgkmcnt(0)
	v_add_u32_e32 v59, v3, v59
	v_lshlrev_b32_e32 v60, 2, v60
	ds_bpermute_b32 v59, v60, v59
	v_cmp_eq_u32_e64 s[24:25], 0, v13
	s_waitcnt lgkmcnt(0)
	v_cndmask_b32_e64 v3, v59, v3, s[24:25]
	v_cmp_ne_u32_e64 s[24:25], 0, v2
	v_cndmask_b32_e64 v3, 0, v3, s[24:25]
	v_add_u32_e32 v6, v3, v6
	v_add_u32_e32 v7, v6, v7
	;; [unrolled: 1-line block ×4, first 2 shown]
	ds_write2_b32 v9, v3, v6 offset0:4 offset1:5
	ds_write2_b32 v57, v7, v4 offset0:2 offset1:3
	ds_write_b32 v57, v5 offset:16
	s_waitcnt lgkmcnt(0)
	s_barrier
	ds_read_b32 v5, v17 offset:16
	ds_read_b32 v6, v22 offset:16
	;; [unrolled: 1-line block ×13, first 2 shown]
	v_add_u32_e32 v9, 1, v2
	s_movk_i32 s24, 0x100
	v_cmp_ne_u32_e64 s[24:25], s24, v9
	v_mov_b32_e32 v3, 0xc00
	s_and_saveexec_b64 s[26:27], s[24:25]
	s_cbranch_execz .LBB191_57
; %bb.56:
	v_mul_u32_u24_e32 v3, 5, v9
	v_lshlrev_b32_e32 v3, 2, v3
	ds_read_b32 v3, v3 offset:16
.LBB191_57:
	s_or_b64 exec, exec, s[26:27]
	s_waitcnt lgkmcnt(1)
	v_add_u32_e32 v45, v11, v14
	v_add3_u32 v44, v18, v15, v5
	v_lshlrev_b32_e32 v5, 1, v45
	v_add3_u32 v43, v25, v20, v6
	s_waitcnt lgkmcnt(0)
	s_barrier
	ds_write_b16 v5, v8 offset:2048
	v_lshlrev_b32_e32 v5, 1, v44
	v_add3_u32 v42, v29, v26, v7
	ds_write_b16 v5, v10 offset:2048
	v_lshlrev_b32_e32 v5, 1, v43
	v_add3_u32 v41, v34, v31, v17
	ds_write_b16 v5, v19 offset:2048
	v_lshlrev_b32_e32 v5, 1, v42
	v_add3_u32 v40, v38, v36, v22
	ds_write_b16 v5, v24 offset:2048
	v_lshlrev_b32_e32 v5, 1, v41
	v_add3_u32 v39, v49, v39, v28
	ds_write_b16 v5, v30 offset:2048
	v_lshlrev_b32_e32 v5, 1, v40
	v_add3_u32 v38, v50, v35, v33
	ds_write_b16 v5, v46 offset:2048
	v_lshlrev_b32_e32 v5, 1, v39
	v_add3_u32 v37, v52, v51, v37
	ds_write_b16 v5, v47 offset:2048
	v_lshlrev_b32_e32 v5, 1, v38
	v_add3_u32 v36, v54, v53, v57
	ds_write_b16 v5, v48 offset:2048
	v_lshlrev_b32_e32 v5, 1, v37
	v_add3_u32 v35, v56, v55, v59
	ds_write_b16 v5, v32 offset:2048
	v_lshlrev_b32_e32 v5, 1, v36
	v_lshl_add_u32 v6, s6, 8, v2
	v_mov_b32_e32 v7, 0
	v_add3_u32 v34, v58, v23, v60
	ds_write_b16 v5, v27 offset:2048
	v_lshlrev_b32_e32 v5, 1, v35
	v_lshlrev_b64 v[8:9], 2, v[6:7]
	ds_write_b16 v5, v21 offset:2048
	v_lshlrev_b32_e32 v5, 1, v34
	v_sub_u32_e32 v32, v3, v4
	v_mov_b32_e32 v3, s73
	v_add_co_u32_e64 v8, s[24:25], s72, v8
	ds_write_b16 v5, v16 offset:2048
	v_addc_co_u32_e64 v9, s[24:25], v3, v9, s[24:25]
	v_or_b32_e32 v5, 2.0, v32
	s_waitcnt lgkmcnt(0)
	s_barrier
	global_store_dword v[8:9], v5, off
	s_mov_b64 s[26:27], 0
	s_brev_b32 s34, 1
	s_mov_b32 s35, s7
	v_mov_b32_e32 v5, 0
                                        ; implicit-def: $sgpr24_sgpr25
	s_branch .LBB191_59
.LBB191_58:                             ;   in Loop: Header=BB191_59 Depth=1
	s_or_b64 exec, exec, s[28:29]
	v_and_b32_e32 v10, 0x3fffffff, v14
	v_add_u32_e32 v5, v10, v5
	v_cmp_eq_u32_e64 s[24:25], s34, v6
	s_and_b64 s[28:29], exec, s[24:25]
	s_or_b64 s[26:27], s[28:29], s[26:27]
	s_andn2_b64 exec, exec, s[26:27]
	s_cbranch_execz .LBB191_65
.LBB191_59:                             ; =>This Loop Header: Depth=1
                                        ;     Child Loop BB191_62 Depth 2
	s_or_b64 s[24:25], s[24:25], exec
	s_cmp_eq_u32 s35, 0
	s_cbranch_scc1 .LBB191_64
; %bb.60:                               ;   in Loop: Header=BB191_59 Depth=1
	s_add_i32 s35, s35, -1
	v_lshl_add_u32 v6, s35, 8, v2
	v_lshlrev_b64 v[10:11], 2, v[6:7]
	v_add_co_u32_e64 v10, s[24:25], s72, v10
	v_addc_co_u32_e64 v11, s[24:25], v3, v11, s[24:25]
	global_load_dword v14, v[10:11], off glc
	s_waitcnt vmcnt(0)
	v_and_b32_e32 v6, -2.0, v14
	v_cmp_eq_u32_e64 s[24:25], 0, v6
	s_and_saveexec_b64 s[28:29], s[24:25]
	s_cbranch_execz .LBB191_58
; %bb.61:                               ;   in Loop: Header=BB191_59 Depth=1
	s_mov_b64 s[30:31], 0
.LBB191_62:                             ;   Parent Loop BB191_59 Depth=1
                                        ; =>  This Inner Loop Header: Depth=2
	global_load_dword v14, v[10:11], off glc
	s_waitcnt vmcnt(0)
	v_and_b32_e32 v6, -2.0, v14
	v_cmp_ne_u32_e64 s[24:25], 0, v6
	s_or_b64 s[30:31], s[24:25], s[30:31]
	s_andn2_b64 exec, exec, s[30:31]
	s_cbranch_execnz .LBB191_62
; %bb.63:                               ;   in Loop: Header=BB191_59 Depth=1
	s_or_b64 exec, exec, s[30:31]
	s_branch .LBB191_58
.LBB191_64:                             ;   in Loop: Header=BB191_59 Depth=1
                                        ; implicit-def: $sgpr35
	s_and_b64 s[28:29], exec, s[24:25]
	s_or_b64 s[26:27], s[28:29], s[26:27]
	s_andn2_b64 exec, exec, s[26:27]
	s_cbranch_execnz .LBB191_59
.LBB191_65:
	s_or_b64 exec, exec, s[26:27]
	v_add_u32_e32 v3, v5, v32
	v_or_b32_e32 v3, 0x80000000, v3
	global_store_dword v[8:9], v3, off
	v_lshlrev_b32_e32 v33, 3, v2
	global_load_dwordx2 v[6:7], v33, s[64:65]
	v_sub_co_u32_e64 v8, s[24:25], v5, v4
	v_subb_co_u32_e64 v9, s[24:25], 0, 0, s[24:25]
	v_mov_b32_e32 v3, 0
	v_mov_b32_e32 v5, v3
	s_waitcnt vmcnt(0)
	v_add_co_u32_e64 v6, s[24:25], v8, v6
	v_addc_co_u32_e64 v7, s[24:25], v9, v7, s[24:25]
	v_cmp_gt_u32_e64 s[24:25], s70, v2
	ds_write_b64 v33, v[6:7]
	s_waitcnt lgkmcnt(0)
	s_barrier
	s_and_saveexec_b64 s[28:29], s[24:25]
	s_cbranch_execz .LBB191_67
; %bb.66:
	v_mad_i32_i24 v6, v2, -6, v33
	ds_read_u16 v8, v6 offset:2048
	s_movk_i32 s26, 0x8000
	v_mov_b32_e32 v9, 0x7fff
	v_mov_b32_e32 v10, s59
	s_waitcnt lgkmcnt(0)
	v_cmp_ne_u16_e64 s[26:27], s26, v8
	v_cndmask_b32_e64 v6, v9, v8, s[26:27]
	v_lshrrev_b32_sdwa v6, s68, v6 dst_sel:DWORD dst_unused:UNUSED_PAD src0_sel:DWORD src1_sel:WORD_0
	v_and_b32_e32 v6, s74, v6
	v_lshlrev_b32_e32 v6, 3, v6
	ds_read_b64 v[6:7], v6
	v_cmp_gt_i16_e64 s[26:27], 0, v8
	v_cndmask_b32_e64 v9, v9, 0, s[26:27]
	v_xor_b32_e32 v8, v9, v8
	v_lshlrev_b32_e32 v9, 1, v2
	s_waitcnt lgkmcnt(0)
	v_lshlrev_b64 v[6:7], 1, v[6:7]
	v_add_co_u32_e64 v6, s[26:27], s58, v6
	v_addc_co_u32_e64 v7, s[26:27], v10, v7, s[26:27]
	v_add_co_u32_e64 v6, s[26:27], v6, v9
	v_addc_co_u32_e64 v7, s[26:27], 0, v7, s[26:27]
	global_store_short v[6:7], v8, off
.LBB191_67:
	s_or_b64 exec, exec, s[28:29]
	v_add_u32_e32 v6, 0x100, v2
	v_cmp_gt_u32_e64 s[26:27], s70, v6
	s_and_saveexec_b64 s[30:31], s[26:27]
	s_cbranch_execz .LBB191_69
; %bb.68:
	v_lshlrev_b32_e32 v8, 1, v2
	ds_read_u16 v9, v8 offset:2560
	s_movk_i32 s28, 0x8000
	v_mov_b32_e32 v10, 0x7fff
	v_mov_b32_e32 v11, s59
	s_waitcnt lgkmcnt(0)
	v_cmp_ne_u16_e64 s[28:29], s28, v9
	v_cndmask_b32_e64 v6, v10, v9, s[28:29]
	v_lshrrev_b32_sdwa v6, s68, v6 dst_sel:DWORD dst_unused:UNUSED_PAD src0_sel:DWORD src1_sel:WORD_0
	v_and_b32_e32 v6, s74, v6
	v_lshlrev_b32_e32 v6, 3, v6
	ds_read_b64 v[6:7], v6
	v_cmp_gt_i16_e64 s[28:29], 0, v9
	v_cndmask_b32_e64 v10, v10, 0, s[28:29]
	v_xor_b32_e32 v9, v10, v9
	s_waitcnt lgkmcnt(0)
	v_lshlrev_b64 v[6:7], 1, v[6:7]
	v_add_co_u32_e64 v6, s[28:29], s58, v6
	v_addc_co_u32_e64 v7, s[28:29], v11, v7, s[28:29]
	v_add_co_u32_e64 v6, s[28:29], v6, v8
	v_addc_co_u32_e64 v7, s[28:29], 0, v7, s[28:29]
	global_store_short v[6:7], v9, off offset:512
.LBB191_69:
	s_or_b64 exec, exec, s[30:31]
	v_add_u32_e32 v46, 0x200, v2
	v_cmp_gt_u32_e64 s[28:29], s70, v46
	s_and_saveexec_b64 s[34:35], s[28:29]
	s_cbranch_execz .LBB191_71
; %bb.70:
	v_lshlrev_b32_e32 v8, 1, v2
	ds_read_u16 v9, v8 offset:3072
	s_movk_i32 s30, 0x8000
	v_mov_b32_e32 v10, 0x7fff
	v_mov_b32_e32 v11, s59
	s_waitcnt lgkmcnt(0)
	v_cmp_ne_u16_e64 s[30:31], s30, v9
	v_cndmask_b32_e64 v6, v10, v9, s[30:31]
	v_lshrrev_b32_sdwa v6, s68, v6 dst_sel:DWORD dst_unused:UNUSED_PAD src0_sel:DWORD src1_sel:WORD_0
	v_and_b32_e32 v6, s74, v6
	v_lshlrev_b32_e32 v6, 3, v6
	ds_read_b64 v[6:7], v6
	v_cmp_gt_i16_e64 s[30:31], 0, v9
	v_cndmask_b32_e64 v10, v10, 0, s[30:31]
	v_xor_b32_e32 v9, v10, v9
	s_waitcnt lgkmcnt(0)
	v_lshlrev_b64 v[6:7], 1, v[6:7]
	v_add_co_u32_e64 v6, s[30:31], s58, v6
	v_addc_co_u32_e64 v7, s[30:31], v11, v7, s[30:31]
	v_add_co_u32_e64 v6, s[30:31], v6, v8
	v_addc_co_u32_e64 v7, s[30:31], 0, v7, s[30:31]
	global_store_short v[6:7], v9, off offset:1024
.LBB191_71:
	;; [unrolled: 29-line block ×3, first 2 shown]
	s_or_b64 exec, exec, s[36:37]
	v_or_b32_e32 v48, 0x400, v2
	v_cmp_gt_u32_e64 s[34:35], s70, v48
	s_and_saveexec_b64 s[38:39], s[34:35]
	s_cbranch_execz .LBB191_75
; %bb.74:
	v_lshlrev_b32_e32 v8, 1, v2
	ds_read_u16 v9, v8 offset:4096
	s_movk_i32 s36, 0x8000
	v_mov_b32_e32 v10, 0x7fff
	v_mov_b32_e32 v11, s59
	s_waitcnt lgkmcnt(0)
	v_cmp_ne_u16_e64 s[36:37], s36, v9
	v_cndmask_b32_e64 v6, v10, v9, s[36:37]
	v_lshrrev_b32_sdwa v6, s68, v6 dst_sel:DWORD dst_unused:UNUSED_PAD src0_sel:DWORD src1_sel:WORD_0
	v_and_b32_e32 v6, s74, v6
	v_lshlrev_b32_e32 v6, 3, v6
	ds_read_b64 v[6:7], v6
	v_cmp_gt_i16_e64 s[36:37], 0, v9
	v_cndmask_b32_e64 v10, v10, 0, s[36:37]
	v_xor_b32_e32 v9, v10, v9
	s_waitcnt lgkmcnt(0)
	v_lshlrev_b64 v[6:7], 1, v[6:7]
	v_add_co_u32_e64 v6, s[36:37], s58, v6
	v_addc_co_u32_e64 v7, s[36:37], v11, v7, s[36:37]
	v_add_co_u32_e64 v6, s[36:37], v6, v8
	v_addc_co_u32_e64 v7, s[36:37], 0, v7, s[36:37]
	global_store_short v[6:7], v9, off offset:2048
.LBB191_75:
	s_or_b64 exec, exec, s[38:39]
	v_add_u32_e32 v49, 0x500, v2
	v_cmp_gt_u32_e64 s[36:37], s70, v49
	s_and_saveexec_b64 s[40:41], s[36:37]
	s_cbranch_execz .LBB191_77
; %bb.76:
	v_lshlrev_b32_e32 v8, 1, v2
	ds_read_u16 v9, v8 offset:4608
	s_movk_i32 s38, 0x8000
	v_mov_b32_e32 v10, 0x7fff
	v_mov_b32_e32 v11, s59
	s_waitcnt lgkmcnt(0)
	v_cmp_ne_u16_e64 s[38:39], s38, v9
	v_cndmask_b32_e64 v6, v10, v9, s[38:39]
	v_lshrrev_b32_sdwa v6, s68, v6 dst_sel:DWORD dst_unused:UNUSED_PAD src0_sel:DWORD src1_sel:WORD_0
	v_and_b32_e32 v6, s74, v6
	v_lshlrev_b32_e32 v6, 3, v6
	ds_read_b64 v[6:7], v6
	v_cmp_gt_i16_e64 s[38:39], 0, v9
	v_cndmask_b32_e64 v10, v10, 0, s[38:39]
	v_xor_b32_e32 v9, v10, v9
	s_waitcnt lgkmcnt(0)
	v_lshlrev_b64 v[6:7], 1, v[6:7]
	v_add_co_u32_e64 v6, s[38:39], s58, v6
	v_addc_co_u32_e64 v7, s[38:39], v11, v7, s[38:39]
	v_add_co_u32_e64 v6, s[38:39], v6, v8
	v_addc_co_u32_e64 v7, s[38:39], 0, v7, s[38:39]
	global_store_short v[6:7], v9, off offset:2560
.LBB191_77:
	s_or_b64 exec, exec, s[40:41]
	v_add_u32_e32 v50, 0x600, v2
	;; [unrolled: 29-line block ×3, first 2 shown]
	v_cmp_gt_u32_e64 s[40:41], s70, v51
	s_and_saveexec_b64 s[44:45], s[40:41]
	s_cbranch_execz .LBB191_81
; %bb.80:
	v_lshlrev_b32_e32 v8, 1, v2
	ds_read_u16 v9, v8 offset:5632
	s_movk_i32 s42, 0x8000
	v_mov_b32_e32 v10, 0x7fff
	v_mov_b32_e32 v11, s59
	s_waitcnt lgkmcnt(0)
	v_cmp_ne_u16_e64 s[42:43], s42, v9
	v_cndmask_b32_e64 v6, v10, v9, s[42:43]
	v_lshrrev_b32_sdwa v6, s68, v6 dst_sel:DWORD dst_unused:UNUSED_PAD src0_sel:DWORD src1_sel:WORD_0
	v_and_b32_e32 v6, s74, v6
	v_lshlrev_b32_e32 v6, 3, v6
	ds_read_b64 v[6:7], v6
	v_cmp_gt_i16_e64 s[42:43], 0, v9
	v_cndmask_b32_e64 v10, v10, 0, s[42:43]
	v_xor_b32_e32 v9, v10, v9
	s_waitcnt lgkmcnt(0)
	v_lshlrev_b64 v[6:7], 1, v[6:7]
	v_add_co_u32_e64 v6, s[42:43], s58, v6
	v_addc_co_u32_e64 v7, s[42:43], v11, v7, s[42:43]
	v_add_co_u32_e64 v6, s[42:43], v6, v8
	v_addc_co_u32_e64 v7, s[42:43], 0, v7, s[42:43]
	global_store_short v[6:7], v9, off offset:3584
.LBB191_81:
	s_or_b64 exec, exec, s[44:45]
	v_or_b32_e32 v52, 0x800, v2
	v_cmp_gt_u32_e64 s[42:43], s70, v52
	s_and_saveexec_b64 s[46:47], s[42:43]
	s_cbranch_execz .LBB191_83
; %bb.82:
	v_lshlrev_b32_e32 v6, 1, v2
	ds_read_u16 v8, v6 offset:6144
	s_movk_i32 s44, 0x8000
	v_mov_b32_e32 v9, 0x7fff
	v_mov_b32_e32 v10, s59
	s_waitcnt lgkmcnt(0)
	v_cmp_ne_u16_e64 s[44:45], s44, v8
	v_cndmask_b32_e64 v6, v9, v8, s[44:45]
	v_lshrrev_b32_sdwa v6, s68, v6 dst_sel:DWORD dst_unused:UNUSED_PAD src0_sel:DWORD src1_sel:WORD_0
	v_and_b32_e32 v6, s74, v6
	v_lshlrev_b32_e32 v6, 3, v6
	ds_read_b64 v[6:7], v6
	v_cmp_gt_i16_e64 s[44:45], 0, v8
	v_cndmask_b32_e64 v9, v9, 0, s[44:45]
	v_xor_b32_e32 v8, v9, v8
	v_lshlrev_b32_e32 v9, 1, v52
	s_waitcnt lgkmcnt(0)
	v_lshlrev_b64 v[6:7], 1, v[6:7]
	v_add_co_u32_e64 v6, s[44:45], s58, v6
	v_addc_co_u32_e64 v7, s[44:45], v10, v7, s[44:45]
	v_add_co_u32_e64 v6, s[44:45], v6, v9
	v_addc_co_u32_e64 v7, s[44:45], 0, v7, s[44:45]
	global_store_short v[6:7], v8, off
.LBB191_83:
	s_or_b64 exec, exec, s[46:47]
	v_add_u32_e32 v53, 0x900, v2
	v_cmp_gt_u32_e64 s[44:45], s70, v53
	s_and_saveexec_b64 s[48:49], s[44:45]
	s_cbranch_execz .LBB191_85
; %bb.84:
	v_lshlrev_b32_e32 v6, 1, v2
	ds_read_u16 v8, v6 offset:6656
	s_movk_i32 s46, 0x8000
	v_mov_b32_e32 v9, 0x7fff
	v_mov_b32_e32 v10, s59
	s_waitcnt lgkmcnt(0)
	v_cmp_ne_u16_e64 s[46:47], s46, v8
	v_cndmask_b32_e64 v6, v9, v8, s[46:47]
	v_lshrrev_b32_sdwa v6, s68, v6 dst_sel:DWORD dst_unused:UNUSED_PAD src0_sel:DWORD src1_sel:WORD_0
	v_and_b32_e32 v6, s74, v6
	v_lshlrev_b32_e32 v6, 3, v6
	ds_read_b64 v[6:7], v6
	v_cmp_gt_i16_e64 s[46:47], 0, v8
	v_cndmask_b32_e64 v9, v9, 0, s[46:47]
	v_xor_b32_e32 v8, v9, v8
	v_lshlrev_b32_e32 v9, 1, v53
	s_waitcnt lgkmcnt(0)
	v_lshlrev_b64 v[6:7], 1, v[6:7]
	v_add_co_u32_e64 v6, s[46:47], s58, v6
	v_addc_co_u32_e64 v7, s[46:47], v10, v7, s[46:47]
	v_add_co_u32_e64 v6, s[46:47], v6, v9
	v_addc_co_u32_e64 v7, s[46:47], 0, v7, s[46:47]
	global_store_short v[6:7], v8, off
.LBB191_85:
	s_or_b64 exec, exec, s[48:49]
	v_add_u32_e32 v54, 0xa00, v2
	;; [unrolled: 30-line block ×3, first 2 shown]
	v_cmp_gt_u32_e64 s[48:49], s70, v55
	s_and_saveexec_b64 s[70:71], s[48:49]
	s_cbranch_execz .LBB191_89
; %bb.88:
	v_lshlrev_b32_e32 v6, 1, v2
	ds_read_u16 v8, v6 offset:7680
	s_movk_i32 s52, 0x8000
	v_mov_b32_e32 v9, 0x7fff
	v_mov_b32_e32 v10, s59
	s_waitcnt lgkmcnt(0)
	v_cmp_ne_u16_e64 s[52:53], s52, v8
	v_cndmask_b32_e64 v6, v9, v8, s[52:53]
	v_lshrrev_b32_sdwa v6, s68, v6 dst_sel:DWORD dst_unused:UNUSED_PAD src0_sel:DWORD src1_sel:WORD_0
	v_and_b32_e32 v6, s74, v6
	v_lshlrev_b32_e32 v6, 3, v6
	ds_read_b64 v[6:7], v6
	v_cmp_gt_i16_e64 s[52:53], 0, v8
	v_cndmask_b32_e64 v9, v9, 0, s[52:53]
	v_xor_b32_e32 v8, v9, v8
	v_lshlrev_b32_e32 v9, 1, v55
	s_waitcnt lgkmcnt(0)
	v_lshlrev_b64 v[6:7], 1, v[6:7]
	v_add_co_u32_e64 v6, s[52:53], s58, v6
	v_addc_co_u32_e64 v7, s[52:53], v10, v7, s[52:53]
	v_add_co_u32_e64 v6, s[52:53], v6, v9
	v_addc_co_u32_e64 v7, s[52:53], 0, v7, s[52:53]
	global_store_short v[6:7], v8, off
.LBB191_89:
	s_or_b64 exec, exec, s[70:71]
	s_lshl_b64 s[52:53], s[54:55], 3
	s_add_u32 s52, s60, s52
	s_addc_u32 s53, s61, s53
	v_lshlrev_b32_e32 v6, 3, v13
	v_mov_b32_e32 v7, s53
	v_add_co_u32_e64 v6, s[52:53], s52, v6
	v_addc_co_u32_e64 v7, s[52:53], 0, v7, s[52:53]
	v_lshlrev_b32_e32 v8, 3, v12
	v_add_co_u32_e64 v30, s[52:53], v6, v8
	v_addc_co_u32_e64 v31, s[52:53], 0, v7, s[52:53]
                                        ; implicit-def: $vgpr6_vgpr7
	s_and_saveexec_b64 s[52:53], vcc
	s_xor_b64 s[52:53], exec, s[52:53]
	s_cbranch_execnz .LBB191_174
; %bb.90:
	s_or_b64 exec, exec, s[52:53]
                                        ; implicit-def: $vgpr8_vgpr9
	s_and_saveexec_b64 s[52:53], s[0:1]
	s_cbranch_execnz .LBB191_175
.LBB191_91:
	s_or_b64 exec, exec, s[52:53]
                                        ; implicit-def: $vgpr10_vgpr11
	s_and_saveexec_b64 s[0:1], s[2:3]
	s_cbranch_execnz .LBB191_176
.LBB191_92:
	s_or_b64 exec, exec, s[0:1]
                                        ; implicit-def: $vgpr12_vgpr13
	s_and_saveexec_b64 s[0:1], s[50:51]
	s_cbranch_execnz .LBB191_177
.LBB191_93:
	s_or_b64 exec, exec, s[0:1]
                                        ; implicit-def: $vgpr14_vgpr15
	s_and_saveexec_b64 s[0:1], s[8:9]
	s_cbranch_execnz .LBB191_178
.LBB191_94:
	s_or_b64 exec, exec, s[0:1]
                                        ; implicit-def: $vgpr16_vgpr17
	s_and_saveexec_b64 s[0:1], s[12:13]
	s_cbranch_execnz .LBB191_179
.LBB191_95:
	s_or_b64 exec, exec, s[0:1]
                                        ; implicit-def: $vgpr18_vgpr19
	s_and_saveexec_b64 s[0:1], s[16:17]
	s_cbranch_execnz .LBB191_180
.LBB191_96:
	s_or_b64 exec, exec, s[0:1]
                                        ; implicit-def: $vgpr20_vgpr21
	s_and_saveexec_b64 s[0:1], s[20:21]
	s_cbranch_execnz .LBB191_181
.LBB191_97:
	s_or_b64 exec, exec, s[0:1]
                                        ; implicit-def: $vgpr22_vgpr23
	s_and_saveexec_b64 s[0:1], s[22:23]
	s_cbranch_execnz .LBB191_182
.LBB191_98:
	s_or_b64 exec, exec, s[0:1]
                                        ; implicit-def: $vgpr24_vgpr25
	s_and_saveexec_b64 s[0:1], s[18:19]
	s_cbranch_execnz .LBB191_183
.LBB191_99:
	s_or_b64 exec, exec, s[0:1]
                                        ; implicit-def: $vgpr26_vgpr27
	s_and_saveexec_b64 s[0:1], s[14:15]
	s_cbranch_execnz .LBB191_184
.LBB191_100:
	s_or_b64 exec, exec, s[0:1]
                                        ; implicit-def: $vgpr28_vgpr29
	s_and_saveexec_b64 s[0:1], s[10:11]
	s_cbranch_execnz .LBB191_185
.LBB191_101:
	s_or_b64 exec, exec, s[0:1]
                                        ; implicit-def: $vgpr65
	s_and_saveexec_b64 s[0:1], s[24:25]
	s_cbranch_execnz .LBB191_186
.LBB191_102:
	s_or_b64 exec, exec, s[0:1]
                                        ; implicit-def: $vgpr64
	s_and_saveexec_b64 s[0:1], s[26:27]
	s_cbranch_execnz .LBB191_187
.LBB191_103:
	s_or_b64 exec, exec, s[0:1]
                                        ; implicit-def: $vgpr63
	s_and_saveexec_b64 s[0:1], s[28:29]
	s_cbranch_execnz .LBB191_188
.LBB191_104:
	s_or_b64 exec, exec, s[0:1]
                                        ; implicit-def: $vgpr62
	s_and_saveexec_b64 s[0:1], s[30:31]
	s_cbranch_execnz .LBB191_189
.LBB191_105:
	s_or_b64 exec, exec, s[0:1]
                                        ; implicit-def: $vgpr61
	s_and_saveexec_b64 s[0:1], s[34:35]
	s_cbranch_execnz .LBB191_190
.LBB191_106:
	s_or_b64 exec, exec, s[0:1]
                                        ; implicit-def: $vgpr60
	s_and_saveexec_b64 s[0:1], s[36:37]
	s_cbranch_execnz .LBB191_191
.LBB191_107:
	s_or_b64 exec, exec, s[0:1]
                                        ; implicit-def: $vgpr59
	s_and_saveexec_b64 s[0:1], s[38:39]
	s_cbranch_execnz .LBB191_192
.LBB191_108:
	s_or_b64 exec, exec, s[0:1]
                                        ; implicit-def: $vgpr58
	s_and_saveexec_b64 s[0:1], s[40:41]
	s_cbranch_execnz .LBB191_193
.LBB191_109:
	s_or_b64 exec, exec, s[0:1]
                                        ; implicit-def: $vgpr57
	s_and_saveexec_b64 s[0:1], s[42:43]
	s_cbranch_execz .LBB191_111
.LBB191_110:
	v_lshlrev_b32_e32 v30, 1, v2
	ds_read_u16 v30, v30 offset:6144
	s_movk_i32 s2, 0x8000
	v_mov_b32_e32 v31, 0x7fff
	s_waitcnt lgkmcnt(0)
	v_cmp_ne_u16_e32 vcc, s2, v30
	v_cndmask_b32_e32 v30, v31, v30, vcc
	v_lshrrev_b32_sdwa v30, s68, v30 dst_sel:DWORD dst_unused:UNUSED_PAD src0_sel:DWORD src1_sel:WORD_0
	v_and_b32_e32 v57, s74, v30
.LBB191_111:
	s_or_b64 exec, exec, s[0:1]
	v_mov_b32_e32 v30, 0
	v_mov_b32_e32 v56, 0
	s_and_saveexec_b64 s[0:1], s[44:45]
	s_cbranch_execnz .LBB191_194
; %bb.112:
	s_or_b64 exec, exec, s[0:1]
	s_and_saveexec_b64 s[0:1], s[46:47]
	s_cbranch_execnz .LBB191_195
.LBB191_113:
	s_or_b64 exec, exec, s[0:1]
	v_mov_b32_e32 v31, 0
	s_and_saveexec_b64 s[0:1], s[48:49]
	s_cbranch_execz .LBB191_115
.LBB191_114:
	v_lshlrev_b32_e32 v31, 1, v2
	ds_read_u16 v31, v31 offset:7680
	s_movk_i32 s2, 0x8000
	v_mov_b32_e32 v66, 0x7fff
	s_waitcnt lgkmcnt(0)
	v_cmp_ne_u16_e32 vcc, s2, v31
	v_cndmask_b32_e32 v31, v66, v31, vcc
	v_lshrrev_b32_sdwa v31, s68, v31 dst_sel:DWORD dst_unused:UNUSED_PAD src0_sel:DWORD src1_sel:WORD_0
	v_and_b32_e32 v31, s74, v31
.LBB191_115:
	s_or_b64 exec, exec, s[0:1]
	v_lshlrev_b32_e32 v45, 3, v45
	s_barrier
	s_waitcnt vmcnt(0)
	ds_write_b64 v45, v[6:7] offset:2048
	v_lshlrev_b32_e32 v6, 3, v44
	ds_write_b64 v6, v[8:9] offset:2048
	v_lshlrev_b32_e32 v6, 3, v43
	;; [unrolled: 2-line block ×11, first 2 shown]
	ds_write_b64 v6, v[28:29] offset:2048
	s_waitcnt lgkmcnt(0)
	s_barrier
	s_and_saveexec_b64 s[0:1], s[24:25]
	s_cbranch_execnz .LBB191_196
; %bb.116:
	s_or_b64 exec, exec, s[0:1]
	s_and_saveexec_b64 s[0:1], s[26:27]
	s_cbranch_execnz .LBB191_197
.LBB191_117:
	s_or_b64 exec, exec, s[0:1]
	s_and_saveexec_b64 s[0:1], s[28:29]
	s_cbranch_execnz .LBB191_198
.LBB191_118:
	s_or_b64 exec, exec, s[0:1]
	s_and_saveexec_b64 s[0:1], s[30:31]
	s_cbranch_execnz .LBB191_199
.LBB191_119:
	s_or_b64 exec, exec, s[0:1]
	s_and_saveexec_b64 s[0:1], s[34:35]
	s_cbranch_execnz .LBB191_200
.LBB191_120:
	s_or_b64 exec, exec, s[0:1]
	s_and_saveexec_b64 s[0:1], s[36:37]
	s_cbranch_execnz .LBB191_201
.LBB191_121:
	s_or_b64 exec, exec, s[0:1]
	s_and_saveexec_b64 s[0:1], s[38:39]
	s_cbranch_execnz .LBB191_202
.LBB191_122:
	s_or_b64 exec, exec, s[0:1]
	s_and_saveexec_b64 s[0:1], s[40:41]
	s_cbranch_execnz .LBB191_203
.LBB191_123:
	s_or_b64 exec, exec, s[0:1]
	s_and_saveexec_b64 s[0:1], s[42:43]
	s_cbranch_execnz .LBB191_204
.LBB191_124:
	s_or_b64 exec, exec, s[0:1]
	s_and_saveexec_b64 s[0:1], s[44:45]
	s_cbranch_execnz .LBB191_205
.LBB191_125:
	s_or_b64 exec, exec, s[0:1]
	s_and_saveexec_b64 s[0:1], s[46:47]
	s_cbranch_execnz .LBB191_206
.LBB191_126:
	s_or_b64 exec, exec, s[0:1]
	s_and_saveexec_b64 s[0:1], s[48:49]
	s_cbranch_execz .LBB191_128
.LBB191_127:
	v_lshlrev_b32_e32 v6, 3, v31
	ds_read_b64 v[6:7], v6
	v_lshlrev_b32_e32 v8, 3, v2
	ds_read_b64 v[8:9], v8 offset:24576
	v_mov_b32_e32 v10, s63
	s_waitcnt lgkmcnt(1)
	v_lshlrev_b64 v[6:7], 3, v[6:7]
	v_add_co_u32_e32 v6, vcc, s62, v6
	v_addc_co_u32_e32 v7, vcc, v10, v7, vcc
	v_lshlrev_b32_e32 v10, 3, v55
	v_add_co_u32_e32 v6, vcc, v6, v10
	v_addc_co_u32_e32 v7, vcc, 0, v7, vcc
	s_waitcnt lgkmcnt(0)
	global_store_dwordx2 v[6:7], v[8:9], off
.LBB191_128:
	s_or_b64 exec, exec, s[0:1]
	s_add_i32 s33, s33, -1
	s_cmp_eq_u32 s6, s33
	s_cselect_b64 s[0:1], -1, 0
	s_branch .LBB191_171
.LBB191_129:
	s_mov_b64 s[0:1], 0
                                        ; implicit-def: $vgpr33
                                        ; implicit-def: $vgpr2_vgpr3
                                        ; implicit-def: $vgpr4_vgpr5
                                        ; implicit-def: $vgpr32
	s_cbranch_execz .LBB191_171
; %bb.130:
	s_mov_b32 s55, 0
	s_lshl_b64 s[0:1], s[54:55], 1
	v_mbcnt_hi_u32_b32 v10, -1, v1
	s_add_u32 s0, s56, s0
	v_lshlrev_b32_e32 v1, 1, v10
	v_and_b32_e32 v2, 0x3ff, v0
	v_add_co_u32_e32 v1, vcc, s0, v1
	s_load_dword s8, s[4:5], 0x50
	s_load_dword s0, s[4:5], 0x5c
	s_addc_u32 s1, s57, s1
	v_and_b32_e32 v8, 0xc0, v2
	v_mul_u32_u24_e32 v3, 12, v8
	v_mov_b32_e32 v5, s1
	v_addc_co_u32_e32 v5, vcc, 0, v5, vcc
	v_lshlrev_b32_e32 v6, 1, v3
	v_add_co_u32_e32 v14, vcc, v1, v6
	s_add_u32 s1, s4, 0x50
	v_addc_co_u32_e32 v15, vcc, 0, v5, vcc
	s_addc_u32 s2, s5, 0
	s_waitcnt lgkmcnt(0)
	s_lshr_b32 s3, s0, 16
	global_load_ushort v1, v[14:15], off
	s_cmp_lt_u32 s6, s8
	s_cselect_b32 s0, 12, 18
	s_add_u32 s0, s1, s0
	v_mov_b32_e32 v4, 0
	s_addc_u32 s1, s2, 0
	global_load_ushort v5, v4, s[0:1]
	v_mul_u32_u24_e32 v7, 5, v2
	v_lshlrev_b32_e32 v7, 2, v7
	ds_write2_b32 v7, v4, v4 offset0:4 offset1:5
	ds_write2_b32 v7, v4, v4 offset0:6 offset1:7
	ds_write_b32 v7, v4 offset:32
	global_load_ushort v12, v[14:15], off offset:128
	global_load_ushort v16, v[14:15], off offset:256
	;; [unrolled: 1-line block ×11, first 2 shown]
	v_mov_b32_e32 v13, 0x7fff
	v_bfe_u32 v6, v0, 10, 10
	v_bfe_u32 v0, v0, 20, 10
	v_mad_u32_u24 v0, v0, s3, v6
	s_movk_i32 s2, 0x8000
	s_lshl_b32 s0, -1, s69
	s_not_b32 s9, s0
	s_waitcnt lgkmcnt(0)
	s_barrier
	s_waitcnt lgkmcnt(0)
	; wave barrier
	s_waitcnt vmcnt(12)
	v_cmp_gt_i16_e32 vcc, 0, v1
	v_cndmask_b32_e64 v6, v13, 0, vcc
	v_xor_b32_e32 v6, v6, v1
	v_cmp_ne_u16_e32 vcc, s2, v6
	v_cndmask_b32_e32 v9, v13, v6, vcc
	s_waitcnt vmcnt(11)
	v_mad_u64_u32 v[0:1], s[0:1], v0, v5, v[2:3]
	v_lshrrev_b32_sdwa v1, s68, v9 dst_sel:DWORD dst_unused:UNUSED_PAD src0_sel:DWORD src1_sel:WORD_0
	v_lshrrev_b32_e32 v18, 6, v0
	v_and_b32_e32 v0, s9, v1
	v_mul_u32_u24_e32 v1, 5, v0
	v_and_b32_e32 v11, 1, v0
	v_add_lshl_u32 v9, v18, v1, 2
	v_add_co_u32_e32 v1, vcc, -1, v11
	v_lshlrev_b32_e32 v5, 30, v0
	v_addc_co_u32_e64 v14, s[0:1], 0, -1, vcc
	v_cmp_ne_u32_e32 vcc, 0, v11
	v_cmp_gt_i64_e64 s[0:1], 0, v[4:5]
	v_not_b32_e32 v11, v5
	v_lshlrev_b32_e32 v5, 29, v0
	v_xor_b32_e32 v14, vcc_hi, v14
	v_xor_b32_e32 v1, vcc_lo, v1
	v_ashrrev_i32_e32 v11, 31, v11
	v_cmp_gt_i64_e32 vcc, 0, v[4:5]
	v_not_b32_e32 v15, v5
	v_lshlrev_b32_e32 v5, 28, v0
	v_and_b32_e32 v14, exec_hi, v14
	v_and_b32_e32 v1, exec_lo, v1
	v_xor_b32_e32 v19, s1, v11
	v_xor_b32_e32 v11, s0, v11
	v_ashrrev_i32_e32 v15, 31, v15
	v_cmp_gt_i64_e64 s[0:1], 0, v[4:5]
	v_not_b32_e32 v5, v5
	v_and_b32_e32 v14, v14, v19
	v_and_b32_e32 v1, v1, v11
	v_xor_b32_e32 v11, vcc_hi, v15
	v_xor_b32_e32 v15, vcc_lo, v15
	v_ashrrev_i32_e32 v5, 31, v5
	v_and_b32_e32 v11, v14, v11
	v_and_b32_e32 v1, v1, v15
	v_xor_b32_e32 v14, s1, v5
	v_xor_b32_e32 v5, s0, v5
	v_and_b32_e32 v1, v1, v5
	v_lshlrev_b32_e32 v5, 27, v0
	v_cmp_gt_i64_e32 vcc, 0, v[4:5]
	v_not_b32_e32 v5, v5
	v_ashrrev_i32_e32 v5, 31, v5
	v_and_b32_e32 v11, v11, v14
	v_xor_b32_e32 v14, vcc_hi, v5
	v_xor_b32_e32 v5, vcc_lo, v5
	v_and_b32_e32 v1, v1, v5
	v_lshlrev_b32_e32 v5, 26, v0
	v_cmp_gt_i64_e32 vcc, 0, v[4:5]
	v_not_b32_e32 v5, v5
	v_ashrrev_i32_e32 v5, 31, v5
	v_and_b32_e32 v11, v11, v14
	v_xor_b32_e32 v14, vcc_hi, v5
	v_xor_b32_e32 v5, vcc_lo, v5
	;; [unrolled: 8-line block ×3, first 2 shown]
	v_and_b32_e32 v11, v11, v14
	v_and_b32_e32 v14, v1, v5
	v_lshlrev_b32_e32 v5, 24, v0
	v_not_b32_e32 v0, v5
	v_cmp_gt_i64_e32 vcc, 0, v[4:5]
	v_ashrrev_i32_e32 v0, 31, v0
	v_xor_b32_e32 v1, vcc_hi, v0
	v_xor_b32_e32 v0, vcc_lo, v0
	v_and_b32_e32 v0, v14, v0
	v_and_b32_e32 v1, v11, v1
	v_mbcnt_lo_u32_b32 v5, v0, 0
	v_mbcnt_hi_u32_b32 v11, v1, v5
	v_cmp_eq_u32_e32 vcc, 0, v11
	v_cmp_ne_u64_e64 s[0:1], 0, v[0:1]
	s_and_b64 s[4:5], s[0:1], vcc
	s_and_saveexec_b64 s[0:1], s[4:5]
	s_cbranch_execz .LBB191_132
; %bb.131:
	v_bcnt_u32_b32 v0, v0, 0
	v_bcnt_u32_b32 v0, v1, v0
	ds_write_b32 v9, v0 offset:16
.LBB191_132:
	s_or_b64 exec, exec, s[0:1]
	s_waitcnt vmcnt(10)
	v_cmp_gt_i16_e32 vcc, 0, v12
	v_cndmask_b32_e64 v0, v13, 0, vcc
	v_xor_b32_e32 v12, v0, v12
	v_cmp_ne_u16_e32 vcc, s2, v12
	v_cndmask_b32_e32 v0, v13, v12, vcc
	v_lshrrev_b32_sdwa v0, s68, v0 dst_sel:DWORD dst_unused:UNUSED_PAD src0_sel:DWORD src1_sel:WORD_0
	v_and_b32_e32 v0, s9, v0
	v_mul_u32_u24_e32 v1, 5, v0
	v_add_lshl_u32 v14, v18, v1, 2
	v_and_b32_e32 v1, 1, v0
	v_add_co_u32_e32 v5, vcc, -1, v1
	v_addc_co_u32_e64 v15, s[0:1], 0, -1, vcc
	v_cmp_ne_u32_e32 vcc, 0, v1
	v_xor_b32_e32 v5, vcc_lo, v5
	v_xor_b32_e32 v1, vcc_hi, v15
	v_and_b32_e32 v15, exec_lo, v5
	v_lshlrev_b32_e32 v5, 30, v0
	v_cmp_gt_i64_e32 vcc, 0, v[4:5]
	v_not_b32_e32 v5, v5
	v_ashrrev_i32_e32 v5, 31, v5
	v_xor_b32_e32 v19, vcc_hi, v5
	v_xor_b32_e32 v5, vcc_lo, v5
	v_and_b32_e32 v15, v15, v5
	v_lshlrev_b32_e32 v5, 29, v0
	v_cmp_gt_i64_e32 vcc, 0, v[4:5]
	v_not_b32_e32 v5, v5
	v_and_b32_e32 v1, exec_hi, v1
	v_ashrrev_i32_e32 v5, 31, v5
	v_and_b32_e32 v1, v1, v19
	v_xor_b32_e32 v19, vcc_hi, v5
	v_xor_b32_e32 v5, vcc_lo, v5
	v_and_b32_e32 v15, v15, v5
	v_lshlrev_b32_e32 v5, 28, v0
	v_cmp_gt_i64_e32 vcc, 0, v[4:5]
	v_not_b32_e32 v5, v5
	v_ashrrev_i32_e32 v5, 31, v5
	v_and_b32_e32 v1, v1, v19
	v_xor_b32_e32 v19, vcc_hi, v5
	v_xor_b32_e32 v5, vcc_lo, v5
	v_and_b32_e32 v15, v15, v5
	v_lshlrev_b32_e32 v5, 27, v0
	v_cmp_gt_i64_e32 vcc, 0, v[4:5]
	v_not_b32_e32 v5, v5
	;; [unrolled: 8-line block ×4, first 2 shown]
	v_ashrrev_i32_e32 v5, 31, v5
	v_and_b32_e32 v1, v1, v19
	v_xor_b32_e32 v19, vcc_hi, v5
	v_xor_b32_e32 v5, vcc_lo, v5
	v_and_b32_e32 v15, v15, v5
	v_lshlrev_b32_e32 v5, 24, v0
	v_not_b32_e32 v0, v5
	v_cmp_gt_i64_e32 vcc, 0, v[4:5]
	v_ashrrev_i32_e32 v0, 31, v0
	v_xor_b32_e32 v4, vcc_hi, v0
	v_xor_b32_e32 v0, vcc_lo, v0
	; wave barrier
	ds_read_b32 v13, v14 offset:16
	v_and_b32_e32 v1, v1, v19
	v_and_b32_e32 v0, v15, v0
	;; [unrolled: 1-line block ×3, first 2 shown]
	v_mbcnt_lo_u32_b32 v4, v0, 0
	v_mbcnt_hi_u32_b32 v15, v1, v4
	v_cmp_eq_u32_e32 vcc, 0, v15
	v_cmp_ne_u64_e64 s[0:1], 0, v[0:1]
	s_and_b64 s[2:3], s[0:1], vcc
	; wave barrier
	s_and_saveexec_b64 s[0:1], s[2:3]
	s_cbranch_execz .LBB191_134
; %bb.133:
	v_bcnt_u32_b32 v0, v0, 0
	v_bcnt_u32_b32 v0, v1, v0
	s_waitcnt lgkmcnt(0)
	v_add_u32_e32 v0, v13, v0
	ds_write_b32 v14, v0 offset:16
.LBB191_134:
	s_or_b64 exec, exec, s[0:1]
	v_mov_b32_e32 v24, 0x7fff
	s_waitcnt vmcnt(9)
	v_cmp_gt_i16_e32 vcc, 0, v16
	v_cndmask_b32_e64 v1, v24, 0, vcc
	v_xor_b32_e32 v16, v1, v16
	s_movk_i32 s2, 0x8000
	v_cmp_ne_u16_e32 vcc, s2, v16
	v_cndmask_b32_e32 v1, v24, v16, vcc
	v_lshrrev_b32_sdwa v1, s68, v1 dst_sel:DWORD dst_unused:UNUSED_PAD src0_sel:DWORD src1_sel:WORD_0
	v_and_b32_e32 v4, s9, v1
	v_mul_u32_u24_e32 v1, 5, v4
	v_add_lshl_u32 v20, v18, v1, 2
	v_and_b32_e32 v1, 1, v4
	v_add_co_u32_e32 v5, vcc, -1, v1
	v_addc_co_u32_e64 v22, s[0:1], 0, -1, vcc
	v_cmp_ne_u32_e32 vcc, 0, v1
	v_xor_b32_e32 v1, vcc_hi, v22
	v_mov_b32_e32 v0, 0
	v_and_b32_e32 v22, exec_hi, v1
	v_lshlrev_b32_e32 v1, 30, v4
	v_xor_b32_e32 v5, vcc_lo, v5
	v_cmp_gt_i64_e32 vcc, 0, v[0:1]
	v_not_b32_e32 v1, v1
	v_ashrrev_i32_e32 v1, 31, v1
	v_and_b32_e32 v5, exec_lo, v5
	v_xor_b32_e32 v25, vcc_hi, v1
	v_xor_b32_e32 v1, vcc_lo, v1
	v_and_b32_e32 v5, v5, v1
	v_lshlrev_b32_e32 v1, 29, v4
	v_cmp_gt_i64_e32 vcc, 0, v[0:1]
	v_not_b32_e32 v1, v1
	v_ashrrev_i32_e32 v1, 31, v1
	v_and_b32_e32 v22, v22, v25
	v_xor_b32_e32 v25, vcc_hi, v1
	v_xor_b32_e32 v1, vcc_lo, v1
	v_and_b32_e32 v5, v5, v1
	v_lshlrev_b32_e32 v1, 28, v4
	v_cmp_gt_i64_e32 vcc, 0, v[0:1]
	v_not_b32_e32 v1, v1
	v_ashrrev_i32_e32 v1, 31, v1
	v_and_b32_e32 v22, v22, v25
	v_xor_b32_e32 v25, vcc_hi, v1
	v_xor_b32_e32 v1, vcc_lo, v1
	v_and_b32_e32 v5, v5, v1
	v_lshlrev_b32_e32 v1, 27, v4
	v_cmp_gt_i64_e32 vcc, 0, v[0:1]
	v_not_b32_e32 v1, v1
	v_ashrrev_i32_e32 v1, 31, v1
	v_and_b32_e32 v22, v22, v25
	v_xor_b32_e32 v25, vcc_hi, v1
	v_xor_b32_e32 v1, vcc_lo, v1
	v_and_b32_e32 v5, v5, v1
	v_lshlrev_b32_e32 v1, 26, v4
	v_cmp_gt_i64_e32 vcc, 0, v[0:1]
	v_not_b32_e32 v1, v1
	v_ashrrev_i32_e32 v1, 31, v1
	v_and_b32_e32 v22, v22, v25
	v_xor_b32_e32 v25, vcc_hi, v1
	v_xor_b32_e32 v1, vcc_lo, v1
	v_and_b32_e32 v5, v5, v1
	v_lshlrev_b32_e32 v1, 25, v4
	v_cmp_gt_i64_e32 vcc, 0, v[0:1]
	v_not_b32_e32 v1, v1
	v_ashrrev_i32_e32 v1, 31, v1
	v_and_b32_e32 v22, v22, v25
	v_xor_b32_e32 v25, vcc_hi, v1
	v_xor_b32_e32 v1, vcc_lo, v1
	v_and_b32_e32 v22, v22, v25
	v_and_b32_e32 v25, v5, v1
	v_lshlrev_b32_e32 v1, 24, v4
	v_cmp_gt_i64_e32 vcc, 0, v[0:1]
	v_not_b32_e32 v1, v1
	v_ashrrev_i32_e32 v1, 31, v1
	v_xor_b32_e32 v4, vcc_hi, v1
	v_xor_b32_e32 v1, vcc_lo, v1
	; wave barrier
	ds_read_b32 v19, v20 offset:16
	v_and_b32_e32 v5, v22, v4
	v_and_b32_e32 v4, v25, v1
	v_mbcnt_lo_u32_b32 v1, v4, 0
	v_mbcnt_hi_u32_b32 v22, v5, v1
	v_cmp_eq_u32_e32 vcc, 0, v22
	v_cmp_ne_u64_e64 s[0:1], 0, v[4:5]
	s_and_b64 s[4:5], s[0:1], vcc
	; wave barrier
	s_and_saveexec_b64 s[0:1], s[4:5]
	s_cbranch_execz .LBB191_136
; %bb.135:
	v_bcnt_u32_b32 v1, v4, 0
	v_bcnt_u32_b32 v1, v5, v1
	s_waitcnt lgkmcnt(0)
	v_add_u32_e32 v1, v19, v1
	ds_write_b32 v20, v1 offset:16
.LBB191_136:
	s_or_b64 exec, exec, s[0:1]
	s_waitcnt vmcnt(8)
	v_cmp_gt_i16_e32 vcc, 0, v21
	v_cndmask_b32_e64 v1, v24, 0, vcc
	v_xor_b32_e32 v21, v1, v21
	v_cmp_ne_u16_e32 vcc, s2, v21
	v_cndmask_b32_e32 v1, v24, v21, vcc
	v_lshrrev_b32_sdwa v1, s68, v1 dst_sel:DWORD dst_unused:UNUSED_PAD src0_sel:DWORD src1_sel:WORD_0
	v_and_b32_e32 v4, s9, v1
	v_mul_u32_u24_e32 v1, 5, v4
	v_add_lshl_u32 v25, v18, v1, 2
	v_and_b32_e32 v1, 1, v4
	v_add_co_u32_e32 v5, vcc, -1, v1
	v_addc_co_u32_e64 v26, s[0:1], 0, -1, vcc
	v_cmp_ne_u32_e32 vcc, 0, v1
	v_xor_b32_e32 v1, vcc_hi, v26
	v_and_b32_e32 v26, exec_hi, v1
	v_lshlrev_b32_e32 v1, 30, v4
	v_xor_b32_e32 v5, vcc_lo, v5
	v_cmp_gt_i64_e32 vcc, 0, v[0:1]
	v_not_b32_e32 v1, v1
	v_ashrrev_i32_e32 v1, 31, v1
	v_and_b32_e32 v5, exec_lo, v5
	v_xor_b32_e32 v29, vcc_hi, v1
	v_xor_b32_e32 v1, vcc_lo, v1
	v_and_b32_e32 v5, v5, v1
	v_lshlrev_b32_e32 v1, 29, v4
	v_cmp_gt_i64_e32 vcc, 0, v[0:1]
	v_not_b32_e32 v1, v1
	v_ashrrev_i32_e32 v1, 31, v1
	v_and_b32_e32 v26, v26, v29
	v_xor_b32_e32 v29, vcc_hi, v1
	v_xor_b32_e32 v1, vcc_lo, v1
	v_and_b32_e32 v5, v5, v1
	v_lshlrev_b32_e32 v1, 28, v4
	v_cmp_gt_i64_e32 vcc, 0, v[0:1]
	v_not_b32_e32 v1, v1
	v_ashrrev_i32_e32 v1, 31, v1
	v_and_b32_e32 v26, v26, v29
	;; [unrolled: 8-line block ×5, first 2 shown]
	v_xor_b32_e32 v29, vcc_hi, v1
	v_xor_b32_e32 v1, vcc_lo, v1
	v_and_b32_e32 v5, v5, v1
	v_lshlrev_b32_e32 v1, 24, v4
	v_cmp_gt_i64_e32 vcc, 0, v[0:1]
	v_not_b32_e32 v0, v1
	v_ashrrev_i32_e32 v0, 31, v0
	v_xor_b32_e32 v1, vcc_hi, v0
	v_xor_b32_e32 v0, vcc_lo, v0
	; wave barrier
	ds_read_b32 v24, v25 offset:16
	v_and_b32_e32 v26, v26, v29
	v_and_b32_e32 v0, v5, v0
	;; [unrolled: 1-line block ×3, first 2 shown]
	v_mbcnt_lo_u32_b32 v4, v0, 0
	v_mbcnt_hi_u32_b32 v26, v1, v4
	v_cmp_eq_u32_e32 vcc, 0, v26
	v_cmp_ne_u64_e64 s[0:1], 0, v[0:1]
	s_and_b64 s[2:3], s[0:1], vcc
	; wave barrier
	s_and_saveexec_b64 s[0:1], s[2:3]
	s_cbranch_execz .LBB191_138
; %bb.137:
	v_bcnt_u32_b32 v0, v0, 0
	v_bcnt_u32_b32 v0, v1, v0
	s_waitcnt lgkmcnt(0)
	v_add_u32_e32 v0, v24, v0
	ds_write_b32 v25, v0 offset:16
.LBB191_138:
	s_or_b64 exec, exec, s[0:1]
	v_mov_b32_e32 v34, 0x7fff
	s_waitcnt vmcnt(7)
	v_cmp_gt_i16_e32 vcc, 0, v27
	v_cndmask_b32_e64 v1, v34, 0, vcc
	v_xor_b32_e32 v27, v1, v27
	s_movk_i32 s2, 0x8000
	v_cmp_ne_u16_e32 vcc, s2, v27
	v_cndmask_b32_e32 v1, v34, v27, vcc
	v_lshrrev_b32_sdwa v1, s68, v1 dst_sel:DWORD dst_unused:UNUSED_PAD src0_sel:DWORD src1_sel:WORD_0
	v_and_b32_e32 v4, s9, v1
	v_mul_u32_u24_e32 v1, 5, v4
	v_add_lshl_u32 v30, v18, v1, 2
	v_and_b32_e32 v1, 1, v4
	v_add_co_u32_e32 v5, vcc, -1, v1
	v_addc_co_u32_e64 v32, s[0:1], 0, -1, vcc
	v_cmp_ne_u32_e32 vcc, 0, v1
	v_xor_b32_e32 v1, vcc_hi, v32
	v_mov_b32_e32 v0, 0
	v_and_b32_e32 v32, exec_hi, v1
	v_lshlrev_b32_e32 v1, 30, v4
	v_xor_b32_e32 v5, vcc_lo, v5
	v_cmp_gt_i64_e32 vcc, 0, v[0:1]
	v_not_b32_e32 v1, v1
	v_ashrrev_i32_e32 v1, 31, v1
	v_and_b32_e32 v5, exec_lo, v5
	v_xor_b32_e32 v35, vcc_hi, v1
	v_xor_b32_e32 v1, vcc_lo, v1
	v_and_b32_e32 v5, v5, v1
	v_lshlrev_b32_e32 v1, 29, v4
	v_cmp_gt_i64_e32 vcc, 0, v[0:1]
	v_not_b32_e32 v1, v1
	v_ashrrev_i32_e32 v1, 31, v1
	v_and_b32_e32 v32, v32, v35
	v_xor_b32_e32 v35, vcc_hi, v1
	v_xor_b32_e32 v1, vcc_lo, v1
	v_and_b32_e32 v5, v5, v1
	v_lshlrev_b32_e32 v1, 28, v4
	v_cmp_gt_i64_e32 vcc, 0, v[0:1]
	v_not_b32_e32 v1, v1
	v_ashrrev_i32_e32 v1, 31, v1
	v_and_b32_e32 v32, v32, v35
	;; [unrolled: 8-line block ×5, first 2 shown]
	v_xor_b32_e32 v35, vcc_hi, v1
	v_xor_b32_e32 v1, vcc_lo, v1
	v_and_b32_e32 v32, v32, v35
	v_and_b32_e32 v35, v5, v1
	v_lshlrev_b32_e32 v1, 24, v4
	v_cmp_gt_i64_e32 vcc, 0, v[0:1]
	v_not_b32_e32 v1, v1
	v_ashrrev_i32_e32 v1, 31, v1
	v_xor_b32_e32 v4, vcc_hi, v1
	v_xor_b32_e32 v1, vcc_lo, v1
	; wave barrier
	ds_read_b32 v29, v30 offset:16
	v_and_b32_e32 v5, v32, v4
	v_and_b32_e32 v4, v35, v1
	v_mbcnt_lo_u32_b32 v1, v4, 0
	v_mbcnt_hi_u32_b32 v32, v5, v1
	v_cmp_eq_u32_e32 vcc, 0, v32
	v_cmp_ne_u64_e64 s[0:1], 0, v[4:5]
	s_and_b64 s[4:5], s[0:1], vcc
	; wave barrier
	s_and_saveexec_b64 s[0:1], s[4:5]
	s_cbranch_execz .LBB191_140
; %bb.139:
	v_bcnt_u32_b32 v1, v4, 0
	v_bcnt_u32_b32 v1, v5, v1
	s_waitcnt lgkmcnt(0)
	v_add_u32_e32 v1, v29, v1
	ds_write_b32 v30, v1 offset:16
.LBB191_140:
	s_or_b64 exec, exec, s[0:1]
	s_waitcnt vmcnt(6)
	v_cmp_gt_i16_e32 vcc, 0, v31
	v_cndmask_b32_e64 v1, v34, 0, vcc
	v_xor_b32_e32 v31, v1, v31
	v_cmp_ne_u16_e32 vcc, s2, v31
	v_cndmask_b32_e32 v1, v34, v31, vcc
	v_lshrrev_b32_sdwa v1, s68, v1 dst_sel:DWORD dst_unused:UNUSED_PAD src0_sel:DWORD src1_sel:WORD_0
	v_and_b32_e32 v4, s9, v1
	v_mul_u32_u24_e32 v1, 5, v4
	v_add_lshl_u32 v35, v18, v1, 2
	v_and_b32_e32 v1, 1, v4
	v_add_co_u32_e32 v5, vcc, -1, v1
	v_addc_co_u32_e64 v37, s[0:1], 0, -1, vcc
	v_cmp_ne_u32_e32 vcc, 0, v1
	v_xor_b32_e32 v1, vcc_hi, v37
	v_and_b32_e32 v37, exec_hi, v1
	v_lshlrev_b32_e32 v1, 30, v4
	v_xor_b32_e32 v5, vcc_lo, v5
	v_cmp_gt_i64_e32 vcc, 0, v[0:1]
	v_not_b32_e32 v1, v1
	v_ashrrev_i32_e32 v1, 31, v1
	v_and_b32_e32 v5, exec_lo, v5
	v_xor_b32_e32 v39, vcc_hi, v1
	v_xor_b32_e32 v1, vcc_lo, v1
	v_and_b32_e32 v5, v5, v1
	v_lshlrev_b32_e32 v1, 29, v4
	v_cmp_gt_i64_e32 vcc, 0, v[0:1]
	v_not_b32_e32 v1, v1
	v_ashrrev_i32_e32 v1, 31, v1
	v_and_b32_e32 v37, v37, v39
	v_xor_b32_e32 v39, vcc_hi, v1
	v_xor_b32_e32 v1, vcc_lo, v1
	v_and_b32_e32 v5, v5, v1
	v_lshlrev_b32_e32 v1, 28, v4
	v_cmp_gt_i64_e32 vcc, 0, v[0:1]
	v_not_b32_e32 v1, v1
	v_ashrrev_i32_e32 v1, 31, v1
	v_and_b32_e32 v37, v37, v39
	;; [unrolled: 8-line block ×5, first 2 shown]
	v_xor_b32_e32 v39, vcc_hi, v1
	v_xor_b32_e32 v1, vcc_lo, v1
	v_and_b32_e32 v5, v5, v1
	v_lshlrev_b32_e32 v1, 24, v4
	v_cmp_gt_i64_e32 vcc, 0, v[0:1]
	v_not_b32_e32 v0, v1
	v_ashrrev_i32_e32 v0, 31, v0
	v_xor_b32_e32 v1, vcc_hi, v0
	v_xor_b32_e32 v0, vcc_lo, v0
	; wave barrier
	ds_read_b32 v34, v35 offset:16
	v_and_b32_e32 v37, v37, v39
	v_and_b32_e32 v0, v5, v0
	;; [unrolled: 1-line block ×3, first 2 shown]
	v_mbcnt_lo_u32_b32 v4, v0, 0
	v_mbcnt_hi_u32_b32 v37, v1, v4
	v_cmp_eq_u32_e32 vcc, 0, v37
	v_cmp_ne_u64_e64 s[0:1], 0, v[0:1]
	s_and_b64 s[2:3], s[0:1], vcc
	; wave barrier
	s_and_saveexec_b64 s[0:1], s[2:3]
	s_cbranch_execz .LBB191_142
; %bb.141:
	v_bcnt_u32_b32 v0, v0, 0
	v_bcnt_u32_b32 v0, v1, v0
	s_waitcnt lgkmcnt(0)
	v_add_u32_e32 v0, v34, v0
	ds_write_b32 v35, v0 offset:16
.LBB191_142:
	s_or_b64 exec, exec, s[0:1]
	v_mov_b32_e32 v42, 0x7fff
	s_waitcnt vmcnt(5)
	v_cmp_gt_i16_e32 vcc, 0, v36
	v_cndmask_b32_e64 v1, v42, 0, vcc
	v_xor_b32_e32 v36, v1, v36
	s_movk_i32 s2, 0x8000
	v_cmp_ne_u16_e32 vcc, s2, v36
	v_cndmask_b32_e32 v1, v42, v36, vcc
	v_lshrrev_b32_sdwa v1, s68, v1 dst_sel:DWORD dst_unused:UNUSED_PAD src0_sel:DWORD src1_sel:WORD_0
	v_and_b32_e32 v4, s9, v1
	v_mul_u32_u24_e32 v1, 5, v4
	v_add_lshl_u32 v40, v18, v1, 2
	v_and_b32_e32 v1, 1, v4
	v_add_co_u32_e32 v5, vcc, -1, v1
	v_addc_co_u32_e64 v41, s[0:1], 0, -1, vcc
	v_cmp_ne_u32_e32 vcc, 0, v1
	v_xor_b32_e32 v1, vcc_hi, v41
	v_mov_b32_e32 v0, 0
	v_and_b32_e32 v41, exec_hi, v1
	v_lshlrev_b32_e32 v1, 30, v4
	v_xor_b32_e32 v5, vcc_lo, v5
	v_cmp_gt_i64_e32 vcc, 0, v[0:1]
	v_not_b32_e32 v1, v1
	v_ashrrev_i32_e32 v1, 31, v1
	v_and_b32_e32 v5, exec_lo, v5
	v_xor_b32_e32 v43, vcc_hi, v1
	v_xor_b32_e32 v1, vcc_lo, v1
	v_and_b32_e32 v5, v5, v1
	v_lshlrev_b32_e32 v1, 29, v4
	v_cmp_gt_i64_e32 vcc, 0, v[0:1]
	v_not_b32_e32 v1, v1
	v_ashrrev_i32_e32 v1, 31, v1
	v_and_b32_e32 v41, v41, v43
	v_xor_b32_e32 v43, vcc_hi, v1
	v_xor_b32_e32 v1, vcc_lo, v1
	v_and_b32_e32 v5, v5, v1
	v_lshlrev_b32_e32 v1, 28, v4
	v_cmp_gt_i64_e32 vcc, 0, v[0:1]
	v_not_b32_e32 v1, v1
	v_ashrrev_i32_e32 v1, 31, v1
	v_and_b32_e32 v41, v41, v43
	;; [unrolled: 8-line block ×5, first 2 shown]
	v_xor_b32_e32 v43, vcc_hi, v1
	v_xor_b32_e32 v1, vcc_lo, v1
	v_and_b32_e32 v41, v41, v43
	v_and_b32_e32 v43, v5, v1
	v_lshlrev_b32_e32 v1, 24, v4
	v_cmp_gt_i64_e32 vcc, 0, v[0:1]
	v_not_b32_e32 v1, v1
	v_ashrrev_i32_e32 v1, 31, v1
	v_xor_b32_e32 v4, vcc_hi, v1
	v_xor_b32_e32 v1, vcc_lo, v1
	; wave barrier
	ds_read_b32 v39, v40 offset:16
	v_and_b32_e32 v5, v41, v4
	v_and_b32_e32 v4, v43, v1
	v_mbcnt_lo_u32_b32 v1, v4, 0
	v_mbcnt_hi_u32_b32 v41, v5, v1
	v_cmp_eq_u32_e32 vcc, 0, v41
	v_cmp_ne_u64_e64 s[0:1], 0, v[4:5]
	s_and_b64 s[4:5], s[0:1], vcc
	; wave barrier
	s_and_saveexec_b64 s[0:1], s[4:5]
	s_cbranch_execz .LBB191_144
; %bb.143:
	v_bcnt_u32_b32 v1, v4, 0
	v_bcnt_u32_b32 v1, v5, v1
	s_waitcnt lgkmcnt(0)
	v_add_u32_e32 v1, v39, v1
	ds_write_b32 v40, v1 offset:16
.LBB191_144:
	s_or_b64 exec, exec, s[0:1]
	s_waitcnt vmcnt(4)
	v_cmp_gt_i16_e32 vcc, 0, v38
	v_cndmask_b32_e64 v1, v42, 0, vcc
	v_xor_b32_e32 v38, v1, v38
	v_cmp_ne_u16_e32 vcc, s2, v38
	v_cndmask_b32_e32 v1, v42, v38, vcc
	v_lshrrev_b32_sdwa v1, s68, v1 dst_sel:DWORD dst_unused:UNUSED_PAD src0_sel:DWORD src1_sel:WORD_0
	v_and_b32_e32 v4, s9, v1
	v_mul_u32_u24_e32 v1, 5, v4
	v_add_lshl_u32 v43, v18, v1, 2
	v_and_b32_e32 v1, 1, v4
	v_add_co_u32_e32 v5, vcc, -1, v1
	v_addc_co_u32_e64 v44, s[0:1], 0, -1, vcc
	v_cmp_ne_u32_e32 vcc, 0, v1
	v_xor_b32_e32 v1, vcc_hi, v44
	v_and_b32_e32 v44, exec_hi, v1
	v_lshlrev_b32_e32 v1, 30, v4
	v_xor_b32_e32 v5, vcc_lo, v5
	v_cmp_gt_i64_e32 vcc, 0, v[0:1]
	v_not_b32_e32 v1, v1
	v_ashrrev_i32_e32 v1, 31, v1
	v_and_b32_e32 v5, exec_lo, v5
	v_xor_b32_e32 v45, vcc_hi, v1
	v_xor_b32_e32 v1, vcc_lo, v1
	v_and_b32_e32 v5, v5, v1
	v_lshlrev_b32_e32 v1, 29, v4
	v_cmp_gt_i64_e32 vcc, 0, v[0:1]
	v_not_b32_e32 v1, v1
	v_ashrrev_i32_e32 v1, 31, v1
	v_and_b32_e32 v44, v44, v45
	v_xor_b32_e32 v45, vcc_hi, v1
	v_xor_b32_e32 v1, vcc_lo, v1
	v_and_b32_e32 v5, v5, v1
	v_lshlrev_b32_e32 v1, 28, v4
	v_cmp_gt_i64_e32 vcc, 0, v[0:1]
	v_not_b32_e32 v1, v1
	v_ashrrev_i32_e32 v1, 31, v1
	v_and_b32_e32 v44, v44, v45
	;; [unrolled: 8-line block ×5, first 2 shown]
	v_xor_b32_e32 v45, vcc_hi, v1
	v_xor_b32_e32 v1, vcc_lo, v1
	v_and_b32_e32 v5, v5, v1
	v_lshlrev_b32_e32 v1, 24, v4
	v_cmp_gt_i64_e32 vcc, 0, v[0:1]
	v_not_b32_e32 v0, v1
	v_ashrrev_i32_e32 v0, 31, v0
	v_xor_b32_e32 v1, vcc_hi, v0
	v_xor_b32_e32 v0, vcc_lo, v0
	; wave barrier
	ds_read_b32 v42, v43 offset:16
	v_and_b32_e32 v44, v44, v45
	v_and_b32_e32 v0, v5, v0
	;; [unrolled: 1-line block ×3, first 2 shown]
	v_mbcnt_lo_u32_b32 v4, v0, 0
	v_mbcnt_hi_u32_b32 v44, v1, v4
	v_cmp_eq_u32_e32 vcc, 0, v44
	v_cmp_ne_u64_e64 s[0:1], 0, v[0:1]
	s_and_b64 s[2:3], s[0:1], vcc
	; wave barrier
	s_and_saveexec_b64 s[0:1], s[2:3]
	s_cbranch_execz .LBB191_146
; %bb.145:
	v_bcnt_u32_b32 v0, v0, 0
	v_bcnt_u32_b32 v0, v1, v0
	s_waitcnt lgkmcnt(0)
	v_add_u32_e32 v0, v42, v0
	ds_write_b32 v43, v0 offset:16
.LBB191_146:
	s_or_b64 exec, exec, s[0:1]
	v_mov_b32_e32 v49, 0x7fff
	s_waitcnt vmcnt(3)
	v_cmp_gt_i16_e32 vcc, 0, v33
	v_cndmask_b32_e64 v1, v49, 0, vcc
	v_xor_b32_e32 v33, v1, v33
	s_movk_i32 s2, 0x8000
	v_cmp_ne_u16_e32 vcc, s2, v33
	v_cndmask_b32_e32 v1, v49, v33, vcc
	v_lshrrev_b32_sdwa v1, s68, v1 dst_sel:DWORD dst_unused:UNUSED_PAD src0_sel:DWORD src1_sel:WORD_0
	v_and_b32_e32 v4, s9, v1
	v_mul_u32_u24_e32 v1, 5, v4
	v_add_lshl_u32 v46, v18, v1, 2
	v_and_b32_e32 v1, 1, v4
	v_add_co_u32_e32 v5, vcc, -1, v1
	v_addc_co_u32_e64 v47, s[0:1], 0, -1, vcc
	v_cmp_ne_u32_e32 vcc, 0, v1
	v_xor_b32_e32 v1, vcc_hi, v47
	v_mov_b32_e32 v0, 0
	v_and_b32_e32 v47, exec_hi, v1
	v_lshlrev_b32_e32 v1, 30, v4
	v_xor_b32_e32 v5, vcc_lo, v5
	v_cmp_gt_i64_e32 vcc, 0, v[0:1]
	v_not_b32_e32 v1, v1
	v_ashrrev_i32_e32 v1, 31, v1
	v_and_b32_e32 v5, exec_lo, v5
	v_xor_b32_e32 v48, vcc_hi, v1
	v_xor_b32_e32 v1, vcc_lo, v1
	v_and_b32_e32 v5, v5, v1
	v_lshlrev_b32_e32 v1, 29, v4
	v_cmp_gt_i64_e32 vcc, 0, v[0:1]
	v_not_b32_e32 v1, v1
	v_ashrrev_i32_e32 v1, 31, v1
	v_and_b32_e32 v47, v47, v48
	v_xor_b32_e32 v48, vcc_hi, v1
	v_xor_b32_e32 v1, vcc_lo, v1
	v_and_b32_e32 v5, v5, v1
	v_lshlrev_b32_e32 v1, 28, v4
	v_cmp_gt_i64_e32 vcc, 0, v[0:1]
	v_not_b32_e32 v1, v1
	v_ashrrev_i32_e32 v1, 31, v1
	v_and_b32_e32 v47, v47, v48
	;; [unrolled: 8-line block ×5, first 2 shown]
	v_xor_b32_e32 v48, vcc_hi, v1
	v_xor_b32_e32 v1, vcc_lo, v1
	v_and_b32_e32 v47, v47, v48
	v_and_b32_e32 v48, v5, v1
	v_lshlrev_b32_e32 v1, 24, v4
	v_cmp_gt_i64_e32 vcc, 0, v[0:1]
	v_not_b32_e32 v1, v1
	v_ashrrev_i32_e32 v1, 31, v1
	v_xor_b32_e32 v4, vcc_hi, v1
	v_xor_b32_e32 v1, vcc_lo, v1
	; wave barrier
	ds_read_b32 v45, v46 offset:16
	v_and_b32_e32 v5, v47, v4
	v_and_b32_e32 v4, v48, v1
	v_mbcnt_lo_u32_b32 v1, v4, 0
	v_mbcnt_hi_u32_b32 v48, v5, v1
	v_cmp_eq_u32_e32 vcc, 0, v48
	v_cmp_ne_u64_e64 s[0:1], 0, v[4:5]
	s_and_b64 s[4:5], s[0:1], vcc
	; wave barrier
	s_and_saveexec_b64 s[0:1], s[4:5]
	s_cbranch_execz .LBB191_148
; %bb.147:
	v_bcnt_u32_b32 v1, v4, 0
	v_bcnt_u32_b32 v1, v5, v1
	s_waitcnt lgkmcnt(0)
	v_add_u32_e32 v1, v45, v1
	ds_write_b32 v46, v1 offset:16
.LBB191_148:
	s_or_b64 exec, exec, s[0:1]
	s_waitcnt vmcnt(2)
	v_cmp_gt_i16_e32 vcc, 0, v28
	v_cndmask_b32_e64 v1, v49, 0, vcc
	v_xor_b32_e32 v47, v1, v28
	v_cmp_ne_u16_e32 vcc, s2, v47
	v_cndmask_b32_e32 v1, v49, v47, vcc
	v_lshrrev_b32_sdwa v1, s68, v1 dst_sel:DWORD dst_unused:UNUSED_PAD src0_sel:DWORD src1_sel:WORD_0
	v_and_b32_e32 v4, s9, v1
	v_mul_u32_u24_e32 v1, 5, v4
	v_add_lshl_u32 v28, v18, v1, 2
	v_and_b32_e32 v1, 1, v4
	v_add_co_u32_e32 v5, vcc, -1, v1
	v_addc_co_u32_e64 v50, s[0:1], 0, -1, vcc
	v_cmp_ne_u32_e32 vcc, 0, v1
	v_xor_b32_e32 v1, vcc_hi, v50
	v_and_b32_e32 v50, exec_hi, v1
	v_lshlrev_b32_e32 v1, 30, v4
	v_xor_b32_e32 v5, vcc_lo, v5
	v_cmp_gt_i64_e32 vcc, 0, v[0:1]
	v_not_b32_e32 v1, v1
	v_ashrrev_i32_e32 v1, 31, v1
	v_and_b32_e32 v5, exec_lo, v5
	v_xor_b32_e32 v51, vcc_hi, v1
	v_xor_b32_e32 v1, vcc_lo, v1
	v_and_b32_e32 v5, v5, v1
	v_lshlrev_b32_e32 v1, 29, v4
	v_cmp_gt_i64_e32 vcc, 0, v[0:1]
	v_not_b32_e32 v1, v1
	v_ashrrev_i32_e32 v1, 31, v1
	v_and_b32_e32 v50, v50, v51
	v_xor_b32_e32 v51, vcc_hi, v1
	v_xor_b32_e32 v1, vcc_lo, v1
	v_and_b32_e32 v5, v5, v1
	v_lshlrev_b32_e32 v1, 28, v4
	v_cmp_gt_i64_e32 vcc, 0, v[0:1]
	v_not_b32_e32 v1, v1
	v_ashrrev_i32_e32 v1, 31, v1
	v_and_b32_e32 v50, v50, v51
	;; [unrolled: 8-line block ×5, first 2 shown]
	v_xor_b32_e32 v51, vcc_hi, v1
	v_xor_b32_e32 v1, vcc_lo, v1
	v_and_b32_e32 v5, v5, v1
	v_lshlrev_b32_e32 v1, 24, v4
	v_cmp_gt_i64_e32 vcc, 0, v[0:1]
	v_not_b32_e32 v0, v1
	v_ashrrev_i32_e32 v0, 31, v0
	v_xor_b32_e32 v1, vcc_hi, v0
	v_xor_b32_e32 v0, vcc_lo, v0
	; wave barrier
	ds_read_b32 v49, v28 offset:16
	v_and_b32_e32 v50, v50, v51
	v_and_b32_e32 v0, v5, v0
	;; [unrolled: 1-line block ×3, first 2 shown]
	v_mbcnt_lo_u32_b32 v4, v0, 0
	v_mbcnt_hi_u32_b32 v51, v1, v4
	v_cmp_eq_u32_e32 vcc, 0, v51
	v_cmp_ne_u64_e64 s[0:1], 0, v[0:1]
	s_and_b64 s[2:3], s[0:1], vcc
	; wave barrier
	s_and_saveexec_b64 s[0:1], s[2:3]
	s_cbranch_execz .LBB191_150
; %bb.149:
	v_bcnt_u32_b32 v0, v0, 0
	v_bcnt_u32_b32 v0, v1, v0
	s_waitcnt lgkmcnt(0)
	v_add_u32_e32 v0, v49, v0
	ds_write_b32 v28, v0 offset:16
.LBB191_150:
	s_or_b64 exec, exec, s[0:1]
	v_mov_b32_e32 v55, 0x7fff
	s_waitcnt vmcnt(1)
	v_cmp_gt_i16_e32 vcc, 0, v23
	v_cndmask_b32_e64 v1, v55, 0, vcc
	v_xor_b32_e32 v50, v1, v23
	s_movk_i32 s2, 0x8000
	v_cmp_ne_u16_e32 vcc, s2, v50
	v_cndmask_b32_e32 v1, v55, v50, vcc
	v_lshrrev_b32_sdwa v1, s68, v1 dst_sel:DWORD dst_unused:UNUSED_PAD src0_sel:DWORD src1_sel:WORD_0
	v_and_b32_e32 v4, s9, v1
	v_mul_u32_u24_e32 v1, 5, v4
	v_add_lshl_u32 v23, v1, v18, 2
	v_and_b32_e32 v1, 1, v4
	v_add_co_u32_e32 v5, vcc, -1, v1
	v_addc_co_u32_e64 v53, s[0:1], 0, -1, vcc
	v_cmp_ne_u32_e32 vcc, 0, v1
	v_xor_b32_e32 v1, vcc_hi, v53
	v_mov_b32_e32 v0, 0
	v_and_b32_e32 v53, exec_hi, v1
	v_lshlrev_b32_e32 v1, 30, v4
	v_xor_b32_e32 v5, vcc_lo, v5
	v_cmp_gt_i64_e32 vcc, 0, v[0:1]
	v_not_b32_e32 v1, v1
	v_ashrrev_i32_e32 v1, 31, v1
	v_and_b32_e32 v5, exec_lo, v5
	v_xor_b32_e32 v54, vcc_hi, v1
	v_xor_b32_e32 v1, vcc_lo, v1
	v_and_b32_e32 v5, v5, v1
	v_lshlrev_b32_e32 v1, 29, v4
	v_cmp_gt_i64_e32 vcc, 0, v[0:1]
	v_not_b32_e32 v1, v1
	v_ashrrev_i32_e32 v1, 31, v1
	v_and_b32_e32 v53, v53, v54
	v_xor_b32_e32 v54, vcc_hi, v1
	v_xor_b32_e32 v1, vcc_lo, v1
	v_and_b32_e32 v5, v5, v1
	v_lshlrev_b32_e32 v1, 28, v4
	v_cmp_gt_i64_e32 vcc, 0, v[0:1]
	v_not_b32_e32 v1, v1
	v_ashrrev_i32_e32 v1, 31, v1
	v_and_b32_e32 v53, v53, v54
	;; [unrolled: 8-line block ×5, first 2 shown]
	v_xor_b32_e32 v54, vcc_hi, v1
	v_xor_b32_e32 v1, vcc_lo, v1
	v_and_b32_e32 v53, v53, v54
	v_and_b32_e32 v54, v5, v1
	v_lshlrev_b32_e32 v1, 24, v4
	v_cmp_gt_i64_e32 vcc, 0, v[0:1]
	v_not_b32_e32 v1, v1
	v_ashrrev_i32_e32 v1, 31, v1
	v_xor_b32_e32 v4, vcc_hi, v1
	v_xor_b32_e32 v1, vcc_lo, v1
	; wave barrier
	ds_read_b32 v52, v23 offset:16
	v_and_b32_e32 v5, v53, v4
	v_and_b32_e32 v4, v54, v1
	v_mbcnt_lo_u32_b32 v1, v4, 0
	v_mbcnt_hi_u32_b32 v54, v5, v1
	v_cmp_eq_u32_e32 vcc, 0, v54
	v_cmp_ne_u64_e64 s[0:1], 0, v[4:5]
	s_and_b64 s[4:5], s[0:1], vcc
	; wave barrier
	s_and_saveexec_b64 s[0:1], s[4:5]
	s_cbranch_execz .LBB191_152
; %bb.151:
	v_bcnt_u32_b32 v1, v4, 0
	v_bcnt_u32_b32 v1, v5, v1
	s_waitcnt lgkmcnt(0)
	v_add_u32_e32 v1, v52, v1
	ds_write_b32 v23, v1 offset:16
.LBB191_152:
	s_or_b64 exec, exec, s[0:1]
	s_waitcnt vmcnt(0)
	v_cmp_gt_i16_e32 vcc, 0, v17
	v_cndmask_b32_e64 v1, v55, 0, vcc
	v_xor_b32_e32 v53, v1, v17
	v_cmp_ne_u16_e32 vcc, s2, v53
	v_cndmask_b32_e32 v1, v55, v53, vcc
	v_lshrrev_b32_sdwa v1, s68, v1 dst_sel:DWORD dst_unused:UNUSED_PAD src0_sel:DWORD src1_sel:WORD_0
	v_and_b32_e32 v4, s9, v1
	v_mul_u32_u24_e32 v1, 5, v4
	v_add_lshl_u32 v17, v1, v18, 2
	v_and_b32_e32 v1, 1, v4
	v_add_co_u32_e32 v5, vcc, -1, v1
	v_addc_co_u32_e64 v18, s[0:1], 0, -1, vcc
	v_cmp_ne_u32_e32 vcc, 0, v1
	v_xor_b32_e32 v1, vcc_hi, v18
	v_and_b32_e32 v18, exec_hi, v1
	v_lshlrev_b32_e32 v1, 30, v4
	v_xor_b32_e32 v5, vcc_lo, v5
	v_cmp_gt_i64_e32 vcc, 0, v[0:1]
	v_not_b32_e32 v1, v1
	v_ashrrev_i32_e32 v1, 31, v1
	v_and_b32_e32 v5, exec_lo, v5
	v_xor_b32_e32 v57, vcc_hi, v1
	v_xor_b32_e32 v1, vcc_lo, v1
	v_and_b32_e32 v5, v5, v1
	v_lshlrev_b32_e32 v1, 29, v4
	v_cmp_gt_i64_e32 vcc, 0, v[0:1]
	v_not_b32_e32 v1, v1
	v_ashrrev_i32_e32 v1, 31, v1
	v_and_b32_e32 v18, v18, v57
	v_xor_b32_e32 v57, vcc_hi, v1
	v_xor_b32_e32 v1, vcc_lo, v1
	v_and_b32_e32 v5, v5, v1
	v_lshlrev_b32_e32 v1, 28, v4
	v_cmp_gt_i64_e32 vcc, 0, v[0:1]
	v_not_b32_e32 v1, v1
	v_ashrrev_i32_e32 v1, 31, v1
	v_and_b32_e32 v18, v18, v57
	;; [unrolled: 8-line block ×5, first 2 shown]
	v_xor_b32_e32 v57, vcc_hi, v1
	v_xor_b32_e32 v1, vcc_lo, v1
	v_and_b32_e32 v5, v5, v1
	v_lshlrev_b32_e32 v1, 24, v4
	v_cmp_gt_i64_e32 vcc, 0, v[0:1]
	v_not_b32_e32 v0, v1
	v_ashrrev_i32_e32 v0, 31, v0
	v_xor_b32_e32 v1, vcc_hi, v0
	v_xor_b32_e32 v0, vcc_lo, v0
	; wave barrier
	ds_read_b32 v55, v17 offset:16
	v_and_b32_e32 v18, v18, v57
	v_and_b32_e32 v0, v5, v0
	;; [unrolled: 1-line block ×3, first 2 shown]
	v_mbcnt_lo_u32_b32 v4, v0, 0
	v_mbcnt_hi_u32_b32 v57, v1, v4
	v_cmp_eq_u32_e32 vcc, 0, v57
	v_cmp_ne_u64_e64 s[0:1], 0, v[0:1]
	v_add_u32_e32 v56, 16, v7
	s_and_b64 s[2:3], s[0:1], vcc
	; wave barrier
	s_and_saveexec_b64 s[0:1], s[2:3]
	s_cbranch_execz .LBB191_154
; %bb.153:
	v_bcnt_u32_b32 v0, v0, 0
	v_bcnt_u32_b32 v0, v1, v0
	s_waitcnt lgkmcnt(0)
	v_add_u32_e32 v0, v55, v0
	ds_write_b32 v17, v0 offset:16
.LBB191_154:
	s_or_b64 exec, exec, s[0:1]
	; wave barrier
	s_waitcnt lgkmcnt(0)
	s_barrier
	ds_read2_b32 v[4:5], v7 offset0:4 offset1:5
	ds_read2_b32 v[0:1], v56 offset0:2 offset1:3
	ds_read_b32 v18, v56 offset:16
	v_min_u32_e32 v8, 0xc0, v8
	v_or_b32_e32 v8, 63, v8
	s_waitcnt lgkmcnt(1)
	v_add3_u32 v58, v5, v4, v0
	s_waitcnt lgkmcnt(0)
	v_add3_u32 v18, v58, v1, v18
	v_and_b32_e32 v58, 15, v10
	v_cmp_ne_u32_e32 vcc, 0, v58
	v_mov_b32_dpp v59, v18 row_shr:1 row_mask:0xf bank_mask:0xf
	v_cndmask_b32_e32 v59, 0, v59, vcc
	v_add_u32_e32 v18, v59, v18
	v_cmp_lt_u32_e32 vcc, 1, v58
	s_nop 0
	v_mov_b32_dpp v59, v18 row_shr:2 row_mask:0xf bank_mask:0xf
	v_cndmask_b32_e32 v59, 0, v59, vcc
	v_add_u32_e32 v18, v18, v59
	v_cmp_lt_u32_e32 vcc, 3, v58
	s_nop 0
	;; [unrolled: 5-line block ×3, first 2 shown]
	v_mov_b32_dpp v59, v18 row_shr:8 row_mask:0xf bank_mask:0xf
	v_cndmask_b32_e32 v58, 0, v59, vcc
	v_add_u32_e32 v18, v18, v58
	v_bfe_i32 v59, v10, 4, 1
	v_cmp_lt_u32_e32 vcc, 31, v10
	v_mov_b32_dpp v58, v18 row_bcast:15 row_mask:0xf bank_mask:0xf
	v_and_b32_e32 v58, v59, v58
	v_add_u32_e32 v18, v18, v58
	s_nop 1
	v_mov_b32_dpp v58, v18 row_bcast:31 row_mask:0xf bank_mask:0xf
	v_cndmask_b32_e32 v58, 0, v58, vcc
	v_add_u32_e32 v18, v18, v58
	v_lshrrev_b32_e32 v58, 6, v2
	v_cmp_eq_u32_e32 vcc, v8, v2
	s_and_saveexec_b64 s[0:1], vcc
	s_cbranch_execz .LBB191_156
; %bb.155:
	v_lshlrev_b32_e32 v8, 2, v58
	ds_write_b32 v8, v18
.LBB191_156:
	s_or_b64 exec, exec, s[0:1]
	v_cmp_gt_u32_e32 vcc, 4, v2
	s_waitcnt lgkmcnt(0)
	s_barrier
	s_and_saveexec_b64 s[0:1], vcc
	s_cbranch_execz .LBB191_158
; %bb.157:
	v_lshlrev_b32_e32 v8, 2, v2
	ds_read_b32 v59, v8
	v_and_b32_e32 v60, 3, v10
	v_cmp_ne_u32_e32 vcc, 0, v60
	s_waitcnt lgkmcnt(0)
	v_mov_b32_dpp v61, v59 row_shr:1 row_mask:0xf bank_mask:0xf
	v_cndmask_b32_e32 v61, 0, v61, vcc
	v_add_u32_e32 v59, v61, v59
	v_cmp_lt_u32_e32 vcc, 1, v60
	s_nop 0
	v_mov_b32_dpp v61, v59 row_shr:2 row_mask:0xf bank_mask:0xf
	v_cndmask_b32_e32 v60, 0, v61, vcc
	v_add_u32_e32 v59, v59, v60
	ds_write_b32 v8, v59
.LBB191_158:
	s_or_b64 exec, exec, s[0:1]
	v_cmp_lt_u32_e32 vcc, 63, v2
	v_mov_b32_e32 v8, 0
	s_waitcnt lgkmcnt(0)
	s_barrier
	s_and_saveexec_b64 s[0:1], vcc
	s_cbranch_execz .LBB191_160
; %bb.159:
	v_lshl_add_u32 v8, v58, 2, -4
	ds_read_b32 v8, v8
.LBB191_160:
	s_or_b64 exec, exec, s[0:1]
	v_add_u32_e32 v58, -1, v10
	v_and_b32_e32 v59, 64, v10
	v_cmp_lt_i32_e32 vcc, v58, v59
	v_cndmask_b32_e32 v58, v58, v10, vcc
	s_waitcnt lgkmcnt(0)
	v_add_u32_e32 v18, v8, v18
	v_lshlrev_b32_e32 v58, 2, v58
	ds_bpermute_b32 v18, v58, v18
	v_cmp_eq_u32_e32 vcc, 0, v10
	s_movk_i32 s0, 0x100
	s_waitcnt lgkmcnt(0)
	v_cndmask_b32_e32 v8, v18, v8, vcc
	v_cmp_ne_u32_e32 vcc, 0, v2
	v_cndmask_b32_e32 v8, 0, v8, vcc
	v_add_u32_e32 v4, v8, v4
	v_add_u32_e32 v5, v4, v5
	;; [unrolled: 1-line block ×4, first 2 shown]
	ds_write2_b32 v7, v8, v4 offset0:4 offset1:5
	ds_write2_b32 v56, v5, v0 offset0:2 offset1:3
	ds_write_b32 v56, v1 offset:16
	s_waitcnt lgkmcnt(0)
	s_barrier
	ds_read_b32 v1, v14 offset:16
	ds_read_b32 v5, v20 offset:16
	;; [unrolled: 1-line block ×13, first 2 shown]
	v_add_u32_e32 v7, 1, v2
	v_cmp_ne_u32_e32 vcc, s0, v7
	v_mov_b32_e32 v0, 0xc00
	s_and_saveexec_b64 s[0:1], vcc
	s_cbranch_execz .LBB191_162
; %bb.161:
	v_mul_u32_u24_e32 v0, 5, v7
	v_lshlrev_b32_e32 v0, 2, v0
	ds_read_b32 v0, v0 offset:16
.LBB191_162:
	s_or_b64 exec, exec, s[0:1]
	s_waitcnt lgkmcnt(1)
	v_add_u32_e32 v28, v9, v11
	v_add3_u32 v25, v15, v13, v1
	v_lshlrev_b32_e32 v1, 1, v28
	v_add3_u32 v23, v22, v19, v5
	s_waitcnt lgkmcnt(0)
	s_barrier
	ds_write_b16 v1, v6 offset:2048
	v_lshlrev_b32_e32 v1, 1, v25
	v_add3_u32 v22, v26, v24, v8
	ds_write_b16 v1, v12 offset:2048
	v_lshlrev_b32_e32 v1, 1, v23
	v_add3_u32 v20, v32, v29, v14
	;; [unrolled: 3-line block ×9, first 2 shown]
	ds_write_b16 v1, v47 offset:2048
	v_lshlrev_b32_e32 v1, 1, v13
	ds_write_b16 v1, v50 offset:2048
	v_lshlrev_b32_e32 v1, 1, v11
	ds_write_b16 v1, v53 offset:2048
	v_sub_u32_e32 v32, v0, v4
	v_lshl_add_u32 v0, s6, 8, v2
	v_mov_b32_e32 v1, 0
	v_lshlrev_b64 v[6:7], 2, v[0:1]
	v_mov_b32_e32 v12, s73
	v_add_co_u32_e32 v6, vcc, s72, v6
	v_addc_co_u32_e32 v7, vcc, v12, v7, vcc
	v_or_b32_e32 v0, 2.0, v32
	s_mov_b64 s[0:1], 0
	s_brev_b32 s10, 1
	v_mov_b32_e32 v5, 0
	s_waitcnt lgkmcnt(0)
	s_barrier
	global_store_dword v[6:7], v0, off
                                        ; implicit-def: $sgpr2_sgpr3
	s_branch .LBB191_165
.LBB191_163:                            ;   in Loop: Header=BB191_165 Depth=1
	s_or_b64 exec, exec, s[4:5]
.LBB191_164:                            ;   in Loop: Header=BB191_165 Depth=1
	s_or_b64 exec, exec, s[2:3]
	v_and_b32_e32 v8, 0x3fffffff, v16
	v_add_u32_e32 v5, v8, v5
	v_cmp_eq_u32_e64 s[2:3], s10, v0
	s_and_b64 s[4:5], exec, s[2:3]
	s_or_b64 s[0:1], s[4:5], s[0:1]
	s_andn2_b64 exec, exec, s[0:1]
	s_cbranch_execz .LBB191_170
.LBB191_165:                            ; =>This Loop Header: Depth=1
                                        ;     Child Loop BB191_168 Depth 2
	s_or_b64 s[2:3], s[2:3], exec
	s_cmp_eq_u32 s7, 0
	s_cbranch_scc1 .LBB191_169
; %bb.166:                              ;   in Loop: Header=BB191_165 Depth=1
	s_add_i32 s7, s7, -1
	v_lshl_add_u32 v0, s7, 8, v2
	v_lshlrev_b64 v[8:9], 2, v[0:1]
	v_add_co_u32_e32 v8, vcc, s72, v8
	v_addc_co_u32_e32 v9, vcc, v12, v9, vcc
	global_load_dword v16, v[8:9], off glc
	s_waitcnt vmcnt(0)
	v_and_b32_e32 v0, -2.0, v16
	v_cmp_eq_u32_e32 vcc, 0, v0
	s_and_saveexec_b64 s[2:3], vcc
	s_cbranch_execz .LBB191_164
; %bb.167:                              ;   in Loop: Header=BB191_165 Depth=1
	s_mov_b64 s[4:5], 0
.LBB191_168:                            ;   Parent Loop BB191_165 Depth=1
                                        ; =>  This Inner Loop Header: Depth=2
	global_load_dword v16, v[8:9], off glc
	s_waitcnt vmcnt(0)
	v_and_b32_e32 v0, -2.0, v16
	v_cmp_ne_u32_e32 vcc, 0, v0
	s_or_b64 s[4:5], vcc, s[4:5]
	s_andn2_b64 exec, exec, s[4:5]
	s_cbranch_execnz .LBB191_168
	s_branch .LBB191_163
.LBB191_169:                            ;   in Loop: Header=BB191_165 Depth=1
                                        ; implicit-def: $sgpr7
	s_and_b64 s[4:5], exec, s[2:3]
	s_or_b64 s[0:1], s[4:5], s[0:1]
	s_andn2_b64 exec, exec, s[0:1]
	s_cbranch_execnz .LBB191_165
.LBB191_170:
	s_or_b64 exec, exec, s[0:1]
	v_add_u32_e32 v0, v5, v32
	v_or_b32_e32 v0, 0x80000000, v0
	global_store_dword v[6:7], v0, off
	v_lshlrev_b32_e32 v33, 3, v2
	global_load_dwordx2 v[0:1], v33, s[64:65]
	v_sub_co_u32_e32 v5, vcc, v5, v4
	v_subb_co_u32_e64 v6, s[0:1], 0, 0, vcc
	s_movk_i32 s0, 0x8000
	v_mad_i32_i24 v8, v2, -6, v33
	v_mov_b32_e32 v12, 0x7fff
	v_lshlrev_b32_e32 v16, 1, v2
	v_mov_b32_e32 v7, s59
	v_mov_b32_e32 v21, s59
	;; [unrolled: 1-line block ×4, first 2 shown]
	v_add_u32_e32 v56, 0x900, v2
	v_add_u32_e32 v60, 0xa00, v2
	;; [unrolled: 1-line block ×3, first 2 shown]
	v_lshlrev_b32_e32 v3, 3, v3
	s_waitcnt vmcnt(0)
	v_add_co_u32_e32 v0, vcc, v5, v0
	v_addc_co_u32_e32 v1, vcc, v6, v1, vcc
	ds_write_b64 v33, v[0:1]
	s_waitcnt lgkmcnt(0)
	s_barrier
	ds_read_u16 v0, v8 offset:2048
	ds_read_u16 v1, v16 offset:2560
	;; [unrolled: 1-line block ×7, first 2 shown]
	s_waitcnt lgkmcnt(6)
	v_cmp_ne_u16_e32 vcc, s0, v0
	v_cndmask_b32_e32 v6, v12, v0, vcc
	v_cmp_gt_i16_e32 vcc, 0, v0
	v_cndmask_b32_e64 v8, v12, 0, vcc
	s_waitcnt lgkmcnt(5)
	v_cmp_ne_u16_e32 vcc, s0, v1
	v_cndmask_b32_e32 v9, v12, v1, vcc
	v_cmp_gt_i16_e32 vcc, 0, v1
	v_cndmask_b32_e64 v26, v12, 0, vcc
	s_waitcnt lgkmcnt(4)
	v_cmp_ne_u16_e32 vcc, s0, v5
	v_cndmask_b32_e32 v27, v12, v5, vcc
	v_lshrrev_b32_sdwa v6, s68, v6 dst_sel:DWORD dst_unused:UNUSED_PAD src0_sel:DWORD src1_sel:WORD_0
	v_cmp_gt_i16_e32 vcc, 0, v5
	v_xor_b32_e32 v8, v8, v0
	v_lshrrev_b32_sdwa v0, s68, v9 dst_sel:DWORD dst_unused:UNUSED_PAD src0_sel:DWORD src1_sel:WORD_0
	v_xor_b32_e32 v37, v26, v1
	v_lshrrev_b32_sdwa v1, s68, v27 dst_sel:DWORD dst_unused:UNUSED_PAD src0_sel:DWORD src1_sel:WORD_0
	v_and_b32_e32 v6, s9, v6
	v_cndmask_b32_e64 v36, v12, 0, vcc
	v_and_b32_e32 v0, s9, v0
	v_and_b32_e32 v1, s9, v1
	v_lshlrev_b32_e32 v50, 3, v6
	v_xor_b32_e32 v5, v36, v5
	v_lshlrev_b32_e32 v51, 3, v0
	v_lshlrev_b32_e32 v52, 3, v1
	ds_read_b64 v[0:1], v50
	ds_read_u16 v6, v16 offset:3072
	ds_read_u16 v36, v16 offset:4096
	ds_read_u16 v38, v16 offset:5120
	ds_read_u16 v39, v16 offset:6144
	ds_read_u16 v40, v16 offset:7168
	s_waitcnt lgkmcnt(4)
	v_cmp_ne_u16_e32 vcc, s0, v6
	v_cndmask_b32_e32 v9, v12, v6, vcc
	v_cmp_gt_i16_e32 vcc, 0, v6
	v_lshlrev_b64 v[0:1], 1, v[0:1]
	v_cndmask_b32_e64 v26, v12, 0, vcc
	s_waitcnt lgkmcnt(3)
	v_cmp_ne_u16_e32 vcc, s0, v36
	v_cndmask_b32_e32 v27, v12, v36, vcc
	v_add_co_u32_e32 v0, vcc, s58, v0
	v_addc_co_u32_e32 v1, vcc, v7, v1, vcc
	v_add_co_u32_e32 v0, vcc, v0, v16
	v_addc_co_u32_e32 v1, vcc, 0, v1, vcc
	global_store_short v[0:1], v8, off
	ds_read_b64 v[0:1], v51
	v_lshrrev_b32_sdwa v7, s68, v9 dst_sel:DWORD dst_unused:UNUSED_PAD src0_sel:DWORD src1_sel:WORD_0
	v_xor_b32_e32 v41, v26, v6
	v_lshrrev_b32_sdwa v6, s68, v27 dst_sel:DWORD dst_unused:UNUSED_PAD src0_sel:DWORD src1_sel:WORD_0
	v_and_b32_e32 v7, s9, v7
	s_waitcnt lgkmcnt(0)
	v_lshlrev_b64 v[0:1], 1, v[0:1]
	v_and_b32_e32 v6, s9, v6
	v_lshlrev_b32_e32 v53, 3, v7
	v_add_co_u32_e32 v0, vcc, s58, v0
	v_lshlrev_b32_e32 v54, 3, v6
	ds_read_b64 v[6:7], v53
	ds_read_b64 v[8:9], v52
	;; [unrolled: 1-line block ×3, first 2 shown]
	v_addc_co_u32_e32 v1, vcc, v21, v1, vcc
	v_add_co_u32_e32 v0, vcc, v0, v16
	v_addc_co_u32_e32 v1, vcc, 0, v1, vcc
	global_store_short v[0:1], v37, off offset:512
	s_waitcnt lgkmcnt(2)
	v_lshlrev_b64 v[0:1], 1, v[6:7]
	v_add_co_u32_e32 v0, vcc, s58, v0
	v_addc_co_u32_e32 v1, vcc, v24, v1, vcc
	v_add_co_u32_e32 v0, vcc, v0, v16
	s_waitcnt lgkmcnt(1)
	v_lshlrev_b64 v[6:7], 1, v[8:9]
	v_addc_co_u32_e32 v1, vcc, 0, v1, vcc
	global_store_short v[0:1], v41, off offset:1024
	v_add_co_u32_e32 v0, vcc, s58, v6
	v_addc_co_u32_e32 v1, vcc, v29, v7, vcc
	v_add_co_u32_e32 v0, vcc, v0, v16
	v_addc_co_u32_e32 v1, vcc, 0, v1, vcc
	v_cmp_gt_i16_e32 vcc, 0, v36
	global_store_short v[0:1], v5, off offset:1536
	v_cndmask_b32_e64 v0, v12, 0, vcc
	v_xor_b32_e32 v5, v0, v36
	s_waitcnt lgkmcnt(0)
	v_lshlrev_b64 v[0:1], 1, v[26:27]
	v_mov_b32_e32 v6, s59
	v_add_co_u32_e32 v0, vcc, s58, v0
	v_addc_co_u32_e32 v1, vcc, v6, v1, vcc
	v_add_co_u32_e32 v0, vcc, v0, v16
	v_addc_co_u32_e32 v1, vcc, 0, v1, vcc
	v_cmp_ne_u16_e32 vcc, s0, v30
	global_store_short v[0:1], v5, off offset:2048
	v_cndmask_b32_e32 v0, v12, v30, vcc
	v_lshrrev_b32_sdwa v0, s68, v0 dst_sel:DWORD dst_unused:UNUSED_PAD src0_sel:DWORD src1_sel:WORD_0
	v_cmp_gt_i16_e32 vcc, 0, v30
	v_and_b32_e32 v0, s9, v0
	v_cndmask_b32_e64 v1, v12, 0, vcc
	v_cmp_ne_u16_e32 vcc, s0, v38
	v_lshlrev_b32_e32 v21, 3, v0
	v_cndmask_b32_e32 v0, v12, v38, vcc
	v_lshrrev_b32_sdwa v0, s68, v0 dst_sel:DWORD dst_unused:UNUSED_PAD src0_sel:DWORD src1_sel:WORD_0
	v_and_b32_e32 v0, s9, v0
	v_cmp_ne_u16_e32 vcc, s0, v31
	v_lshlrev_b32_e32 v24, 3, v0
	v_cndmask_b32_e32 v0, v12, v31, vcc
	v_lshrrev_b32_sdwa v0, s68, v0 dst_sel:DWORD dst_unused:UNUSED_PAD src0_sel:DWORD src1_sel:WORD_0
	v_and_b32_e32 v0, s9, v0
	v_cmp_ne_u16_e32 vcc, s0, v39
	v_lshlrev_b32_e32 v29, 3, v0
	v_cndmask_b32_e32 v0, v12, v39, vcc
	v_lshrrev_b32_sdwa v0, s68, v0 dst_sel:DWORD dst_unused:UNUSED_PAD src0_sel:DWORD src1_sel:WORD_0
	v_xor_b32_e32 v5, v1, v30
	v_and_b32_e32 v6, s9, v0
	ds_read_b64 v[0:1], v21
	v_mov_b32_e32 v30, s59
	v_lshlrev_b32_e32 v55, 3, v6
	ds_read_b64 v[6:7], v24
	ds_read_b64 v[8:9], v29
	;; [unrolled: 1-line block ×3, first 2 shown]
	s_waitcnt lgkmcnt(3)
	v_lshlrev_b64 v[0:1], 1, v[0:1]
	v_add_co_u32_e32 v0, vcc, s58, v0
	v_addc_co_u32_e32 v1, vcc, v30, v1, vcc
	v_add_co_u32_e32 v0, vcc, v0, v16
	v_addc_co_u32_e32 v1, vcc, 0, v1, vcc
	v_cmp_gt_i16_e32 vcc, 0, v38
	global_store_short v[0:1], v5, off offset:2560
	v_cndmask_b32_e64 v0, v12, 0, vcc
	v_xor_b32_e32 v5, v0, v38
	s_waitcnt lgkmcnt(2)
	v_lshlrev_b64 v[0:1], 1, v[6:7]
	v_mov_b32_e32 v6, s59
	v_add_co_u32_e32 v0, vcc, s58, v0
	v_addc_co_u32_e32 v1, vcc, v6, v1, vcc
	v_add_co_u32_e32 v0, vcc, v0, v16
	v_addc_co_u32_e32 v1, vcc, 0, v1, vcc
	v_cmp_gt_i16_e32 vcc, 0, v31
	global_store_short v[0:1], v5, off offset:3072
	v_cndmask_b32_e64 v0, v12, 0, vcc
	v_xor_b32_e32 v5, v0, v31
	s_waitcnt lgkmcnt(1)
	v_lshlrev_b64 v[0:1], 1, v[8:9]
	v_add_co_u32_e32 v0, vcc, s58, v0
	v_addc_co_u32_e32 v1, vcc, v6, v1, vcc
	v_add_co_u32_e32 v0, vcc, v0, v16
	v_addc_co_u32_e32 v1, vcc, 0, v1, vcc
	v_cmp_gt_i16_e32 vcc, 0, v39
	global_store_short v[0:1], v5, off offset:3584
	v_cndmask_b32_e64 v0, v12, 0, vcc
	v_xor_b32_e32 v5, v0, v39
	s_waitcnt lgkmcnt(0)
	v_lshlrev_b64 v[0:1], 1, v[26:27]
	v_or_b32_e32 v16, 0x800, v2
	v_add_co_u32_e32 v0, vcc, s58, v0
	v_addc_co_u32_e32 v1, vcc, v6, v1, vcc
	v_lshlrev_b32_e32 v6, 1, v16
	v_add_co_u32_e32 v0, vcc, v0, v6
	v_addc_co_u32_e32 v1, vcc, 0, v1, vcc
	v_cmp_ne_u16_e32 vcc, s0, v34
	global_store_short v[0:1], v5, off
	v_cndmask_b32_e32 v0, v12, v34, vcc
	v_lshrrev_b32_sdwa v0, s68, v0 dst_sel:DWORD dst_unused:UNUSED_PAD src0_sel:DWORD src1_sel:WORD_0
	v_cmp_gt_i16_e32 vcc, 0, v34
	v_and_b32_e32 v0, s9, v0
	v_cndmask_b32_e64 v1, v12, 0, vcc
	v_cmp_ne_u16_e32 vcc, s0, v40
	v_lshlrev_b32_e32 v57, 3, v0
	v_cndmask_b32_e32 v0, v12, v40, vcc
	v_lshrrev_b32_sdwa v0, s68, v0 dst_sel:DWORD dst_unused:UNUSED_PAD src0_sel:DWORD src1_sel:WORD_0
	v_and_b32_e32 v0, s9, v0
	v_cmp_ne_u16_e32 vcc, s0, v35
	v_lshlrev_b32_e32 v58, 3, v0
	v_cndmask_b32_e32 v0, v12, v35, vcc
	v_xor_b32_e32 v5, v1, v34
	v_lshrrev_b32_sdwa v6, s68, v0 dst_sel:DWORD dst_unused:UNUSED_PAD src0_sel:DWORD src1_sel:WORD_0
	ds_read_b64 v[0:1], v57
	v_mov_b32_e32 v26, s59
	v_and_b32_e32 v6, s9, v6
	v_lshlrev_b32_e32 v59, 3, v6
	ds_read_b64 v[6:7], v58
	ds_read_b64 v[8:9], v59
	s_waitcnt lgkmcnt(2)
	v_lshlrev_b64 v[0:1], 1, v[0:1]
	v_add_co_u32_e32 v0, vcc, s58, v0
	v_addc_co_u32_e32 v1, vcc, v26, v1, vcc
	v_lshlrev_b32_e32 v26, 1, v56
	v_add_co_u32_e32 v0, vcc, v0, v26
	v_addc_co_u32_e32 v1, vcc, 0, v1, vcc
	v_cmp_gt_i16_e32 vcc, 0, v40
	global_store_short v[0:1], v5, off
	v_cndmask_b32_e64 v0, v12, 0, vcc
	v_xor_b32_e32 v5, v0, v40
	s_waitcnt lgkmcnt(1)
	v_lshlrev_b64 v[0:1], 1, v[6:7]
	v_mov_b32_e32 v6, s59
	v_add_co_u32_e32 v0, vcc, s58, v0
	v_addc_co_u32_e32 v1, vcc, v6, v1, vcc
	v_lshlrev_b32_e32 v6, 1, v60
	v_add_co_u32_e32 v0, vcc, v0, v6
	v_addc_co_u32_e32 v1, vcc, 0, v1, vcc
	v_cmp_gt_i16_e32 vcc, 0, v35
	global_store_short v[0:1], v5, off
	v_cndmask_b32_e64 v0, v12, 0, vcc
	v_xor_b32_e32 v5, v0, v35
	s_waitcnt lgkmcnt(0)
	v_lshlrev_b64 v[0:1], 1, v[8:9]
	v_mov_b32_e32 v6, s59
	v_add_co_u32_e32 v0, vcc, s58, v0
	v_addc_co_u32_e32 v1, vcc, v6, v1, vcc
	v_lshlrev_b32_e32 v6, 1, v61
	v_add_co_u32_e32 v0, vcc, v0, v6
	s_lshl_b64 s[0:1], s[54:55], 3
	v_addc_co_u32_e32 v1, vcc, 0, v1, vcc
	s_add_u32 s0, s60, s0
	global_store_short v[0:1], v5, off
	s_addc_u32 s1, s61, s1
	v_lshlrev_b32_e32 v0, 3, v10
	v_mov_b32_e32 v1, s1
	v_add_co_u32_e32 v0, vcc, s0, v0
	v_addc_co_u32_e32 v1, vcc, 0, v1, vcc
	v_add_co_u32_e32 v0, vcc, v0, v3
	v_addc_co_u32_e32 v1, vcc, 0, v1, vcc
	global_load_dwordx2 v[6:7], v[0:1], off
	global_load_dwordx2 v[8:9], v[0:1], off offset:512
	global_load_dwordx2 v[26:27], v[0:1], off offset:1024
	global_load_dwordx2 v[30:31], v[0:1], off offset:1536
	global_load_dwordx2 v[34:35], v[0:1], off offset:2048
	global_load_dwordx2 v[36:37], v[0:1], off offset:2560
	global_load_dwordx2 v[38:39], v[0:1], off offset:3072
	global_load_dwordx2 v[40:41], v[0:1], off offset:3584
	s_movk_i32 s0, 0x1000
	v_add_co_u32_e32 v0, vcc, s0, v0
	v_addc_co_u32_e32 v1, vcc, 0, v1, vcc
	global_load_dwordx2 v[42:43], v[0:1], off
	global_load_dwordx2 v[44:45], v[0:1], off offset:512
	global_load_dwordx2 v[46:47], v[0:1], off offset:1024
	;; [unrolled: 1-line block ×3, first 2 shown]
	v_lshlrev_b32_e32 v0, 3, v28
	s_barrier
	v_lshlrev_b32_e32 v16, 3, v16
	s_add_i32 s8, s8, -1
	v_mov_b32_e32 v3, 0
	s_cmp_eq_u32 s6, s8
	v_mov_b32_e32 v5, v3
	s_cselect_b64 s[0:1], -1, 0
	s_waitcnt vmcnt(11)
	ds_write_b64 v0, v[6:7] offset:2048
	v_lshlrev_b32_e32 v0, 3, v25
	s_waitcnt vmcnt(10)
	ds_write_b64 v0, v[8:9] offset:2048
	v_lshlrev_b32_e32 v0, 3, v23
	;; [unrolled: 3-line block ×11, first 2 shown]
	s_waitcnt vmcnt(0)
	ds_write_b64 v0, v[48:49] offset:2048
	s_waitcnt lgkmcnt(0)
	s_barrier
	ds_read_b64 v[0:1], v50
	ds_read2st64_b64 v[6:9], v33 offset0:4 offset1:8
	ds_read_b64 v[10:11], v51
	ds_read_b64 v[12:13], v53
	;; [unrolled: 1-line block ×3, first 2 shown]
	s_waitcnt lgkmcnt(4)
	v_lshlrev_b64 v[0:1], 3, v[0:1]
	v_mov_b32_e32 v17, s63
	v_add_co_u32_e32 v0, vcc, s62, v0
	v_addc_co_u32_e32 v1, vcc, v17, v1, vcc
	v_add_co_u32_e32 v0, vcc, v0, v33
	v_addc_co_u32_e32 v1, vcc, 0, v1, vcc
	s_waitcnt lgkmcnt(3)
	global_store_dwordx2 v[0:1], v[6:7], off
	s_waitcnt lgkmcnt(2)
	v_lshlrev_b64 v[0:1], 3, v[10:11]
	v_mov_b32_e32 v6, s63
	v_add_co_u32_e32 v0, vcc, s62, v0
	v_addc_co_u32_e32 v1, vcc, v6, v1, vcc
	v_add_co_u32_e32 v0, vcc, v0, v33
	v_addc_co_u32_e32 v1, vcc, 0, v1, vcc
	global_store_dwordx2 v[0:1], v[8:9], off offset:2048
	ds_read2st64_b64 v[6:9], v33 offset0:12 offset1:16
	s_waitcnt lgkmcnt(2)
	v_lshlrev_b64 v[0:1], 3, v[12:13]
	v_mov_b32_e32 v10, s63
	v_add_co_u32_e32 v0, vcc, s62, v0
	v_addc_co_u32_e32 v1, vcc, v10, v1, vcc
	v_add_u32_e32 v10, 0x1000, v33
	v_add_co_u32_e32 v0, vcc, v0, v10
	v_addc_co_u32_e32 v1, vcc, 0, v1, vcc
	s_waitcnt lgkmcnt(0)
	global_store_dwordx2 v[0:1], v[6:7], off
	v_lshlrev_b64 v[0:1], 3, v[14:15]
	v_mov_b32_e32 v6, s63
	v_add_co_u32_e32 v0, vcc, s62, v0
	v_addc_co_u32_e32 v1, vcc, v6, v1, vcc
	v_add_u32_e32 v6, 0x1800, v33
	v_add_co_u32_e32 v0, vcc, v0, v6
	v_addc_co_u32_e32 v1, vcc, 0, v1, vcc
	global_store_dwordx2 v[0:1], v[8:9], off
	ds_read_b64 v[0:1], v54
	ds_read2st64_b64 v[6:9], v33 offset0:20 offset1:24
	ds_read_b64 v[10:11], v21
	ds_read_b64 v[12:13], v24
	;; [unrolled: 1-line block ×3, first 2 shown]
	s_waitcnt lgkmcnt(4)
	v_lshlrev_b64 v[0:1], 3, v[0:1]
	v_add_co_u32_e32 v0, vcc, s62, v0
	v_addc_co_u32_e32 v1, vcc, v17, v1, vcc
	v_or_b32_e32 v17, 0x2000, v33
	v_add_co_u32_e32 v0, vcc, v0, v17
	v_addc_co_u32_e32 v1, vcc, 0, v1, vcc
	s_waitcnt lgkmcnt(3)
	global_store_dwordx2 v[0:1], v[6:7], off
	s_waitcnt lgkmcnt(2)
	v_lshlrev_b64 v[0:1], 3, v[10:11]
	v_mov_b32_e32 v6, s63
	v_add_co_u32_e32 v0, vcc, s62, v0
	v_addc_co_u32_e32 v1, vcc, v6, v1, vcc
	v_add_u32_e32 v6, 0x2800, v33
	v_add_co_u32_e32 v0, vcc, v0, v6
	v_addc_co_u32_e32 v1, vcc, 0, v1, vcc
	global_store_dwordx2 v[0:1], v[8:9], off
	ds_read2st64_b64 v[6:9], v33 offset0:28 offset1:32
	s_waitcnt lgkmcnt(2)
	v_lshlrev_b64 v[0:1], 3, v[12:13]
	v_mov_b32_e32 v10, s63
	v_add_co_u32_e32 v0, vcc, s62, v0
	v_addc_co_u32_e32 v1, vcc, v10, v1, vcc
	v_add_u32_e32 v10, 0x3000, v33
	v_add_co_u32_e32 v0, vcc, v0, v10
	v_addc_co_u32_e32 v1, vcc, 0, v1, vcc
	s_waitcnt lgkmcnt(0)
	global_store_dwordx2 v[0:1], v[6:7], off
	v_lshlrev_b64 v[0:1], 3, v[14:15]
	v_mov_b32_e32 v6, s63
	v_add_co_u32_e32 v0, vcc, s62, v0
	v_addc_co_u32_e32 v1, vcc, v6, v1, vcc
	v_add_u32_e32 v6, 0x3800, v33
	v_add_co_u32_e32 v0, vcc, v0, v6
	v_addc_co_u32_e32 v1, vcc, 0, v1, vcc
	global_store_dwordx2 v[0:1], v[8:9], off
	ds_read_b64 v[0:1], v55
	ds_read2st64_b64 v[6:9], v33 offset0:36 offset1:40
	ds_read_b64 v[10:11], v57
	ds_read_b64 v[12:13], v58
	;; [unrolled: 1-line block ×3, first 2 shown]
	s_waitcnt lgkmcnt(4)
	v_lshlrev_b64 v[0:1], 3, v[0:1]
	v_mov_b32_e32 v17, s63
	v_add_co_u32_e32 v0, vcc, s62, v0
	v_addc_co_u32_e32 v1, vcc, v17, v1, vcc
	v_add_co_u32_e32 v0, vcc, v0, v16
	v_addc_co_u32_e32 v1, vcc, 0, v1, vcc
	s_waitcnt lgkmcnt(3)
	global_store_dwordx2 v[0:1], v[6:7], off
	s_waitcnt lgkmcnt(2)
	v_lshlrev_b64 v[0:1], 3, v[10:11]
	v_mov_b32_e32 v6, s63
	v_add_co_u32_e32 v0, vcc, s62, v0
	v_addc_co_u32_e32 v1, vcc, v6, v1, vcc
	v_lshlrev_b32_e32 v6, 3, v56
	v_add_co_u32_e32 v0, vcc, v0, v6
	v_addc_co_u32_e32 v1, vcc, 0, v1, vcc
	global_store_dwordx2 v[0:1], v[8:9], off
	ds_read2st64_b64 v[6:9], v33 offset0:44 offset1:48
	s_waitcnt lgkmcnt(2)
	v_lshlrev_b64 v[0:1], 3, v[12:13]
	v_mov_b32_e32 v10, s63
	v_add_co_u32_e32 v0, vcc, s62, v0
	v_addc_co_u32_e32 v1, vcc, v10, v1, vcc
	v_lshlrev_b32_e32 v10, 3, v60
	v_add_co_u32_e32 v0, vcc, v0, v10
	v_addc_co_u32_e32 v1, vcc, 0, v1, vcc
	s_waitcnt lgkmcnt(0)
	global_store_dwordx2 v[0:1], v[6:7], off
	v_lshlrev_b64 v[0:1], 3, v[14:15]
	v_mov_b32_e32 v6, s63
	v_add_co_u32_e32 v0, vcc, s62, v0
	v_addc_co_u32_e32 v1, vcc, v6, v1, vcc
	v_lshlrev_b32_e32 v6, 3, v61
	v_add_co_u32_e32 v0, vcc, v0, v6
	v_addc_co_u32_e32 v1, vcc, 0, v1, vcc
	global_store_dwordx2 v[0:1], v[8:9], off
.LBB191_171:
	s_and_b64 vcc, exec, s[0:1]
	s_cbranch_vccnz .LBB191_173
; %bb.172:
	s_endpgm
.LBB191_173:
	v_lshlrev_b64 v[0:1], 3, v[2:3]
	ds_read_b64 v[2:3], v33
	v_add_co_u32_e32 v4, vcc, v4, v32
	v_addc_co_u32_e32 v5, vcc, 0, v5, vcc
	v_mov_b32_e32 v6, s67
	v_add_co_u32_e32 v0, vcc, s66, v0
	v_addc_co_u32_e32 v1, vcc, v6, v1, vcc
	s_waitcnt lgkmcnt(0)
	v_add_co_u32_e32 v2, vcc, v4, v2
	v_addc_co_u32_e32 v3, vcc, v5, v3, vcc
	global_store_dwordx2 v[0:1], v[2:3], off
	s_endpgm
.LBB191_174:
	global_load_dwordx2 v[6:7], v[30:31], off
	s_or_b64 exec, exec, s[52:53]
                                        ; implicit-def: $vgpr8_vgpr9
	s_and_saveexec_b64 s[52:53], s[0:1]
	s_cbranch_execz .LBB191_91
.LBB191_175:
	global_load_dwordx2 v[8:9], v[30:31], off offset:512
	s_or_b64 exec, exec, s[52:53]
                                        ; implicit-def: $vgpr10_vgpr11
	s_and_saveexec_b64 s[0:1], s[2:3]
	s_cbranch_execz .LBB191_92
.LBB191_176:
	global_load_dwordx2 v[10:11], v[30:31], off offset:1024
	s_or_b64 exec, exec, s[0:1]
                                        ; implicit-def: $vgpr12_vgpr13
	s_and_saveexec_b64 s[0:1], s[50:51]
	s_cbranch_execz .LBB191_93
.LBB191_177:
	global_load_dwordx2 v[12:13], v[30:31], off offset:1536
	s_or_b64 exec, exec, s[0:1]
                                        ; implicit-def: $vgpr14_vgpr15
	s_and_saveexec_b64 s[0:1], s[8:9]
	s_cbranch_execz .LBB191_94
.LBB191_178:
	global_load_dwordx2 v[14:15], v[30:31], off offset:2048
	s_or_b64 exec, exec, s[0:1]
                                        ; implicit-def: $vgpr16_vgpr17
	s_and_saveexec_b64 s[0:1], s[12:13]
	s_cbranch_execz .LBB191_95
.LBB191_179:
	global_load_dwordx2 v[16:17], v[30:31], off offset:2560
	s_or_b64 exec, exec, s[0:1]
                                        ; implicit-def: $vgpr18_vgpr19
	s_and_saveexec_b64 s[0:1], s[16:17]
	s_cbranch_execz .LBB191_96
.LBB191_180:
	global_load_dwordx2 v[18:19], v[30:31], off offset:3072
	s_or_b64 exec, exec, s[0:1]
                                        ; implicit-def: $vgpr20_vgpr21
	s_and_saveexec_b64 s[0:1], s[20:21]
	s_cbranch_execz .LBB191_97
.LBB191_181:
	global_load_dwordx2 v[20:21], v[30:31], off offset:3584
	s_or_b64 exec, exec, s[0:1]
                                        ; implicit-def: $vgpr22_vgpr23
	s_and_saveexec_b64 s[0:1], s[22:23]
	s_cbranch_execz .LBB191_98
.LBB191_182:
	v_add_co_u32_e32 v22, vcc, 0x1000, v30
	v_addc_co_u32_e32 v23, vcc, 0, v31, vcc
	global_load_dwordx2 v[22:23], v[22:23], off
	s_or_b64 exec, exec, s[0:1]
                                        ; implicit-def: $vgpr24_vgpr25
	s_and_saveexec_b64 s[0:1], s[18:19]
	s_cbranch_execz .LBB191_99
.LBB191_183:
	v_add_co_u32_e32 v24, vcc, 0x1000, v30
	v_addc_co_u32_e32 v25, vcc, 0, v31, vcc
	global_load_dwordx2 v[24:25], v[24:25], off offset:512
	s_or_b64 exec, exec, s[0:1]
                                        ; implicit-def: $vgpr26_vgpr27
	s_and_saveexec_b64 s[0:1], s[14:15]
	s_cbranch_execz .LBB191_100
.LBB191_184:
	v_add_co_u32_e32 v26, vcc, 0x1000, v30
	v_addc_co_u32_e32 v27, vcc, 0, v31, vcc
	global_load_dwordx2 v[26:27], v[26:27], off offset:1024
	s_or_b64 exec, exec, s[0:1]
                                        ; implicit-def: $vgpr28_vgpr29
	s_and_saveexec_b64 s[0:1], s[10:11]
	s_cbranch_execz .LBB191_101
.LBB191_185:
	v_add_co_u32_e32 v28, vcc, 0x1000, v30
	v_addc_co_u32_e32 v29, vcc, 0, v31, vcc
	global_load_dwordx2 v[28:29], v[28:29], off offset:1536
	s_or_b64 exec, exec, s[0:1]
                                        ; implicit-def: $vgpr65
	s_and_saveexec_b64 s[0:1], s[24:25]
	s_cbranch_execz .LBB191_102
.LBB191_186:
	v_lshlrev_b32_e32 v30, 1, v2
	ds_read_u16 v30, v30 offset:2048
	s_movk_i32 s2, 0x8000
	v_mov_b32_e32 v31, 0x7fff
	s_waitcnt lgkmcnt(0)
	v_cmp_ne_u16_e32 vcc, s2, v30
	v_cndmask_b32_e32 v30, v31, v30, vcc
	v_lshrrev_b32_sdwa v30, s68, v30 dst_sel:DWORD dst_unused:UNUSED_PAD src0_sel:DWORD src1_sel:WORD_0
	v_and_b32_e32 v65, s74, v30
	s_or_b64 exec, exec, s[0:1]
                                        ; implicit-def: $vgpr64
	s_and_saveexec_b64 s[0:1], s[26:27]
	s_cbranch_execz .LBB191_103
.LBB191_187:
	v_lshlrev_b32_e32 v30, 1, v2
	ds_read_u16 v30, v30 offset:2560
	s_movk_i32 s2, 0x8000
	v_mov_b32_e32 v31, 0x7fff
	s_waitcnt lgkmcnt(0)
	v_cmp_ne_u16_e32 vcc, s2, v30
	v_cndmask_b32_e32 v30, v31, v30, vcc
	v_lshrrev_b32_sdwa v30, s68, v30 dst_sel:DWORD dst_unused:UNUSED_PAD src0_sel:DWORD src1_sel:WORD_0
	v_and_b32_e32 v64, s74, v30
	s_or_b64 exec, exec, s[0:1]
                                        ; implicit-def: $vgpr63
	s_and_saveexec_b64 s[0:1], s[28:29]
	s_cbranch_execz .LBB191_104
.LBB191_188:
	v_lshlrev_b32_e32 v30, 1, v2
	ds_read_u16 v30, v30 offset:3072
	s_movk_i32 s2, 0x8000
	v_mov_b32_e32 v31, 0x7fff
	s_waitcnt lgkmcnt(0)
	v_cmp_ne_u16_e32 vcc, s2, v30
	v_cndmask_b32_e32 v30, v31, v30, vcc
	v_lshrrev_b32_sdwa v30, s68, v30 dst_sel:DWORD dst_unused:UNUSED_PAD src0_sel:DWORD src1_sel:WORD_0
	v_and_b32_e32 v63, s74, v30
	s_or_b64 exec, exec, s[0:1]
                                        ; implicit-def: $vgpr62
	s_and_saveexec_b64 s[0:1], s[30:31]
	s_cbranch_execz .LBB191_105
.LBB191_189:
	v_lshlrev_b32_e32 v30, 1, v2
	ds_read_u16 v30, v30 offset:3584
	s_movk_i32 s2, 0x8000
	v_mov_b32_e32 v31, 0x7fff
	s_waitcnt lgkmcnt(0)
	v_cmp_ne_u16_e32 vcc, s2, v30
	v_cndmask_b32_e32 v30, v31, v30, vcc
	v_lshrrev_b32_sdwa v30, s68, v30 dst_sel:DWORD dst_unused:UNUSED_PAD src0_sel:DWORD src1_sel:WORD_0
	v_and_b32_e32 v62, s74, v30
	s_or_b64 exec, exec, s[0:1]
                                        ; implicit-def: $vgpr61
	s_and_saveexec_b64 s[0:1], s[34:35]
	s_cbranch_execz .LBB191_106
.LBB191_190:
	v_lshlrev_b32_e32 v30, 1, v2
	ds_read_u16 v30, v30 offset:4096
	s_movk_i32 s2, 0x8000
	v_mov_b32_e32 v31, 0x7fff
	s_waitcnt lgkmcnt(0)
	v_cmp_ne_u16_e32 vcc, s2, v30
	v_cndmask_b32_e32 v30, v31, v30, vcc
	v_lshrrev_b32_sdwa v30, s68, v30 dst_sel:DWORD dst_unused:UNUSED_PAD src0_sel:DWORD src1_sel:WORD_0
	v_and_b32_e32 v61, s74, v30
	s_or_b64 exec, exec, s[0:1]
                                        ; implicit-def: $vgpr60
	s_and_saveexec_b64 s[0:1], s[36:37]
	s_cbranch_execz .LBB191_107
.LBB191_191:
	v_lshlrev_b32_e32 v30, 1, v2
	ds_read_u16 v30, v30 offset:4608
	s_movk_i32 s2, 0x8000
	v_mov_b32_e32 v31, 0x7fff
	s_waitcnt lgkmcnt(0)
	v_cmp_ne_u16_e32 vcc, s2, v30
	v_cndmask_b32_e32 v30, v31, v30, vcc
	v_lshrrev_b32_sdwa v30, s68, v30 dst_sel:DWORD dst_unused:UNUSED_PAD src0_sel:DWORD src1_sel:WORD_0
	v_and_b32_e32 v60, s74, v30
	s_or_b64 exec, exec, s[0:1]
                                        ; implicit-def: $vgpr59
	s_and_saveexec_b64 s[0:1], s[38:39]
	s_cbranch_execz .LBB191_108
.LBB191_192:
	v_lshlrev_b32_e32 v30, 1, v2
	ds_read_u16 v30, v30 offset:5120
	s_movk_i32 s2, 0x8000
	v_mov_b32_e32 v31, 0x7fff
	s_waitcnt lgkmcnt(0)
	v_cmp_ne_u16_e32 vcc, s2, v30
	v_cndmask_b32_e32 v30, v31, v30, vcc
	v_lshrrev_b32_sdwa v30, s68, v30 dst_sel:DWORD dst_unused:UNUSED_PAD src0_sel:DWORD src1_sel:WORD_0
	v_and_b32_e32 v59, s74, v30
	s_or_b64 exec, exec, s[0:1]
                                        ; implicit-def: $vgpr58
	s_and_saveexec_b64 s[0:1], s[40:41]
	s_cbranch_execz .LBB191_109
.LBB191_193:
	v_lshlrev_b32_e32 v30, 1, v2
	ds_read_u16 v30, v30 offset:5632
	s_movk_i32 s2, 0x8000
	v_mov_b32_e32 v31, 0x7fff
	s_waitcnt lgkmcnt(0)
	v_cmp_ne_u16_e32 vcc, s2, v30
	v_cndmask_b32_e32 v30, v31, v30, vcc
	v_lshrrev_b32_sdwa v30, s68, v30 dst_sel:DWORD dst_unused:UNUSED_PAD src0_sel:DWORD src1_sel:WORD_0
	v_and_b32_e32 v58, s74, v30
	s_or_b64 exec, exec, s[0:1]
                                        ; implicit-def: $vgpr57
	s_and_saveexec_b64 s[0:1], s[42:43]
	s_cbranch_execnz .LBB191_110
	s_branch .LBB191_111
.LBB191_194:
	v_lshlrev_b32_e32 v31, 1, v2
	ds_read_u16 v31, v31 offset:6656
	s_movk_i32 s2, 0x8000
	v_mov_b32_e32 v56, 0x7fff
	s_waitcnt lgkmcnt(0)
	v_cmp_ne_u16_e32 vcc, s2, v31
	v_cndmask_b32_e32 v31, v56, v31, vcc
	v_lshrrev_b32_sdwa v31, s68, v31 dst_sel:DWORD dst_unused:UNUSED_PAD src0_sel:DWORD src1_sel:WORD_0
	v_and_b32_e32 v56, s74, v31
	s_or_b64 exec, exec, s[0:1]
	s_and_saveexec_b64 s[0:1], s[46:47]
	s_cbranch_execz .LBB191_113
.LBB191_195:
	v_lshlrev_b32_e32 v30, 1, v2
	ds_read_u16 v30, v30 offset:7168
	s_movk_i32 s2, 0x8000
	v_mov_b32_e32 v31, 0x7fff
	s_waitcnt lgkmcnt(0)
	v_cmp_ne_u16_e32 vcc, s2, v30
	v_cndmask_b32_e32 v30, v31, v30, vcc
	v_lshrrev_b32_sdwa v30, s68, v30 dst_sel:DWORD dst_unused:UNUSED_PAD src0_sel:DWORD src1_sel:WORD_0
	v_and_b32_e32 v30, s74, v30
	s_or_b64 exec, exec, s[0:1]
	v_mov_b32_e32 v31, 0
	s_and_saveexec_b64 s[0:1], s[48:49]
	s_cbranch_execnz .LBB191_114
	s_branch .LBB191_115
.LBB191_196:
	v_lshlrev_b32_e32 v6, 3, v65
	ds_read_b64 v[6:7], v6
	ds_read_b64 v[8:9], v33 offset:2048
	v_mov_b32_e32 v10, s63
	s_waitcnt lgkmcnt(1)
	v_lshlrev_b64 v[6:7], 3, v[6:7]
	v_add_co_u32_e32 v6, vcc, s62, v6
	v_addc_co_u32_e32 v7, vcc, v10, v7, vcc
	v_add_co_u32_e32 v6, vcc, v6, v33
	v_addc_co_u32_e32 v7, vcc, 0, v7, vcc
	s_waitcnt lgkmcnt(0)
	global_store_dwordx2 v[6:7], v[8:9], off
	s_or_b64 exec, exec, s[0:1]
	s_and_saveexec_b64 s[0:1], s[26:27]
	s_cbranch_execz .LBB191_117
.LBB191_197:
	v_lshlrev_b32_e32 v6, 3, v64
	ds_read_b64 v[6:7], v6
	v_lshlrev_b32_e32 v10, 3, v2
	ds_read_b64 v[8:9], v10 offset:4096
	v_mov_b32_e32 v11, s63
	s_waitcnt lgkmcnt(1)
	v_lshlrev_b64 v[6:7], 3, v[6:7]
	v_add_co_u32_e32 v6, vcc, s62, v6
	v_addc_co_u32_e32 v7, vcc, v11, v7, vcc
	v_add_co_u32_e32 v6, vcc, v6, v10
	v_addc_co_u32_e32 v7, vcc, 0, v7, vcc
	s_waitcnt lgkmcnt(0)
	global_store_dwordx2 v[6:7], v[8:9], off offset:2048
	s_or_b64 exec, exec, s[0:1]
	s_and_saveexec_b64 s[0:1], s[28:29]
	s_cbranch_execz .LBB191_118
.LBB191_198:
	v_lshlrev_b32_e32 v6, 3, v63
	ds_read_b64 v[6:7], v6
	v_lshlrev_b32_e32 v8, 3, v2
	ds_read_b64 v[8:9], v8 offset:6144
	v_mov_b32_e32 v10, s63
	s_waitcnt lgkmcnt(1)
	v_lshlrev_b64 v[6:7], 3, v[6:7]
	v_add_co_u32_e32 v6, vcc, s62, v6
	v_addc_co_u32_e32 v7, vcc, v10, v7, vcc
	v_lshlrev_b32_e32 v10, 3, v46
	v_add_co_u32_e32 v6, vcc, v6, v10
	v_addc_co_u32_e32 v7, vcc, 0, v7, vcc
	s_waitcnt lgkmcnt(0)
	global_store_dwordx2 v[6:7], v[8:9], off
	s_or_b64 exec, exec, s[0:1]
	s_and_saveexec_b64 s[0:1], s[30:31]
	s_cbranch_execz .LBB191_119
.LBB191_199:
	v_lshlrev_b32_e32 v6, 3, v62
	ds_read_b64 v[6:7], v6
	v_lshlrev_b32_e32 v8, 3, v2
	ds_read_b64 v[8:9], v8 offset:8192
	v_mov_b32_e32 v10, s63
	s_waitcnt lgkmcnt(1)
	v_lshlrev_b64 v[6:7], 3, v[6:7]
	v_add_co_u32_e32 v6, vcc, s62, v6
	v_addc_co_u32_e32 v7, vcc, v10, v7, vcc
	v_lshlrev_b32_e32 v10, 3, v47
	v_add_co_u32_e32 v6, vcc, v6, v10
	v_addc_co_u32_e32 v7, vcc, 0, v7, vcc
	s_waitcnt lgkmcnt(0)
	global_store_dwordx2 v[6:7], v[8:9], off
	s_or_b64 exec, exec, s[0:1]
	s_and_saveexec_b64 s[0:1], s[34:35]
	s_cbranch_execz .LBB191_120
.LBB191_200:
	v_lshlrev_b32_e32 v6, 3, v61
	ds_read_b64 v[6:7], v6
	v_lshlrev_b32_e32 v8, 3, v2
	ds_read_b64 v[8:9], v8 offset:10240
	v_mov_b32_e32 v10, s63
	s_waitcnt lgkmcnt(1)
	v_lshlrev_b64 v[6:7], 3, v[6:7]
	v_add_co_u32_e32 v6, vcc, s62, v6
	v_addc_co_u32_e32 v7, vcc, v10, v7, vcc
	v_lshlrev_b32_e32 v10, 3, v48
	v_add_co_u32_e32 v6, vcc, v6, v10
	v_addc_co_u32_e32 v7, vcc, 0, v7, vcc
	s_waitcnt lgkmcnt(0)
	global_store_dwordx2 v[6:7], v[8:9], off
	s_or_b64 exec, exec, s[0:1]
	s_and_saveexec_b64 s[0:1], s[36:37]
	s_cbranch_execz .LBB191_121
.LBB191_201:
	v_lshlrev_b32_e32 v6, 3, v60
	ds_read_b64 v[6:7], v6
	v_lshlrev_b32_e32 v8, 3, v2
	ds_read_b64 v[8:9], v8 offset:12288
	v_mov_b32_e32 v10, s63
	s_waitcnt lgkmcnt(1)
	v_lshlrev_b64 v[6:7], 3, v[6:7]
	v_add_co_u32_e32 v6, vcc, s62, v6
	v_addc_co_u32_e32 v7, vcc, v10, v7, vcc
	v_lshlrev_b32_e32 v10, 3, v49
	v_add_co_u32_e32 v6, vcc, v6, v10
	v_addc_co_u32_e32 v7, vcc, 0, v7, vcc
	s_waitcnt lgkmcnt(0)
	global_store_dwordx2 v[6:7], v[8:9], off
	s_or_b64 exec, exec, s[0:1]
	s_and_saveexec_b64 s[0:1], s[38:39]
	s_cbranch_execz .LBB191_122
.LBB191_202:
	v_lshlrev_b32_e32 v6, 3, v59
	ds_read_b64 v[6:7], v6
	v_lshlrev_b32_e32 v8, 3, v2
	ds_read_b64 v[8:9], v8 offset:14336
	v_mov_b32_e32 v10, s63
	s_waitcnt lgkmcnt(1)
	v_lshlrev_b64 v[6:7], 3, v[6:7]
	v_add_co_u32_e32 v6, vcc, s62, v6
	v_addc_co_u32_e32 v7, vcc, v10, v7, vcc
	v_lshlrev_b32_e32 v10, 3, v50
	v_add_co_u32_e32 v6, vcc, v6, v10
	v_addc_co_u32_e32 v7, vcc, 0, v7, vcc
	s_waitcnt lgkmcnt(0)
	global_store_dwordx2 v[6:7], v[8:9], off
	s_or_b64 exec, exec, s[0:1]
	s_and_saveexec_b64 s[0:1], s[40:41]
	s_cbranch_execz .LBB191_123
.LBB191_203:
	v_lshlrev_b32_e32 v6, 3, v58
	ds_read_b64 v[6:7], v6
	v_lshlrev_b32_e32 v8, 3, v2
	ds_read_b64 v[8:9], v8 offset:16384
	v_mov_b32_e32 v10, s63
	s_waitcnt lgkmcnt(1)
	v_lshlrev_b64 v[6:7], 3, v[6:7]
	v_add_co_u32_e32 v6, vcc, s62, v6
	v_addc_co_u32_e32 v7, vcc, v10, v7, vcc
	v_lshlrev_b32_e32 v10, 3, v51
	v_add_co_u32_e32 v6, vcc, v6, v10
	v_addc_co_u32_e32 v7, vcc, 0, v7, vcc
	s_waitcnt lgkmcnt(0)
	global_store_dwordx2 v[6:7], v[8:9], off
	s_or_b64 exec, exec, s[0:1]
	s_and_saveexec_b64 s[0:1], s[42:43]
	s_cbranch_execz .LBB191_124
.LBB191_204:
	v_lshlrev_b32_e32 v6, 3, v57
	ds_read_b64 v[6:7], v6
	v_lshlrev_b32_e32 v8, 3, v2
	ds_read_b64 v[8:9], v8 offset:18432
	v_mov_b32_e32 v10, s63
	s_waitcnt lgkmcnt(1)
	v_lshlrev_b64 v[6:7], 3, v[6:7]
	v_add_co_u32_e32 v6, vcc, s62, v6
	v_addc_co_u32_e32 v7, vcc, v10, v7, vcc
	v_lshlrev_b32_e32 v10, 3, v52
	v_add_co_u32_e32 v6, vcc, v6, v10
	v_addc_co_u32_e32 v7, vcc, 0, v7, vcc
	s_waitcnt lgkmcnt(0)
	global_store_dwordx2 v[6:7], v[8:9], off
	s_or_b64 exec, exec, s[0:1]
	s_and_saveexec_b64 s[0:1], s[44:45]
	s_cbranch_execz .LBB191_125
.LBB191_205:
	v_lshlrev_b32_e32 v6, 3, v56
	ds_read_b64 v[6:7], v6
	v_lshlrev_b32_e32 v8, 3, v2
	ds_read_b64 v[8:9], v8 offset:20480
	v_mov_b32_e32 v10, s63
	s_waitcnt lgkmcnt(1)
	v_lshlrev_b64 v[6:7], 3, v[6:7]
	v_add_co_u32_e32 v6, vcc, s62, v6
	v_addc_co_u32_e32 v7, vcc, v10, v7, vcc
	v_lshlrev_b32_e32 v10, 3, v53
	v_add_co_u32_e32 v6, vcc, v6, v10
	v_addc_co_u32_e32 v7, vcc, 0, v7, vcc
	s_waitcnt lgkmcnt(0)
	global_store_dwordx2 v[6:7], v[8:9], off
	s_or_b64 exec, exec, s[0:1]
	s_and_saveexec_b64 s[0:1], s[46:47]
	s_cbranch_execz .LBB191_126
.LBB191_206:
	v_lshlrev_b32_e32 v6, 3, v30
	ds_read_b64 v[6:7], v6
	v_lshlrev_b32_e32 v8, 3, v2
	ds_read_b64 v[8:9], v8 offset:22528
	v_mov_b32_e32 v10, s63
	s_waitcnt lgkmcnt(1)
	v_lshlrev_b64 v[6:7], 3, v[6:7]
	v_add_co_u32_e32 v6, vcc, s62, v6
	v_addc_co_u32_e32 v7, vcc, v10, v7, vcc
	v_lshlrev_b32_e32 v10, 3, v54
	v_add_co_u32_e32 v6, vcc, v6, v10
	v_addc_co_u32_e32 v7, vcc, 0, v7, vcc
	s_waitcnt lgkmcnt(0)
	global_store_dwordx2 v[6:7], v[8:9], off
	s_or_b64 exec, exec, s[0:1]
	s_and_saveexec_b64 s[0:1], s[48:49]
	s_cbranch_execnz .LBB191_127
	s_branch .LBB191_128
	.section	.rodata,"a",@progbits
	.p2align	6, 0x0
	.amdhsa_kernel _ZN7rocprim17ROCPRIM_304000_NS6detail25onesweep_iteration_kernelINS1_34wrapped_radix_sort_onesweep_configINS0_14default_configE6__halfN2at4cuda3cub6detail10OpaqueTypeILi8EEEEELb1EPKS5_PS5_PKSB_PSB_mNS0_19identity_decomposerEEEvT1_T2_T3_T4_jPT5_SP_PNS1_23onesweep_lookback_stateET6_jjj
		.amdhsa_group_segment_fixed_size 26624
		.amdhsa_private_segment_fixed_size 0
		.amdhsa_kernarg_size 336
		.amdhsa_user_sgpr_count 6
		.amdhsa_user_sgpr_private_segment_buffer 1
		.amdhsa_user_sgpr_dispatch_ptr 0
		.amdhsa_user_sgpr_queue_ptr 0
		.amdhsa_user_sgpr_kernarg_segment_ptr 1
		.amdhsa_user_sgpr_dispatch_id 0
		.amdhsa_user_sgpr_flat_scratch_init 0
		.amdhsa_user_sgpr_kernarg_preload_length 0
		.amdhsa_user_sgpr_kernarg_preload_offset 0
		.amdhsa_user_sgpr_private_segment_size 0
		.amdhsa_uses_dynamic_stack 0
		.amdhsa_system_sgpr_private_segment_wavefront_offset 0
		.amdhsa_system_sgpr_workgroup_id_x 1
		.amdhsa_system_sgpr_workgroup_id_y 0
		.amdhsa_system_sgpr_workgroup_id_z 0
		.amdhsa_system_sgpr_workgroup_info 0
		.amdhsa_system_vgpr_workitem_id 2
		.amdhsa_next_free_vgpr 67
		.amdhsa_next_free_sgpr 75
		.amdhsa_accum_offset 68
		.amdhsa_reserve_vcc 1
		.amdhsa_reserve_flat_scratch 0
		.amdhsa_float_round_mode_32 0
		.amdhsa_float_round_mode_16_64 0
		.amdhsa_float_denorm_mode_32 3
		.amdhsa_float_denorm_mode_16_64 3
		.amdhsa_dx10_clamp 1
		.amdhsa_ieee_mode 1
		.amdhsa_fp16_overflow 0
		.amdhsa_tg_split 0
		.amdhsa_exception_fp_ieee_invalid_op 0
		.amdhsa_exception_fp_denorm_src 0
		.amdhsa_exception_fp_ieee_div_zero 0
		.amdhsa_exception_fp_ieee_overflow 0
		.amdhsa_exception_fp_ieee_underflow 0
		.amdhsa_exception_fp_ieee_inexact 0
		.amdhsa_exception_int_div_zero 0
	.end_amdhsa_kernel
	.section	.text._ZN7rocprim17ROCPRIM_304000_NS6detail25onesweep_iteration_kernelINS1_34wrapped_radix_sort_onesweep_configINS0_14default_configE6__halfN2at4cuda3cub6detail10OpaqueTypeILi8EEEEELb1EPKS5_PS5_PKSB_PSB_mNS0_19identity_decomposerEEEvT1_T2_T3_T4_jPT5_SP_PNS1_23onesweep_lookback_stateET6_jjj,"axG",@progbits,_ZN7rocprim17ROCPRIM_304000_NS6detail25onesweep_iteration_kernelINS1_34wrapped_radix_sort_onesweep_configINS0_14default_configE6__halfN2at4cuda3cub6detail10OpaqueTypeILi8EEEEELb1EPKS5_PS5_PKSB_PSB_mNS0_19identity_decomposerEEEvT1_T2_T3_T4_jPT5_SP_PNS1_23onesweep_lookback_stateET6_jjj,comdat
.Lfunc_end191:
	.size	_ZN7rocprim17ROCPRIM_304000_NS6detail25onesweep_iteration_kernelINS1_34wrapped_radix_sort_onesweep_configINS0_14default_configE6__halfN2at4cuda3cub6detail10OpaqueTypeILi8EEEEELb1EPKS5_PS5_PKSB_PSB_mNS0_19identity_decomposerEEEvT1_T2_T3_T4_jPT5_SP_PNS1_23onesweep_lookback_stateET6_jjj, .Lfunc_end191-_ZN7rocprim17ROCPRIM_304000_NS6detail25onesweep_iteration_kernelINS1_34wrapped_radix_sort_onesweep_configINS0_14default_configE6__halfN2at4cuda3cub6detail10OpaqueTypeILi8EEEEELb1EPKS5_PS5_PKSB_PSB_mNS0_19identity_decomposerEEEvT1_T2_T3_T4_jPT5_SP_PNS1_23onesweep_lookback_stateET6_jjj
                                        ; -- End function
	.section	.AMDGPU.csdata,"",@progbits
; Kernel info:
; codeLenInByte = 21012
; NumSgprs: 79
; NumVgprs: 67
; NumAgprs: 0
; TotalNumVgprs: 67
; ScratchSize: 0
; MemoryBound: 0
; FloatMode: 240
; IeeeMode: 1
; LDSByteSize: 26624 bytes/workgroup (compile time only)
; SGPRBlocks: 9
; VGPRBlocks: 8
; NumSGPRsForWavesPerEU: 79
; NumVGPRsForWavesPerEU: 67
; AccumOffset: 68
; Occupancy: 2
; WaveLimiterHint : 1
; COMPUTE_PGM_RSRC2:SCRATCH_EN: 0
; COMPUTE_PGM_RSRC2:USER_SGPR: 6
; COMPUTE_PGM_RSRC2:TRAP_HANDLER: 0
; COMPUTE_PGM_RSRC2:TGID_X_EN: 1
; COMPUTE_PGM_RSRC2:TGID_Y_EN: 0
; COMPUTE_PGM_RSRC2:TGID_Z_EN: 0
; COMPUTE_PGM_RSRC2:TIDIG_COMP_CNT: 2
; COMPUTE_PGM_RSRC3_GFX90A:ACCUM_OFFSET: 16
; COMPUTE_PGM_RSRC3_GFX90A:TG_SPLIT: 0
	.section	.text._ZN7rocprim17ROCPRIM_304000_NS6detail25onesweep_iteration_kernelINS1_34wrapped_radix_sort_onesweep_configINS0_14default_configE6__halfN2at4cuda3cub6detail10OpaqueTypeILi8EEEEELb1EPS5_SD_PSB_SE_mNS0_19identity_decomposerEEEvT1_T2_T3_T4_jPT5_SL_PNS1_23onesweep_lookback_stateET6_jjj,"axG",@progbits,_ZN7rocprim17ROCPRIM_304000_NS6detail25onesweep_iteration_kernelINS1_34wrapped_radix_sort_onesweep_configINS0_14default_configE6__halfN2at4cuda3cub6detail10OpaqueTypeILi8EEEEELb1EPS5_SD_PSB_SE_mNS0_19identity_decomposerEEEvT1_T2_T3_T4_jPT5_SL_PNS1_23onesweep_lookback_stateET6_jjj,comdat
	.protected	_ZN7rocprim17ROCPRIM_304000_NS6detail25onesweep_iteration_kernelINS1_34wrapped_radix_sort_onesweep_configINS0_14default_configE6__halfN2at4cuda3cub6detail10OpaqueTypeILi8EEEEELb1EPS5_SD_PSB_SE_mNS0_19identity_decomposerEEEvT1_T2_T3_T4_jPT5_SL_PNS1_23onesweep_lookback_stateET6_jjj ; -- Begin function _ZN7rocprim17ROCPRIM_304000_NS6detail25onesweep_iteration_kernelINS1_34wrapped_radix_sort_onesweep_configINS0_14default_configE6__halfN2at4cuda3cub6detail10OpaqueTypeILi8EEEEELb1EPS5_SD_PSB_SE_mNS0_19identity_decomposerEEEvT1_T2_T3_T4_jPT5_SL_PNS1_23onesweep_lookback_stateET6_jjj
	.globl	_ZN7rocprim17ROCPRIM_304000_NS6detail25onesweep_iteration_kernelINS1_34wrapped_radix_sort_onesweep_configINS0_14default_configE6__halfN2at4cuda3cub6detail10OpaqueTypeILi8EEEEELb1EPS5_SD_PSB_SE_mNS0_19identity_decomposerEEEvT1_T2_T3_T4_jPT5_SL_PNS1_23onesweep_lookback_stateET6_jjj
	.p2align	8
	.type	_ZN7rocprim17ROCPRIM_304000_NS6detail25onesweep_iteration_kernelINS1_34wrapped_radix_sort_onesweep_configINS0_14default_configE6__halfN2at4cuda3cub6detail10OpaqueTypeILi8EEEEELb1EPS5_SD_PSB_SE_mNS0_19identity_decomposerEEEvT1_T2_T3_T4_jPT5_SL_PNS1_23onesweep_lookback_stateET6_jjj,@function
_ZN7rocprim17ROCPRIM_304000_NS6detail25onesweep_iteration_kernelINS1_34wrapped_radix_sort_onesweep_configINS0_14default_configE6__halfN2at4cuda3cub6detail10OpaqueTypeILi8EEEEELb1EPS5_SD_PSB_SE_mNS0_19identity_decomposerEEEvT1_T2_T3_T4_jPT5_SL_PNS1_23onesweep_lookback_stateET6_jjj: ; @_ZN7rocprim17ROCPRIM_304000_NS6detail25onesweep_iteration_kernelINS1_34wrapped_radix_sort_onesweep_configINS0_14default_configE6__halfN2at4cuda3cub6detail10OpaqueTypeILi8EEEEELb1EPS5_SD_PSB_SE_mNS0_19identity_decomposerEEEvT1_T2_T3_T4_jPT5_SL_PNS1_23onesweep_lookback_stateET6_jjj
; %bb.0:
	s_load_dwordx4 s[68:71], s[4:5], 0x44
	s_load_dwordx8 s[56:63], s[4:5], 0x0
	s_load_dwordx4 s[64:67], s[4:5], 0x28
	s_load_dwordx2 s[72:73], s[4:5], 0x38
	s_mov_b32 s7, s6
	s_waitcnt lgkmcnt(0)
	s_cmp_ge_u32 s6, s70
	s_mul_i32 s54, s6, 0xc00
	v_mbcnt_lo_u32_b32 v1, -1, 0
	s_cbranch_scc0 .LBB192_129
; %bb.1:
	s_load_dword s2, s[4:5], 0x20
	s_mulk_i32 s70, 0xf400
	s_mov_b32 s55, 0
	s_lshl_b64 s[0:1], s[54:55], 1
	v_and_b32_e32 v2, 0x3ff, v0
	s_waitcnt lgkmcnt(0)
	s_add_i32 s70, s70, s2
	s_add_u32 s0, s56, s0
	v_mbcnt_hi_u32_b32 v13, -1, v1
	s_addc_u32 s1, s57, s1
	v_and_b32_e32 v3, 0xc0, v2
	v_lshlrev_b32_e32 v4, 1, v13
	v_mul_u32_u24_e32 v12, 12, v3
	v_mov_b32_e32 v5, s1
	v_add_co_u32_e32 v4, vcc, s0, v4
	v_addc_co_u32_e32 v5, vcc, 0, v5, vcc
	v_lshlrev_b32_e32 v6, 1, v12
	v_add_co_u32_e32 v4, vcc, v4, v6
	v_addc_co_u32_e32 v5, vcc, 0, v5, vcc
	v_or_b32_e32 v7, v13, v12
	v_cmp_gt_u32_e32 vcc, s70, v7
	v_mov_b32_e32 v10, -1
	v_mov_b32_e32 v6, -1
	s_and_saveexec_b64 s[0:1], vcc
	s_cbranch_execz .LBB192_3
; %bb.2:
	global_load_ushort v6, v[4:5], off
.LBB192_3:
	s_or_b64 exec, exec, s[0:1]
	v_add_u32_e32 v8, 64, v7
	v_cmp_gt_u32_e64 s[0:1], s70, v8
	s_and_saveexec_b64 s[2:3], s[0:1]
	s_cbranch_execz .LBB192_5
; %bb.4:
	global_load_ushort v10, v[4:5], off offset:128
.LBB192_5:
	s_or_b64 exec, exec, s[2:3]
	v_add_u32_e32 v8, 0x80, v7
	v_cmp_gt_u32_e64 s[2:3], s70, v8
	v_mov_b32_e32 v24, -1
	v_mov_b32_e32 v19, -1
	s_and_saveexec_b64 s[8:9], s[2:3]
	s_cbranch_execz .LBB192_7
; %bb.6:
	global_load_ushort v19, v[4:5], off offset:256
.LBB192_7:
	s_or_b64 exec, exec, s[8:9]
	v_add_u32_e32 v8, 0xc0, v7
	v_cmp_gt_u32_e64 s[50:51], s70, v8
	s_and_saveexec_b64 s[8:9], s[50:51]
	s_cbranch_execz .LBB192_9
; %bb.8:
	global_load_ushort v24, v[4:5], off offset:384
.LBB192_9:
	s_or_b64 exec, exec, s[8:9]
	v_add_u32_e32 v8, 0x100, v7
	v_cmp_gt_u32_e64 s[8:9], s70, v8
	v_mov_b32_e32 v36, -1
	v_mov_b32_e32 v30, -1
	s_and_saveexec_b64 s[10:11], s[8:9]
	s_cbranch_execz .LBB192_11
; %bb.10:
	global_load_ushort v30, v[4:5], off offset:512
.LBB192_11:
	;; [unrolled: 18-line block ×5, first 2 shown]
	s_or_b64 exec, exec, s[10:11]
	v_add_u32_e32 v7, 0x2c0, v7
	v_cmp_gt_u32_e64 s[10:11], s70, v7
	s_and_saveexec_b64 s[24:25], s[10:11]
	s_cbranch_execz .LBB192_25
; %bb.24:
	global_load_ushort v16, v[4:5], off offset:1408
.LBB192_25:
	s_or_b64 exec, exec, s[24:25]
	s_load_dword s24, s[4:5], 0x5c
	s_load_dword s33, s[4:5], 0x50
	s_add_u32 s25, s4, 0x50
	s_addc_u32 s26, s5, 0
	v_mov_b32_e32 v4, 0
	s_waitcnt lgkmcnt(0)
	s_lshr_b32 s27, s24, 16
	s_cmp_lt_u32 s6, s33
	s_cselect_b32 s24, 12, 18
	s_add_u32 s24, s25, s24
	s_addc_u32 s25, s26, 0
	global_load_ushort v7, v4, s[24:25]
	v_mov_b32_e32 v15, 0x7fff
	s_waitcnt vmcnt(1)
	v_cmp_gt_i16_e64 s[24:25], 0, v6
	v_mul_u32_u24_e32 v8, 5, v2
	v_cndmask_b32_e64 v14, v15, 0, s[24:25]
	s_movk_i32 s28, 0x8000
	v_lshlrev_b32_e32 v9, 2, v8
	v_xor_b32_e32 v8, v14, v6
	v_cmp_ne_u16_e64 s[24:25], s28, v8
	v_cndmask_b32_e64 v6, v15, v8, s[24:25]
	s_lshl_b32 s24, -1, s69
	v_lshrrev_b32_sdwa v6, s68, v6 dst_sel:DWORD dst_unused:UNUSED_PAD src0_sel:DWORD src1_sel:WORD_0
	s_not_b32 s74, s24
	v_and_b32_e32 v14, s74, v6
	v_and_b32_e32 v6, 1, v14
	v_bfe_u32 v5, v0, 10, 10
	v_bfe_u32 v11, v0, 20, 10
	v_add_co_u32_e64 v18, s[24:25], -1, v6
	v_mad_u32_u24 v11, v11, s27, v5
	v_lshlrev_b32_e32 v5, 30, v14
	v_addc_co_u32_e64 v20, s[24:25], 0, -1, s[24:25]
	v_cmp_ne_u32_e64 s[24:25], 0, v6
	v_cmp_gt_i64_e64 s[26:27], 0, v[4:5]
	v_not_b32_e32 v6, v5
	v_lshlrev_b32_e32 v5, 29, v14
	v_xor_b32_e32 v20, s25, v20
	v_xor_b32_e32 v18, s24, v18
	v_ashrrev_i32_e32 v6, 31, v6
	v_cmp_gt_i64_e64 s[24:25], 0, v[4:5]
	v_not_b32_e32 v22, v5
	v_lshlrev_b32_e32 v5, 28, v14
	v_and_b32_e32 v20, exec_hi, v20
	v_and_b32_e32 v18, exec_lo, v18
	v_xor_b32_e32 v23, s27, v6
	v_xor_b32_e32 v6, s26, v6
	v_ashrrev_i32_e32 v22, 31, v22
	v_cmp_gt_i64_e64 s[26:27], 0, v[4:5]
	v_not_b32_e32 v25, v5
	v_lshlrev_b32_e32 v5, 27, v14
	v_and_b32_e32 v20, v20, v23
	v_and_b32_e32 v6, v18, v6
	v_xor_b32_e32 v18, s25, v22
	v_xor_b32_e32 v22, s24, v22
	v_ashrrev_i32_e32 v23, 31, v25
	v_cmp_gt_i64_e64 s[24:25], 0, v[4:5]
	v_not_b32_e32 v25, v5
	v_lshlrev_b32_e32 v5, 26, v14
	v_and_b32_e32 v18, v20, v18
	v_and_b32_e32 v6, v6, v22
	v_xor_b32_e32 v20, s27, v23
	v_xor_b32_e32 v22, s26, v23
	v_ashrrev_i32_e32 v23, 31, v25
	v_not_b32_e32 v25, v5
	v_cmp_gt_i64_e64 s[26:27], 0, v[4:5]
	v_lshlrev_b32_e32 v5, 25, v14
	v_and_b32_e32 v18, v18, v20
	v_and_b32_e32 v6, v6, v22
	v_xor_b32_e32 v20, s25, v23
	v_xor_b32_e32 v22, s24, v23
	v_ashrrev_i32_e32 v23, 31, v25
	v_cmp_gt_i64_e64 s[24:25], 0, v[4:5]
	v_not_b32_e32 v5, v5
	v_and_b32_e32 v18, v18, v20
	v_and_b32_e32 v6, v6, v22
	v_xor_b32_e32 v20, s27, v23
	v_xor_b32_e32 v22, s26, v23
	v_ashrrev_i32_e32 v5, 31, v5
	v_and_b32_e32 v18, v18, v20
	v_and_b32_e32 v20, v6, v22
	v_mul_u32_u24_e32 v17, 5, v14
	v_xor_b32_e32 v22, s25, v5
	v_xor_b32_e32 v5, s24, v5
	ds_write2_b32 v9, v4, v4 offset0:4 offset1:5
	ds_write2_b32 v9, v4, v4 offset0:6 offset1:7
	ds_write_b32 v9, v4 offset:32
	s_waitcnt lgkmcnt(0)
	s_barrier
	s_waitcnt lgkmcnt(0)
	; wave barrier
	s_waitcnt vmcnt(0)
	v_mad_u64_u32 v[6:7], s[26:27], v11, v7, v[2:3]
	v_lshrrev_b32_e32 v23, 6, v6
	v_add_lshl_u32 v11, v23, v17, 2
	v_and_b32_e32 v17, v20, v5
	v_lshlrev_b32_e32 v5, 24, v14
	v_cmp_gt_i64_e64 s[24:25], 0, v[4:5]
	v_not_b32_e32 v5, v5
	v_ashrrev_i32_e32 v5, 31, v5
	v_and_b32_e32 v6, v18, v22
	v_xor_b32_e32 v7, s25, v5
	v_xor_b32_e32 v5, s24, v5
	v_and_b32_e32 v7, v6, v7
	v_and_b32_e32 v6, v17, v5
	v_mbcnt_lo_u32_b32 v5, v6, 0
	v_mbcnt_hi_u32_b32 v14, v7, v5
	v_cmp_eq_u32_e64 s[24:25], 0, v14
	v_cmp_ne_u64_e64 s[26:27], 0, v[6:7]
	s_and_b64 s[26:27], s[26:27], s[24:25]
	s_and_saveexec_b64 s[24:25], s[26:27]
	s_cbranch_execz .LBB192_27
; %bb.26:
	v_bcnt_u32_b32 v5, v6, 0
	v_bcnt_u32_b32 v5, v7, v5
	ds_write_b32 v11, v5 offset:16
.LBB192_27:
	s_or_b64 exec, exec, s[24:25]
	v_cmp_gt_i16_e64 s[24:25], 0, v10
	v_cndmask_b32_e64 v5, v15, 0, s[24:25]
	v_xor_b32_e32 v10, v5, v10
	v_cmp_ne_u16_e64 s[24:25], s28, v10
	v_cndmask_b32_e64 v5, v15, v10, s[24:25]
	v_lshrrev_b32_sdwa v5, s68, v5 dst_sel:DWORD dst_unused:UNUSED_PAD src0_sel:DWORD src1_sel:WORD_0
	v_and_b32_e32 v6, s74, v5
	v_mul_u32_u24_e32 v5, 5, v6
	v_add_lshl_u32 v17, v23, v5, 2
	v_and_b32_e32 v5, 1, v6
	v_add_co_u32_e64 v7, s[24:25], -1, v5
	v_addc_co_u32_e64 v18, s[24:25], 0, -1, s[24:25]
	v_cmp_ne_u32_e64 s[24:25], 0, v5
	v_xor_b32_e32 v5, s25, v18
	v_and_b32_e32 v18, exec_hi, v5
	v_lshlrev_b32_e32 v5, 30, v6
	v_xor_b32_e32 v7, s24, v7
	v_cmp_gt_i64_e64 s[24:25], 0, v[4:5]
	v_not_b32_e32 v5, v5
	v_ashrrev_i32_e32 v5, 31, v5
	v_and_b32_e32 v7, exec_lo, v7
	v_xor_b32_e32 v20, s25, v5
	v_xor_b32_e32 v5, s24, v5
	v_and_b32_e32 v7, v7, v5
	v_lshlrev_b32_e32 v5, 29, v6
	v_cmp_gt_i64_e64 s[24:25], 0, v[4:5]
	v_not_b32_e32 v5, v5
	v_ashrrev_i32_e32 v5, 31, v5
	v_and_b32_e32 v18, v18, v20
	v_xor_b32_e32 v20, s25, v5
	v_xor_b32_e32 v5, s24, v5
	v_and_b32_e32 v7, v7, v5
	v_lshlrev_b32_e32 v5, 28, v6
	v_cmp_gt_i64_e64 s[24:25], 0, v[4:5]
	v_not_b32_e32 v5, v5
	v_ashrrev_i32_e32 v5, 31, v5
	v_and_b32_e32 v18, v18, v20
	;; [unrolled: 8-line block ×5, first 2 shown]
	v_xor_b32_e32 v20, s25, v5
	v_xor_b32_e32 v5, s24, v5
	v_and_b32_e32 v7, v7, v5
	v_lshlrev_b32_e32 v5, 24, v6
	v_cmp_gt_i64_e64 s[24:25], 0, v[4:5]
	v_not_b32_e32 v4, v5
	v_ashrrev_i32_e32 v4, 31, v4
	v_xor_b32_e32 v5, s25, v4
	v_xor_b32_e32 v4, s24, v4
	; wave barrier
	ds_read_b32 v15, v17 offset:16
	v_and_b32_e32 v18, v18, v20
	v_and_b32_e32 v4, v7, v4
	;; [unrolled: 1-line block ×3, first 2 shown]
	v_mbcnt_lo_u32_b32 v6, v4, 0
	v_mbcnt_hi_u32_b32 v18, v5, v6
	v_cmp_eq_u32_e64 s[24:25], 0, v18
	v_cmp_ne_u64_e64 s[26:27], 0, v[4:5]
	s_and_b64 s[26:27], s[26:27], s[24:25]
	; wave barrier
	s_and_saveexec_b64 s[24:25], s[26:27]
	s_cbranch_execz .LBB192_29
; %bb.28:
	v_bcnt_u32_b32 v4, v4, 0
	v_bcnt_u32_b32 v4, v5, v4
	s_waitcnt lgkmcnt(0)
	v_add_u32_e32 v4, v15, v4
	ds_write_b32 v17, v4 offset:16
.LBB192_29:
	s_or_b64 exec, exec, s[24:25]
	v_mov_b32_e32 v26, 0x7fff
	v_cmp_gt_i16_e64 s[24:25], 0, v19
	v_cndmask_b32_e64 v5, v26, 0, s[24:25]
	v_xor_b32_e32 v19, v5, v19
	v_cmp_ne_u16_e64 s[24:25], s28, v19
	v_cndmask_b32_e64 v5, v26, v19, s[24:25]
	v_lshrrev_b32_sdwa v5, s68, v5 dst_sel:DWORD dst_unused:UNUSED_PAD src0_sel:DWORD src1_sel:WORD_0
	v_and_b32_e32 v6, s74, v5
	v_mul_u32_u24_e32 v5, 5, v6
	v_add_lshl_u32 v22, v23, v5, 2
	v_and_b32_e32 v5, 1, v6
	v_add_co_u32_e64 v7, s[24:25], -1, v5
	v_addc_co_u32_e64 v25, s[24:25], 0, -1, s[24:25]
	v_cmp_ne_u32_e64 s[24:25], 0, v5
	v_xor_b32_e32 v5, s25, v25
	v_mov_b32_e32 v4, 0
	v_and_b32_e32 v25, exec_hi, v5
	v_lshlrev_b32_e32 v5, 30, v6
	v_xor_b32_e32 v7, s24, v7
	v_cmp_gt_i64_e64 s[24:25], 0, v[4:5]
	v_not_b32_e32 v5, v5
	v_ashrrev_i32_e32 v5, 31, v5
	v_and_b32_e32 v7, exec_lo, v7
	v_xor_b32_e32 v28, s25, v5
	v_xor_b32_e32 v5, s24, v5
	v_and_b32_e32 v7, v7, v5
	v_lshlrev_b32_e32 v5, 29, v6
	v_cmp_gt_i64_e64 s[24:25], 0, v[4:5]
	v_not_b32_e32 v5, v5
	v_ashrrev_i32_e32 v5, 31, v5
	v_and_b32_e32 v25, v25, v28
	v_xor_b32_e32 v28, s25, v5
	v_xor_b32_e32 v5, s24, v5
	v_and_b32_e32 v7, v7, v5
	v_lshlrev_b32_e32 v5, 28, v6
	v_cmp_gt_i64_e64 s[24:25], 0, v[4:5]
	v_not_b32_e32 v5, v5
	v_ashrrev_i32_e32 v5, 31, v5
	v_and_b32_e32 v25, v25, v28
	;; [unrolled: 8-line block ×5, first 2 shown]
	v_xor_b32_e32 v28, s25, v5
	v_xor_b32_e32 v5, s24, v5
	v_and_b32_e32 v25, v25, v28
	v_and_b32_e32 v28, v7, v5
	v_lshlrev_b32_e32 v5, 24, v6
	v_cmp_gt_i64_e64 s[24:25], 0, v[4:5]
	v_not_b32_e32 v5, v5
	v_ashrrev_i32_e32 v5, 31, v5
	v_xor_b32_e32 v6, s25, v5
	v_xor_b32_e32 v5, s24, v5
	; wave barrier
	ds_read_b32 v20, v22 offset:16
	v_and_b32_e32 v7, v25, v6
	v_and_b32_e32 v6, v28, v5
	v_mbcnt_lo_u32_b32 v5, v6, 0
	v_mbcnt_hi_u32_b32 v25, v7, v5
	v_cmp_eq_u32_e64 s[24:25], 0, v25
	v_cmp_ne_u64_e64 s[26:27], 0, v[6:7]
	s_and_b64 s[26:27], s[26:27], s[24:25]
	; wave barrier
	s_and_saveexec_b64 s[24:25], s[26:27]
	s_cbranch_execz .LBB192_31
; %bb.30:
	v_bcnt_u32_b32 v5, v6, 0
	v_bcnt_u32_b32 v5, v7, v5
	s_waitcnt lgkmcnt(0)
	v_add_u32_e32 v5, v20, v5
	ds_write_b32 v22, v5 offset:16
.LBB192_31:
	s_or_b64 exec, exec, s[24:25]
	v_cmp_gt_i16_e64 s[24:25], 0, v24
	v_cndmask_b32_e64 v5, v26, 0, s[24:25]
	v_xor_b32_e32 v24, v5, v24
	v_cmp_ne_u16_e64 s[24:25], s28, v24
	v_cndmask_b32_e64 v5, v26, v24, s[24:25]
	v_lshrrev_b32_sdwa v5, s68, v5 dst_sel:DWORD dst_unused:UNUSED_PAD src0_sel:DWORD src1_sel:WORD_0
	v_and_b32_e32 v6, s74, v5
	v_mul_u32_u24_e32 v5, 5, v6
	v_add_lshl_u32 v28, v23, v5, 2
	v_and_b32_e32 v5, 1, v6
	v_add_co_u32_e64 v7, s[24:25], -1, v5
	v_addc_co_u32_e64 v29, s[24:25], 0, -1, s[24:25]
	v_cmp_ne_u32_e64 s[24:25], 0, v5
	v_xor_b32_e32 v5, s25, v29
	v_and_b32_e32 v29, exec_hi, v5
	v_lshlrev_b32_e32 v5, 30, v6
	v_xor_b32_e32 v7, s24, v7
	v_cmp_gt_i64_e64 s[24:25], 0, v[4:5]
	v_not_b32_e32 v5, v5
	v_ashrrev_i32_e32 v5, 31, v5
	v_and_b32_e32 v7, exec_lo, v7
	v_xor_b32_e32 v31, s25, v5
	v_xor_b32_e32 v5, s24, v5
	v_and_b32_e32 v7, v7, v5
	v_lshlrev_b32_e32 v5, 29, v6
	v_cmp_gt_i64_e64 s[24:25], 0, v[4:5]
	v_not_b32_e32 v5, v5
	v_ashrrev_i32_e32 v5, 31, v5
	v_and_b32_e32 v29, v29, v31
	v_xor_b32_e32 v31, s25, v5
	v_xor_b32_e32 v5, s24, v5
	v_and_b32_e32 v7, v7, v5
	v_lshlrev_b32_e32 v5, 28, v6
	v_cmp_gt_i64_e64 s[24:25], 0, v[4:5]
	v_not_b32_e32 v5, v5
	v_ashrrev_i32_e32 v5, 31, v5
	v_and_b32_e32 v29, v29, v31
	;; [unrolled: 8-line block ×5, first 2 shown]
	v_xor_b32_e32 v31, s25, v5
	v_xor_b32_e32 v5, s24, v5
	v_and_b32_e32 v7, v7, v5
	v_lshlrev_b32_e32 v5, 24, v6
	v_cmp_gt_i64_e64 s[24:25], 0, v[4:5]
	v_not_b32_e32 v4, v5
	v_ashrrev_i32_e32 v4, 31, v4
	v_xor_b32_e32 v5, s25, v4
	v_xor_b32_e32 v4, s24, v4
	; wave barrier
	ds_read_b32 v26, v28 offset:16
	v_and_b32_e32 v29, v29, v31
	v_and_b32_e32 v4, v7, v4
	;; [unrolled: 1-line block ×3, first 2 shown]
	v_mbcnt_lo_u32_b32 v6, v4, 0
	v_mbcnt_hi_u32_b32 v29, v5, v6
	v_cmp_eq_u32_e64 s[24:25], 0, v29
	v_cmp_ne_u64_e64 s[26:27], 0, v[4:5]
	s_and_b64 s[26:27], s[26:27], s[24:25]
	; wave barrier
	s_and_saveexec_b64 s[24:25], s[26:27]
	s_cbranch_execz .LBB192_33
; %bb.32:
	v_bcnt_u32_b32 v4, v4, 0
	v_bcnt_u32_b32 v4, v5, v4
	s_waitcnt lgkmcnt(0)
	v_add_u32_e32 v4, v26, v4
	ds_write_b32 v28, v4 offset:16
.LBB192_33:
	s_or_b64 exec, exec, s[24:25]
	v_mov_b32_e32 v37, 0x7fff
	v_cmp_gt_i16_e64 s[24:25], 0, v30
	v_cndmask_b32_e64 v5, v37, 0, s[24:25]
	v_xor_b32_e32 v30, v5, v30
	v_cmp_ne_u16_e64 s[24:25], s28, v30
	v_cndmask_b32_e64 v5, v37, v30, s[24:25]
	v_lshrrev_b32_sdwa v5, s68, v5 dst_sel:DWORD dst_unused:UNUSED_PAD src0_sel:DWORD src1_sel:WORD_0
	v_and_b32_e32 v6, s74, v5
	v_mul_u32_u24_e32 v5, 5, v6
	v_add_lshl_u32 v33, v23, v5, 2
	v_and_b32_e32 v5, 1, v6
	v_add_co_u32_e64 v7, s[24:25], -1, v5
	v_addc_co_u32_e64 v34, s[24:25], 0, -1, s[24:25]
	v_cmp_ne_u32_e64 s[24:25], 0, v5
	v_xor_b32_e32 v5, s25, v34
	v_mov_b32_e32 v4, 0
	v_and_b32_e32 v34, exec_hi, v5
	v_lshlrev_b32_e32 v5, 30, v6
	v_xor_b32_e32 v7, s24, v7
	v_cmp_gt_i64_e64 s[24:25], 0, v[4:5]
	v_not_b32_e32 v5, v5
	v_ashrrev_i32_e32 v5, 31, v5
	v_and_b32_e32 v7, exec_lo, v7
	v_xor_b32_e32 v38, s25, v5
	v_xor_b32_e32 v5, s24, v5
	v_and_b32_e32 v7, v7, v5
	v_lshlrev_b32_e32 v5, 29, v6
	v_cmp_gt_i64_e64 s[24:25], 0, v[4:5]
	v_not_b32_e32 v5, v5
	v_ashrrev_i32_e32 v5, 31, v5
	v_and_b32_e32 v34, v34, v38
	v_xor_b32_e32 v38, s25, v5
	v_xor_b32_e32 v5, s24, v5
	v_and_b32_e32 v7, v7, v5
	v_lshlrev_b32_e32 v5, 28, v6
	v_cmp_gt_i64_e64 s[24:25], 0, v[4:5]
	v_not_b32_e32 v5, v5
	v_ashrrev_i32_e32 v5, 31, v5
	v_and_b32_e32 v34, v34, v38
	v_xor_b32_e32 v38, s25, v5
	v_xor_b32_e32 v5, s24, v5
	v_and_b32_e32 v7, v7, v5
	v_lshlrev_b32_e32 v5, 27, v6
	v_cmp_gt_i64_e64 s[24:25], 0, v[4:5]
	v_not_b32_e32 v5, v5
	v_ashrrev_i32_e32 v5, 31, v5
	v_and_b32_e32 v34, v34, v38
	v_xor_b32_e32 v38, s25, v5
	v_xor_b32_e32 v5, s24, v5
	v_and_b32_e32 v7, v7, v5
	v_lshlrev_b32_e32 v5, 26, v6
	v_cmp_gt_i64_e64 s[24:25], 0, v[4:5]
	v_not_b32_e32 v5, v5
	v_ashrrev_i32_e32 v5, 31, v5
	v_and_b32_e32 v34, v34, v38
	v_xor_b32_e32 v38, s25, v5
	v_xor_b32_e32 v5, s24, v5
	v_and_b32_e32 v7, v7, v5
	v_lshlrev_b32_e32 v5, 25, v6
	v_cmp_gt_i64_e64 s[24:25], 0, v[4:5]
	v_not_b32_e32 v5, v5
	v_ashrrev_i32_e32 v5, 31, v5
	v_and_b32_e32 v34, v34, v38
	v_xor_b32_e32 v38, s25, v5
	v_xor_b32_e32 v5, s24, v5
	v_and_b32_e32 v34, v34, v38
	v_and_b32_e32 v38, v7, v5
	v_lshlrev_b32_e32 v5, 24, v6
	v_cmp_gt_i64_e64 s[24:25], 0, v[4:5]
	v_not_b32_e32 v5, v5
	v_ashrrev_i32_e32 v5, 31, v5
	v_xor_b32_e32 v6, s25, v5
	v_xor_b32_e32 v5, s24, v5
	; wave barrier
	ds_read_b32 v31, v33 offset:16
	v_and_b32_e32 v7, v34, v6
	v_and_b32_e32 v6, v38, v5
	v_mbcnt_lo_u32_b32 v5, v6, 0
	v_mbcnt_hi_u32_b32 v34, v7, v5
	v_cmp_eq_u32_e64 s[24:25], 0, v34
	v_cmp_ne_u64_e64 s[26:27], 0, v[6:7]
	s_and_b64 s[26:27], s[26:27], s[24:25]
	; wave barrier
	s_and_saveexec_b64 s[24:25], s[26:27]
	s_cbranch_execz .LBB192_35
; %bb.34:
	v_bcnt_u32_b32 v5, v6, 0
	v_bcnt_u32_b32 v5, v7, v5
	s_waitcnt lgkmcnt(0)
	v_add_u32_e32 v5, v31, v5
	ds_write_b32 v33, v5 offset:16
.LBB192_35:
	s_or_b64 exec, exec, s[24:25]
	v_cmp_gt_i16_e64 s[24:25], 0, v36
	v_cndmask_b32_e64 v5, v37, 0, s[24:25]
	v_xor_b32_e32 v46, v5, v36
	v_cmp_ne_u16_e64 s[24:25], s28, v46
	v_cndmask_b32_e64 v5, v37, v46, s[24:25]
	v_lshrrev_b32_sdwa v5, s68, v5 dst_sel:DWORD dst_unused:UNUSED_PAD src0_sel:DWORD src1_sel:WORD_0
	v_and_b32_e32 v6, s74, v5
	v_mul_u32_u24_e32 v5, 5, v6
	v_add_lshl_u32 v37, v23, v5, 2
	v_and_b32_e32 v5, 1, v6
	v_add_co_u32_e64 v7, s[24:25], -1, v5
	v_addc_co_u32_e64 v38, s[24:25], 0, -1, s[24:25]
	v_cmp_ne_u32_e64 s[24:25], 0, v5
	v_xor_b32_e32 v5, s25, v38
	v_and_b32_e32 v38, exec_hi, v5
	v_lshlrev_b32_e32 v5, 30, v6
	v_xor_b32_e32 v7, s24, v7
	v_cmp_gt_i64_e64 s[24:25], 0, v[4:5]
	v_not_b32_e32 v5, v5
	v_ashrrev_i32_e32 v5, 31, v5
	v_and_b32_e32 v7, exec_lo, v7
	v_xor_b32_e32 v40, s25, v5
	v_xor_b32_e32 v5, s24, v5
	v_and_b32_e32 v7, v7, v5
	v_lshlrev_b32_e32 v5, 29, v6
	v_cmp_gt_i64_e64 s[24:25], 0, v[4:5]
	v_not_b32_e32 v5, v5
	v_ashrrev_i32_e32 v5, 31, v5
	v_and_b32_e32 v38, v38, v40
	v_xor_b32_e32 v40, s25, v5
	v_xor_b32_e32 v5, s24, v5
	v_and_b32_e32 v7, v7, v5
	v_lshlrev_b32_e32 v5, 28, v6
	v_cmp_gt_i64_e64 s[24:25], 0, v[4:5]
	v_not_b32_e32 v5, v5
	v_ashrrev_i32_e32 v5, 31, v5
	v_and_b32_e32 v38, v38, v40
	;; [unrolled: 8-line block ×5, first 2 shown]
	v_xor_b32_e32 v40, s25, v5
	v_xor_b32_e32 v5, s24, v5
	v_and_b32_e32 v7, v7, v5
	v_lshlrev_b32_e32 v5, 24, v6
	v_cmp_gt_i64_e64 s[24:25], 0, v[4:5]
	v_not_b32_e32 v4, v5
	v_ashrrev_i32_e32 v4, 31, v4
	v_xor_b32_e32 v5, s25, v4
	v_xor_b32_e32 v4, s24, v4
	; wave barrier
	ds_read_b32 v36, v37 offset:16
	v_and_b32_e32 v38, v38, v40
	v_and_b32_e32 v4, v7, v4
	;; [unrolled: 1-line block ×3, first 2 shown]
	v_mbcnt_lo_u32_b32 v6, v4, 0
	v_mbcnt_hi_u32_b32 v38, v5, v6
	v_cmp_eq_u32_e64 s[24:25], 0, v38
	v_cmp_ne_u64_e64 s[26:27], 0, v[4:5]
	s_and_b64 s[26:27], s[26:27], s[24:25]
	; wave barrier
	s_and_saveexec_b64 s[24:25], s[26:27]
	s_cbranch_execz .LBB192_37
; %bb.36:
	v_bcnt_u32_b32 v4, v4, 0
	v_bcnt_u32_b32 v4, v5, v4
	s_waitcnt lgkmcnt(0)
	v_add_u32_e32 v4, v36, v4
	ds_write_b32 v37, v4 offset:16
.LBB192_37:
	s_or_b64 exec, exec, s[24:25]
	v_mov_b32_e32 v41, 0x7fff
	v_cmp_gt_i16_e64 s[24:25], 0, v39
	v_cndmask_b32_e64 v5, v41, 0, s[24:25]
	v_xor_b32_e32 v47, v5, v39
	v_cmp_ne_u16_e64 s[24:25], s28, v47
	v_cndmask_b32_e64 v5, v41, v47, s[24:25]
	v_lshrrev_b32_sdwa v5, s68, v5 dst_sel:DWORD dst_unused:UNUSED_PAD src0_sel:DWORD src1_sel:WORD_0
	v_and_b32_e32 v6, s74, v5
	v_mul_u32_u24_e32 v5, 5, v6
	v_add_lshl_u32 v40, v23, v5, 2
	v_and_b32_e32 v5, 1, v6
	v_add_co_u32_e64 v7, s[24:25], -1, v5
	v_addc_co_u32_e64 v42, s[24:25], 0, -1, s[24:25]
	v_cmp_ne_u32_e64 s[24:25], 0, v5
	v_xor_b32_e32 v5, s25, v42
	v_mov_b32_e32 v4, 0
	v_and_b32_e32 v42, exec_hi, v5
	v_lshlrev_b32_e32 v5, 30, v6
	v_xor_b32_e32 v7, s24, v7
	v_cmp_gt_i64_e64 s[24:25], 0, v[4:5]
	v_not_b32_e32 v5, v5
	v_ashrrev_i32_e32 v5, 31, v5
	v_and_b32_e32 v7, exec_lo, v7
	v_xor_b32_e32 v43, s25, v5
	v_xor_b32_e32 v5, s24, v5
	v_and_b32_e32 v7, v7, v5
	v_lshlrev_b32_e32 v5, 29, v6
	v_cmp_gt_i64_e64 s[24:25], 0, v[4:5]
	v_not_b32_e32 v5, v5
	v_ashrrev_i32_e32 v5, 31, v5
	v_and_b32_e32 v42, v42, v43
	v_xor_b32_e32 v43, s25, v5
	v_xor_b32_e32 v5, s24, v5
	v_and_b32_e32 v7, v7, v5
	v_lshlrev_b32_e32 v5, 28, v6
	v_cmp_gt_i64_e64 s[24:25], 0, v[4:5]
	v_not_b32_e32 v5, v5
	v_ashrrev_i32_e32 v5, 31, v5
	v_and_b32_e32 v42, v42, v43
	;; [unrolled: 8-line block ×5, first 2 shown]
	v_xor_b32_e32 v43, s25, v5
	v_xor_b32_e32 v5, s24, v5
	v_and_b32_e32 v42, v42, v43
	v_and_b32_e32 v43, v7, v5
	v_lshlrev_b32_e32 v5, 24, v6
	v_cmp_gt_i64_e64 s[24:25], 0, v[4:5]
	v_not_b32_e32 v5, v5
	v_ashrrev_i32_e32 v5, 31, v5
	v_xor_b32_e32 v6, s25, v5
	v_xor_b32_e32 v5, s24, v5
	; wave barrier
	ds_read_b32 v39, v40 offset:16
	v_and_b32_e32 v7, v42, v6
	v_and_b32_e32 v6, v43, v5
	v_mbcnt_lo_u32_b32 v5, v6, 0
	v_mbcnt_hi_u32_b32 v49, v7, v5
	v_cmp_eq_u32_e64 s[24:25], 0, v49
	v_cmp_ne_u64_e64 s[26:27], 0, v[6:7]
	s_and_b64 s[26:27], s[26:27], s[24:25]
	; wave barrier
	s_and_saveexec_b64 s[24:25], s[26:27]
	s_cbranch_execz .LBB192_39
; %bb.38:
	v_bcnt_u32_b32 v5, v6, 0
	v_bcnt_u32_b32 v5, v7, v5
	s_waitcnt lgkmcnt(0)
	v_add_u32_e32 v5, v39, v5
	ds_write_b32 v40, v5 offset:16
.LBB192_39:
	s_or_b64 exec, exec, s[24:25]
	v_cmp_gt_i16_e64 s[24:25], 0, v35
	v_cndmask_b32_e64 v5, v41, 0, s[24:25]
	v_xor_b32_e32 v48, v5, v35
	v_cmp_ne_u16_e64 s[24:25], s28, v48
	v_cndmask_b32_e64 v5, v41, v48, s[24:25]
	v_lshrrev_b32_sdwa v5, s68, v5 dst_sel:DWORD dst_unused:UNUSED_PAD src0_sel:DWORD src1_sel:WORD_0
	v_and_b32_e32 v6, s74, v5
	v_mul_u32_u24_e32 v5, 5, v6
	v_add_lshl_u32 v41, v23, v5, 2
	v_and_b32_e32 v5, 1, v6
	v_add_co_u32_e64 v7, s[24:25], -1, v5
	v_addc_co_u32_e64 v42, s[24:25], 0, -1, s[24:25]
	v_cmp_ne_u32_e64 s[24:25], 0, v5
	v_xor_b32_e32 v5, s25, v42
	v_and_b32_e32 v42, exec_hi, v5
	v_lshlrev_b32_e32 v5, 30, v6
	v_xor_b32_e32 v7, s24, v7
	v_cmp_gt_i64_e64 s[24:25], 0, v[4:5]
	v_not_b32_e32 v5, v5
	v_ashrrev_i32_e32 v5, 31, v5
	v_and_b32_e32 v7, exec_lo, v7
	v_xor_b32_e32 v43, s25, v5
	v_xor_b32_e32 v5, s24, v5
	v_and_b32_e32 v7, v7, v5
	v_lshlrev_b32_e32 v5, 29, v6
	v_cmp_gt_i64_e64 s[24:25], 0, v[4:5]
	v_not_b32_e32 v5, v5
	v_ashrrev_i32_e32 v5, 31, v5
	v_and_b32_e32 v42, v42, v43
	v_xor_b32_e32 v43, s25, v5
	v_xor_b32_e32 v5, s24, v5
	v_and_b32_e32 v7, v7, v5
	v_lshlrev_b32_e32 v5, 28, v6
	v_cmp_gt_i64_e64 s[24:25], 0, v[4:5]
	v_not_b32_e32 v5, v5
	v_ashrrev_i32_e32 v5, 31, v5
	v_and_b32_e32 v42, v42, v43
	;; [unrolled: 8-line block ×5, first 2 shown]
	v_xor_b32_e32 v43, s25, v5
	v_xor_b32_e32 v5, s24, v5
	v_and_b32_e32 v7, v7, v5
	v_lshlrev_b32_e32 v5, 24, v6
	v_cmp_gt_i64_e64 s[24:25], 0, v[4:5]
	v_not_b32_e32 v4, v5
	v_ashrrev_i32_e32 v4, 31, v4
	v_xor_b32_e32 v5, s25, v4
	v_xor_b32_e32 v4, s24, v4
	; wave barrier
	ds_read_b32 v35, v41 offset:16
	v_and_b32_e32 v42, v42, v43
	v_and_b32_e32 v4, v7, v4
	;; [unrolled: 1-line block ×3, first 2 shown]
	v_mbcnt_lo_u32_b32 v6, v4, 0
	v_mbcnt_hi_u32_b32 v50, v5, v6
	v_cmp_eq_u32_e64 s[24:25], 0, v50
	v_cmp_ne_u64_e64 s[26:27], 0, v[4:5]
	s_and_b64 s[26:27], s[26:27], s[24:25]
	; wave barrier
	s_and_saveexec_b64 s[24:25], s[26:27]
	s_cbranch_execz .LBB192_41
; %bb.40:
	v_bcnt_u32_b32 v4, v4, 0
	v_bcnt_u32_b32 v4, v5, v4
	s_waitcnt lgkmcnt(0)
	v_add_u32_e32 v4, v35, v4
	ds_write_b32 v41, v4 offset:16
.LBB192_41:
	s_or_b64 exec, exec, s[24:25]
	v_mov_b32_e32 v43, 0x7fff
	v_cmp_gt_i16_e64 s[24:25], 0, v32
	v_cndmask_b32_e64 v5, v43, 0, s[24:25]
	v_xor_b32_e32 v32, v5, v32
	v_cmp_ne_u16_e64 s[24:25], s28, v32
	v_cndmask_b32_e64 v5, v43, v32, s[24:25]
	v_lshrrev_b32_sdwa v5, s68, v5 dst_sel:DWORD dst_unused:UNUSED_PAD src0_sel:DWORD src1_sel:WORD_0
	v_and_b32_e32 v6, s74, v5
	v_mul_u32_u24_e32 v5, 5, v6
	v_add_lshl_u32 v42, v23, v5, 2
	v_and_b32_e32 v5, 1, v6
	v_add_co_u32_e64 v7, s[24:25], -1, v5
	v_addc_co_u32_e64 v44, s[24:25], 0, -1, s[24:25]
	v_cmp_ne_u32_e64 s[24:25], 0, v5
	v_xor_b32_e32 v5, s25, v44
	v_mov_b32_e32 v4, 0
	v_and_b32_e32 v44, exec_hi, v5
	v_lshlrev_b32_e32 v5, 30, v6
	v_xor_b32_e32 v7, s24, v7
	v_cmp_gt_i64_e64 s[24:25], 0, v[4:5]
	v_not_b32_e32 v5, v5
	v_ashrrev_i32_e32 v5, 31, v5
	v_and_b32_e32 v7, exec_lo, v7
	v_xor_b32_e32 v45, s25, v5
	v_xor_b32_e32 v5, s24, v5
	v_and_b32_e32 v7, v7, v5
	v_lshlrev_b32_e32 v5, 29, v6
	v_cmp_gt_i64_e64 s[24:25], 0, v[4:5]
	v_not_b32_e32 v5, v5
	v_ashrrev_i32_e32 v5, 31, v5
	v_and_b32_e32 v44, v44, v45
	v_xor_b32_e32 v45, s25, v5
	v_xor_b32_e32 v5, s24, v5
	v_and_b32_e32 v7, v7, v5
	v_lshlrev_b32_e32 v5, 28, v6
	v_cmp_gt_i64_e64 s[24:25], 0, v[4:5]
	v_not_b32_e32 v5, v5
	v_ashrrev_i32_e32 v5, 31, v5
	v_and_b32_e32 v44, v44, v45
	;; [unrolled: 8-line block ×5, first 2 shown]
	v_xor_b32_e32 v45, s25, v5
	v_xor_b32_e32 v5, s24, v5
	v_and_b32_e32 v44, v44, v45
	v_and_b32_e32 v45, v7, v5
	v_lshlrev_b32_e32 v5, 24, v6
	v_cmp_gt_i64_e64 s[24:25], 0, v[4:5]
	v_not_b32_e32 v5, v5
	v_ashrrev_i32_e32 v5, 31, v5
	v_xor_b32_e32 v6, s25, v5
	v_xor_b32_e32 v5, s24, v5
	; wave barrier
	ds_read_b32 v51, v42 offset:16
	v_and_b32_e32 v7, v44, v6
	v_and_b32_e32 v6, v45, v5
	v_mbcnt_lo_u32_b32 v5, v6, 0
	v_mbcnt_hi_u32_b32 v52, v7, v5
	v_cmp_eq_u32_e64 s[24:25], 0, v52
	v_cmp_ne_u64_e64 s[26:27], 0, v[6:7]
	s_and_b64 s[26:27], s[26:27], s[24:25]
	; wave barrier
	s_and_saveexec_b64 s[24:25], s[26:27]
	s_cbranch_execz .LBB192_43
; %bb.42:
	v_bcnt_u32_b32 v5, v6, 0
	v_bcnt_u32_b32 v5, v7, v5
	s_waitcnt lgkmcnt(0)
	v_add_u32_e32 v5, v51, v5
	ds_write_b32 v42, v5 offset:16
.LBB192_43:
	s_or_b64 exec, exec, s[24:25]
	v_cmp_gt_i16_e64 s[24:25], 0, v27
	v_cndmask_b32_e64 v5, v43, 0, s[24:25]
	v_xor_b32_e32 v27, v5, v27
	v_cmp_ne_u16_e64 s[24:25], s28, v27
	v_cndmask_b32_e64 v5, v43, v27, s[24:25]
	v_lshrrev_b32_sdwa v5, s68, v5 dst_sel:DWORD dst_unused:UNUSED_PAD src0_sel:DWORD src1_sel:WORD_0
	v_and_b32_e32 v6, s74, v5
	v_mul_u32_u24_e32 v5, 5, v6
	v_add_lshl_u32 v43, v23, v5, 2
	v_and_b32_e32 v5, 1, v6
	v_add_co_u32_e64 v7, s[24:25], -1, v5
	v_addc_co_u32_e64 v44, s[24:25], 0, -1, s[24:25]
	v_cmp_ne_u32_e64 s[24:25], 0, v5
	v_xor_b32_e32 v5, s25, v44
	v_and_b32_e32 v44, exec_hi, v5
	v_lshlrev_b32_e32 v5, 30, v6
	v_xor_b32_e32 v7, s24, v7
	v_cmp_gt_i64_e64 s[24:25], 0, v[4:5]
	v_not_b32_e32 v5, v5
	v_ashrrev_i32_e32 v5, 31, v5
	v_and_b32_e32 v7, exec_lo, v7
	v_xor_b32_e32 v45, s25, v5
	v_xor_b32_e32 v5, s24, v5
	v_and_b32_e32 v7, v7, v5
	v_lshlrev_b32_e32 v5, 29, v6
	v_cmp_gt_i64_e64 s[24:25], 0, v[4:5]
	v_not_b32_e32 v5, v5
	v_ashrrev_i32_e32 v5, 31, v5
	v_and_b32_e32 v44, v44, v45
	v_xor_b32_e32 v45, s25, v5
	v_xor_b32_e32 v5, s24, v5
	v_and_b32_e32 v7, v7, v5
	v_lshlrev_b32_e32 v5, 28, v6
	v_cmp_gt_i64_e64 s[24:25], 0, v[4:5]
	v_not_b32_e32 v5, v5
	v_ashrrev_i32_e32 v5, 31, v5
	v_and_b32_e32 v44, v44, v45
	;; [unrolled: 8-line block ×5, first 2 shown]
	v_xor_b32_e32 v45, s25, v5
	v_xor_b32_e32 v5, s24, v5
	v_and_b32_e32 v7, v7, v5
	v_lshlrev_b32_e32 v5, 24, v6
	v_cmp_gt_i64_e64 s[24:25], 0, v[4:5]
	v_not_b32_e32 v4, v5
	v_ashrrev_i32_e32 v4, 31, v4
	v_xor_b32_e32 v5, s25, v4
	v_xor_b32_e32 v4, s24, v4
	; wave barrier
	ds_read_b32 v53, v43 offset:16
	v_and_b32_e32 v44, v44, v45
	v_and_b32_e32 v4, v7, v4
	;; [unrolled: 1-line block ×3, first 2 shown]
	v_mbcnt_lo_u32_b32 v6, v4, 0
	v_mbcnt_hi_u32_b32 v54, v5, v6
	v_cmp_eq_u32_e64 s[24:25], 0, v54
	v_cmp_ne_u64_e64 s[26:27], 0, v[4:5]
	s_and_b64 s[26:27], s[26:27], s[24:25]
	; wave barrier
	s_and_saveexec_b64 s[24:25], s[26:27]
	s_cbranch_execz .LBB192_45
; %bb.44:
	v_bcnt_u32_b32 v4, v4, 0
	v_bcnt_u32_b32 v4, v5, v4
	s_waitcnt lgkmcnt(0)
	v_add_u32_e32 v4, v53, v4
	ds_write_b32 v43, v4 offset:16
.LBB192_45:
	s_or_b64 exec, exec, s[24:25]
	v_mov_b32_e32 v45, 0x7fff
	v_cmp_gt_i16_e64 s[24:25], 0, v21
	v_cndmask_b32_e64 v5, v45, 0, s[24:25]
	v_xor_b32_e32 v21, v5, v21
	v_cmp_ne_u16_e64 s[24:25], s28, v21
	v_cndmask_b32_e64 v5, v45, v21, s[24:25]
	v_lshrrev_b32_sdwa v5, s68, v5 dst_sel:DWORD dst_unused:UNUSED_PAD src0_sel:DWORD src1_sel:WORD_0
	v_and_b32_e32 v6, s74, v5
	v_mul_u32_u24_e32 v5, 5, v6
	v_add_lshl_u32 v44, v23, v5, 2
	v_and_b32_e32 v5, 1, v6
	v_add_co_u32_e64 v7, s[24:25], -1, v5
	v_addc_co_u32_e64 v56, s[24:25], 0, -1, s[24:25]
	v_cmp_ne_u32_e64 s[24:25], 0, v5
	v_xor_b32_e32 v5, s25, v56
	v_mov_b32_e32 v4, 0
	v_and_b32_e32 v56, exec_hi, v5
	v_lshlrev_b32_e32 v5, 30, v6
	v_xor_b32_e32 v7, s24, v7
	v_cmp_gt_i64_e64 s[24:25], 0, v[4:5]
	v_not_b32_e32 v5, v5
	v_ashrrev_i32_e32 v5, 31, v5
	v_and_b32_e32 v7, exec_lo, v7
	v_xor_b32_e32 v57, s25, v5
	v_xor_b32_e32 v5, s24, v5
	v_and_b32_e32 v7, v7, v5
	v_lshlrev_b32_e32 v5, 29, v6
	v_cmp_gt_i64_e64 s[24:25], 0, v[4:5]
	v_not_b32_e32 v5, v5
	v_ashrrev_i32_e32 v5, 31, v5
	v_and_b32_e32 v56, v56, v57
	v_xor_b32_e32 v57, s25, v5
	v_xor_b32_e32 v5, s24, v5
	v_and_b32_e32 v7, v7, v5
	v_lshlrev_b32_e32 v5, 28, v6
	v_cmp_gt_i64_e64 s[24:25], 0, v[4:5]
	v_not_b32_e32 v5, v5
	v_ashrrev_i32_e32 v5, 31, v5
	v_and_b32_e32 v56, v56, v57
	;; [unrolled: 8-line block ×5, first 2 shown]
	v_xor_b32_e32 v57, s25, v5
	v_xor_b32_e32 v5, s24, v5
	v_and_b32_e32 v56, v56, v57
	v_and_b32_e32 v57, v7, v5
	v_lshlrev_b32_e32 v5, 24, v6
	v_cmp_gt_i64_e64 s[24:25], 0, v[4:5]
	v_not_b32_e32 v5, v5
	v_ashrrev_i32_e32 v5, 31, v5
	v_xor_b32_e32 v6, s25, v5
	v_xor_b32_e32 v5, s24, v5
	; wave barrier
	ds_read_b32 v55, v44 offset:16
	v_and_b32_e32 v7, v56, v6
	v_and_b32_e32 v6, v57, v5
	v_mbcnt_lo_u32_b32 v5, v6, 0
	v_mbcnt_hi_u32_b32 v56, v7, v5
	v_cmp_eq_u32_e64 s[24:25], 0, v56
	v_cmp_ne_u64_e64 s[26:27], 0, v[6:7]
	s_and_b64 s[26:27], s[26:27], s[24:25]
	; wave barrier
	s_and_saveexec_b64 s[24:25], s[26:27]
	s_cbranch_execz .LBB192_47
; %bb.46:
	v_bcnt_u32_b32 v5, v6, 0
	v_bcnt_u32_b32 v5, v7, v5
	s_waitcnt lgkmcnt(0)
	v_add_u32_e32 v5, v55, v5
	ds_write_b32 v44, v5 offset:16
.LBB192_47:
	s_or_b64 exec, exec, s[24:25]
	v_cmp_gt_i16_e64 s[24:25], 0, v16
	v_cndmask_b32_e64 v5, v45, 0, s[24:25]
	v_xor_b32_e32 v16, v5, v16
	v_cmp_ne_u16_e64 s[24:25], s28, v16
	v_cndmask_b32_e64 v5, v45, v16, s[24:25]
	v_lshrrev_b32_sdwa v5, s68, v5 dst_sel:DWORD dst_unused:UNUSED_PAD src0_sel:DWORD src1_sel:WORD_0
	v_and_b32_e32 v6, s74, v5
	v_mul_u32_u24_e32 v5, 5, v6
	v_add_lshl_u32 v45, v5, v23, 2
	v_and_b32_e32 v5, 1, v6
	v_add_co_u32_e64 v7, s[24:25], -1, v5
	v_addc_co_u32_e64 v58, s[24:25], 0, -1, s[24:25]
	v_cmp_ne_u32_e64 s[24:25], 0, v5
	v_xor_b32_e32 v5, s25, v58
	v_and_b32_e32 v58, exec_hi, v5
	v_lshlrev_b32_e32 v5, 30, v6
	v_xor_b32_e32 v7, s24, v7
	v_cmp_gt_i64_e64 s[24:25], 0, v[4:5]
	v_not_b32_e32 v5, v5
	v_ashrrev_i32_e32 v5, 31, v5
	v_and_b32_e32 v7, exec_lo, v7
	v_xor_b32_e32 v59, s25, v5
	v_xor_b32_e32 v5, s24, v5
	v_and_b32_e32 v7, v7, v5
	v_lshlrev_b32_e32 v5, 29, v6
	v_cmp_gt_i64_e64 s[24:25], 0, v[4:5]
	v_not_b32_e32 v5, v5
	v_ashrrev_i32_e32 v5, 31, v5
	v_and_b32_e32 v58, v58, v59
	v_xor_b32_e32 v59, s25, v5
	v_xor_b32_e32 v5, s24, v5
	v_and_b32_e32 v7, v7, v5
	v_lshlrev_b32_e32 v5, 28, v6
	v_cmp_gt_i64_e64 s[24:25], 0, v[4:5]
	v_not_b32_e32 v5, v5
	v_ashrrev_i32_e32 v5, 31, v5
	v_and_b32_e32 v58, v58, v59
	;; [unrolled: 8-line block ×5, first 2 shown]
	v_xor_b32_e32 v59, s25, v5
	v_xor_b32_e32 v5, s24, v5
	v_and_b32_e32 v7, v7, v5
	v_lshlrev_b32_e32 v5, 24, v6
	v_cmp_gt_i64_e64 s[24:25], 0, v[4:5]
	v_not_b32_e32 v4, v5
	v_ashrrev_i32_e32 v4, 31, v4
	v_xor_b32_e32 v5, s25, v4
	v_xor_b32_e32 v4, s24, v4
	; wave barrier
	ds_read_b32 v23, v45 offset:16
	v_and_b32_e32 v58, v58, v59
	v_and_b32_e32 v4, v7, v4
	;; [unrolled: 1-line block ×3, first 2 shown]
	v_mbcnt_lo_u32_b32 v6, v4, 0
	v_mbcnt_hi_u32_b32 v58, v5, v6
	v_cmp_eq_u32_e64 s[24:25], 0, v58
	v_cmp_ne_u64_e64 s[26:27], 0, v[4:5]
	v_add_u32_e32 v57, 16, v9
	s_and_b64 s[26:27], s[26:27], s[24:25]
	; wave barrier
	s_and_saveexec_b64 s[24:25], s[26:27]
	s_cbranch_execz .LBB192_49
; %bb.48:
	v_bcnt_u32_b32 v4, v4, 0
	v_bcnt_u32_b32 v4, v5, v4
	s_waitcnt lgkmcnt(0)
	v_add_u32_e32 v4, v23, v4
	ds_write_b32 v45, v4 offset:16
.LBB192_49:
	s_or_b64 exec, exec, s[24:25]
	; wave barrier
	s_waitcnt lgkmcnt(0)
	s_barrier
	ds_read2_b32 v[6:7], v9 offset0:4 offset1:5
	ds_read2_b32 v[4:5], v57 offset0:2 offset1:3
	ds_read_b32 v59, v57 offset:16
	v_min_u32_e32 v3, 0xc0, v3
	v_or_b32_e32 v3, 63, v3
	s_waitcnt lgkmcnt(1)
	v_add3_u32 v60, v7, v6, v4
	s_waitcnt lgkmcnt(0)
	v_add3_u32 v59, v60, v5, v59
	v_and_b32_e32 v60, 15, v13
	v_cmp_ne_u32_e64 s[24:25], 0, v60
	v_mov_b32_dpp v61, v59 row_shr:1 row_mask:0xf bank_mask:0xf
	v_cndmask_b32_e64 v61, 0, v61, s[24:25]
	v_add_u32_e32 v59, v61, v59
	v_cmp_lt_u32_e64 s[24:25], 1, v60
	s_nop 0
	v_mov_b32_dpp v61, v59 row_shr:2 row_mask:0xf bank_mask:0xf
	v_cndmask_b32_e64 v61, 0, v61, s[24:25]
	v_add_u32_e32 v59, v59, v61
	v_cmp_lt_u32_e64 s[24:25], 3, v60
	s_nop 0
	;; [unrolled: 5-line block ×3, first 2 shown]
	v_mov_b32_dpp v61, v59 row_shr:8 row_mask:0xf bank_mask:0xf
	v_cndmask_b32_e64 v60, 0, v61, s[24:25]
	v_add_u32_e32 v59, v59, v60
	v_bfe_i32 v61, v13, 4, 1
	v_cmp_lt_u32_e64 s[24:25], 31, v13
	v_mov_b32_dpp v60, v59 row_bcast:15 row_mask:0xf bank_mask:0xf
	v_and_b32_e32 v60, v61, v60
	v_add_u32_e32 v59, v59, v60
	s_nop 1
	v_mov_b32_dpp v60, v59 row_bcast:31 row_mask:0xf bank_mask:0xf
	v_cndmask_b32_e64 v60, 0, v60, s[24:25]
	v_add_u32_e32 v59, v59, v60
	v_lshrrev_b32_e32 v60, 6, v2
	v_cmp_eq_u32_e64 s[24:25], v3, v2
	s_and_saveexec_b64 s[26:27], s[24:25]
	s_cbranch_execz .LBB192_51
; %bb.50:
	v_lshlrev_b32_e32 v3, 2, v60
	ds_write_b32 v3, v59
.LBB192_51:
	s_or_b64 exec, exec, s[26:27]
	v_cmp_gt_u32_e64 s[24:25], 4, v2
	s_waitcnt lgkmcnt(0)
	s_barrier
	s_and_saveexec_b64 s[26:27], s[24:25]
	s_cbranch_execz .LBB192_53
; %bb.52:
	v_lshlrev_b32_e32 v3, 2, v2
	ds_read_b32 v61, v3
	v_and_b32_e32 v62, 3, v13
	v_cmp_ne_u32_e64 s[24:25], 0, v62
	s_waitcnt lgkmcnt(0)
	v_mov_b32_dpp v63, v61 row_shr:1 row_mask:0xf bank_mask:0xf
	v_cndmask_b32_e64 v63, 0, v63, s[24:25]
	v_add_u32_e32 v61, v63, v61
	v_cmp_lt_u32_e64 s[24:25], 1, v62
	s_nop 0
	v_mov_b32_dpp v63, v61 row_shr:2 row_mask:0xf bank_mask:0xf
	v_cndmask_b32_e64 v62, 0, v63, s[24:25]
	v_add_u32_e32 v61, v61, v62
	ds_write_b32 v3, v61
.LBB192_53:
	s_or_b64 exec, exec, s[26:27]
	v_cmp_lt_u32_e64 s[24:25], 63, v2
	v_mov_b32_e32 v3, 0
	s_waitcnt lgkmcnt(0)
	s_barrier
	s_and_saveexec_b64 s[26:27], s[24:25]
	s_cbranch_execz .LBB192_55
; %bb.54:
	v_lshl_add_u32 v3, v60, 2, -4
	ds_read_b32 v3, v3
.LBB192_55:
	s_or_b64 exec, exec, s[26:27]
	v_add_u32_e32 v60, -1, v13
	v_and_b32_e32 v61, 64, v13
	v_cmp_lt_i32_e64 s[24:25], v60, v61
	v_cndmask_b32_e64 v60, v60, v13, s[24:25]
	s_waitcnt lgkmcnt(0)
	v_add_u32_e32 v59, v3, v59
	v_lshlrev_b32_e32 v60, 2, v60
	ds_bpermute_b32 v59, v60, v59
	v_cmp_eq_u32_e64 s[24:25], 0, v13
	s_waitcnt lgkmcnt(0)
	v_cndmask_b32_e64 v3, v59, v3, s[24:25]
	v_cmp_ne_u32_e64 s[24:25], 0, v2
	v_cndmask_b32_e64 v3, 0, v3, s[24:25]
	v_add_u32_e32 v6, v3, v6
	v_add_u32_e32 v7, v6, v7
	;; [unrolled: 1-line block ×4, first 2 shown]
	ds_write2_b32 v9, v3, v6 offset0:4 offset1:5
	ds_write2_b32 v57, v7, v4 offset0:2 offset1:3
	ds_write_b32 v57, v5 offset:16
	s_waitcnt lgkmcnt(0)
	s_barrier
	ds_read_b32 v5, v17 offset:16
	ds_read_b32 v6, v22 offset:16
	;; [unrolled: 1-line block ×13, first 2 shown]
	v_add_u32_e32 v9, 1, v2
	s_movk_i32 s24, 0x100
	v_cmp_ne_u32_e64 s[24:25], s24, v9
	v_mov_b32_e32 v3, 0xc00
	s_and_saveexec_b64 s[26:27], s[24:25]
	s_cbranch_execz .LBB192_57
; %bb.56:
	v_mul_u32_u24_e32 v3, 5, v9
	v_lshlrev_b32_e32 v3, 2, v3
	ds_read_b32 v3, v3 offset:16
.LBB192_57:
	s_or_b64 exec, exec, s[26:27]
	s_waitcnt lgkmcnt(1)
	v_add_u32_e32 v45, v11, v14
	v_add3_u32 v44, v18, v15, v5
	v_lshlrev_b32_e32 v5, 1, v45
	v_add3_u32 v43, v25, v20, v6
	s_waitcnt lgkmcnt(0)
	s_barrier
	ds_write_b16 v5, v8 offset:2048
	v_lshlrev_b32_e32 v5, 1, v44
	v_add3_u32 v42, v29, v26, v7
	ds_write_b16 v5, v10 offset:2048
	v_lshlrev_b32_e32 v5, 1, v43
	v_add3_u32 v41, v34, v31, v17
	;; [unrolled: 3-line block ×8, first 2 shown]
	ds_write_b16 v5, v32 offset:2048
	v_lshlrev_b32_e32 v5, 1, v36
	v_lshl_add_u32 v6, s6, 8, v2
	v_mov_b32_e32 v7, 0
	v_add3_u32 v34, v58, v23, v60
	ds_write_b16 v5, v27 offset:2048
	v_lshlrev_b32_e32 v5, 1, v35
	v_lshlrev_b64 v[8:9], 2, v[6:7]
	ds_write_b16 v5, v21 offset:2048
	v_lshlrev_b32_e32 v5, 1, v34
	v_sub_u32_e32 v32, v3, v4
	v_mov_b32_e32 v3, s73
	v_add_co_u32_e64 v8, s[24:25], s72, v8
	ds_write_b16 v5, v16 offset:2048
	v_addc_co_u32_e64 v9, s[24:25], v3, v9, s[24:25]
	v_or_b32_e32 v5, 2.0, v32
	s_waitcnt lgkmcnt(0)
	s_barrier
	global_store_dword v[8:9], v5, off
	s_mov_b64 s[26:27], 0
	s_brev_b32 s34, 1
	s_mov_b32 s35, s7
	v_mov_b32_e32 v5, 0
                                        ; implicit-def: $sgpr24_sgpr25
	s_branch .LBB192_59
.LBB192_58:                             ;   in Loop: Header=BB192_59 Depth=1
	s_or_b64 exec, exec, s[28:29]
	v_and_b32_e32 v10, 0x3fffffff, v14
	v_add_u32_e32 v5, v10, v5
	v_cmp_eq_u32_e64 s[24:25], s34, v6
	s_and_b64 s[28:29], exec, s[24:25]
	s_or_b64 s[26:27], s[28:29], s[26:27]
	s_andn2_b64 exec, exec, s[26:27]
	s_cbranch_execz .LBB192_65
.LBB192_59:                             ; =>This Loop Header: Depth=1
                                        ;     Child Loop BB192_62 Depth 2
	s_or_b64 s[24:25], s[24:25], exec
	s_cmp_eq_u32 s35, 0
	s_cbranch_scc1 .LBB192_64
; %bb.60:                               ;   in Loop: Header=BB192_59 Depth=1
	s_add_i32 s35, s35, -1
	v_lshl_add_u32 v6, s35, 8, v2
	v_lshlrev_b64 v[10:11], 2, v[6:7]
	v_add_co_u32_e64 v10, s[24:25], s72, v10
	v_addc_co_u32_e64 v11, s[24:25], v3, v11, s[24:25]
	global_load_dword v14, v[10:11], off glc
	s_waitcnt vmcnt(0)
	v_and_b32_e32 v6, -2.0, v14
	v_cmp_eq_u32_e64 s[24:25], 0, v6
	s_and_saveexec_b64 s[28:29], s[24:25]
	s_cbranch_execz .LBB192_58
; %bb.61:                               ;   in Loop: Header=BB192_59 Depth=1
	s_mov_b64 s[30:31], 0
.LBB192_62:                             ;   Parent Loop BB192_59 Depth=1
                                        ; =>  This Inner Loop Header: Depth=2
	global_load_dword v14, v[10:11], off glc
	s_waitcnt vmcnt(0)
	v_and_b32_e32 v6, -2.0, v14
	v_cmp_ne_u32_e64 s[24:25], 0, v6
	s_or_b64 s[30:31], s[24:25], s[30:31]
	s_andn2_b64 exec, exec, s[30:31]
	s_cbranch_execnz .LBB192_62
; %bb.63:                               ;   in Loop: Header=BB192_59 Depth=1
	s_or_b64 exec, exec, s[30:31]
	s_branch .LBB192_58
.LBB192_64:                             ;   in Loop: Header=BB192_59 Depth=1
                                        ; implicit-def: $sgpr35
	s_and_b64 s[28:29], exec, s[24:25]
	s_or_b64 s[26:27], s[28:29], s[26:27]
	s_andn2_b64 exec, exec, s[26:27]
	s_cbranch_execnz .LBB192_59
.LBB192_65:
	s_or_b64 exec, exec, s[26:27]
	v_add_u32_e32 v3, v5, v32
	v_or_b32_e32 v3, 0x80000000, v3
	global_store_dword v[8:9], v3, off
	v_lshlrev_b32_e32 v33, 3, v2
	global_load_dwordx2 v[6:7], v33, s[64:65]
	v_sub_co_u32_e64 v8, s[24:25], v5, v4
	v_subb_co_u32_e64 v9, s[24:25], 0, 0, s[24:25]
	v_mov_b32_e32 v3, 0
	v_mov_b32_e32 v5, v3
	s_waitcnt vmcnt(0)
	v_add_co_u32_e64 v6, s[24:25], v8, v6
	v_addc_co_u32_e64 v7, s[24:25], v9, v7, s[24:25]
	v_cmp_gt_u32_e64 s[24:25], s70, v2
	ds_write_b64 v33, v[6:7]
	s_waitcnt lgkmcnt(0)
	s_barrier
	s_and_saveexec_b64 s[28:29], s[24:25]
	s_cbranch_execz .LBB192_67
; %bb.66:
	v_mad_i32_i24 v6, v2, -6, v33
	ds_read_u16 v8, v6 offset:2048
	s_movk_i32 s26, 0x8000
	v_mov_b32_e32 v9, 0x7fff
	v_mov_b32_e32 v10, s59
	s_waitcnt lgkmcnt(0)
	v_cmp_ne_u16_e64 s[26:27], s26, v8
	v_cndmask_b32_e64 v6, v9, v8, s[26:27]
	v_lshrrev_b32_sdwa v6, s68, v6 dst_sel:DWORD dst_unused:UNUSED_PAD src0_sel:DWORD src1_sel:WORD_0
	v_and_b32_e32 v6, s74, v6
	v_lshlrev_b32_e32 v6, 3, v6
	ds_read_b64 v[6:7], v6
	v_cmp_gt_i16_e64 s[26:27], 0, v8
	v_cndmask_b32_e64 v9, v9, 0, s[26:27]
	v_xor_b32_e32 v8, v9, v8
	v_lshlrev_b32_e32 v9, 1, v2
	s_waitcnt lgkmcnt(0)
	v_lshlrev_b64 v[6:7], 1, v[6:7]
	v_add_co_u32_e64 v6, s[26:27], s58, v6
	v_addc_co_u32_e64 v7, s[26:27], v10, v7, s[26:27]
	v_add_co_u32_e64 v6, s[26:27], v6, v9
	v_addc_co_u32_e64 v7, s[26:27], 0, v7, s[26:27]
	global_store_short v[6:7], v8, off
.LBB192_67:
	s_or_b64 exec, exec, s[28:29]
	v_add_u32_e32 v6, 0x100, v2
	v_cmp_gt_u32_e64 s[26:27], s70, v6
	s_and_saveexec_b64 s[30:31], s[26:27]
	s_cbranch_execz .LBB192_69
; %bb.68:
	v_lshlrev_b32_e32 v8, 1, v2
	ds_read_u16 v9, v8 offset:2560
	s_movk_i32 s28, 0x8000
	v_mov_b32_e32 v10, 0x7fff
	v_mov_b32_e32 v11, s59
	s_waitcnt lgkmcnt(0)
	v_cmp_ne_u16_e64 s[28:29], s28, v9
	v_cndmask_b32_e64 v6, v10, v9, s[28:29]
	v_lshrrev_b32_sdwa v6, s68, v6 dst_sel:DWORD dst_unused:UNUSED_PAD src0_sel:DWORD src1_sel:WORD_0
	v_and_b32_e32 v6, s74, v6
	v_lshlrev_b32_e32 v6, 3, v6
	ds_read_b64 v[6:7], v6
	v_cmp_gt_i16_e64 s[28:29], 0, v9
	v_cndmask_b32_e64 v10, v10, 0, s[28:29]
	v_xor_b32_e32 v9, v10, v9
	s_waitcnt lgkmcnt(0)
	v_lshlrev_b64 v[6:7], 1, v[6:7]
	v_add_co_u32_e64 v6, s[28:29], s58, v6
	v_addc_co_u32_e64 v7, s[28:29], v11, v7, s[28:29]
	v_add_co_u32_e64 v6, s[28:29], v6, v8
	v_addc_co_u32_e64 v7, s[28:29], 0, v7, s[28:29]
	global_store_short v[6:7], v9, off offset:512
.LBB192_69:
	s_or_b64 exec, exec, s[30:31]
	v_add_u32_e32 v46, 0x200, v2
	v_cmp_gt_u32_e64 s[28:29], s70, v46
	s_and_saveexec_b64 s[34:35], s[28:29]
	s_cbranch_execz .LBB192_71
; %bb.70:
	v_lshlrev_b32_e32 v8, 1, v2
	ds_read_u16 v9, v8 offset:3072
	s_movk_i32 s30, 0x8000
	v_mov_b32_e32 v10, 0x7fff
	v_mov_b32_e32 v11, s59
	s_waitcnt lgkmcnt(0)
	v_cmp_ne_u16_e64 s[30:31], s30, v9
	v_cndmask_b32_e64 v6, v10, v9, s[30:31]
	v_lshrrev_b32_sdwa v6, s68, v6 dst_sel:DWORD dst_unused:UNUSED_PAD src0_sel:DWORD src1_sel:WORD_0
	v_and_b32_e32 v6, s74, v6
	v_lshlrev_b32_e32 v6, 3, v6
	ds_read_b64 v[6:7], v6
	v_cmp_gt_i16_e64 s[30:31], 0, v9
	v_cndmask_b32_e64 v10, v10, 0, s[30:31]
	v_xor_b32_e32 v9, v10, v9
	s_waitcnt lgkmcnt(0)
	v_lshlrev_b64 v[6:7], 1, v[6:7]
	v_add_co_u32_e64 v6, s[30:31], s58, v6
	v_addc_co_u32_e64 v7, s[30:31], v11, v7, s[30:31]
	v_add_co_u32_e64 v6, s[30:31], v6, v8
	v_addc_co_u32_e64 v7, s[30:31], 0, v7, s[30:31]
	global_store_short v[6:7], v9, off offset:1024
.LBB192_71:
	s_or_b64 exec, exec, s[34:35]
	v_add_u32_e32 v47, 0x300, v2
	v_cmp_gt_u32_e64 s[30:31], s70, v47
	s_and_saveexec_b64 s[36:37], s[30:31]
	s_cbranch_execz .LBB192_73
; %bb.72:
	v_lshlrev_b32_e32 v8, 1, v2
	ds_read_u16 v9, v8 offset:3584
	s_movk_i32 s34, 0x8000
	v_mov_b32_e32 v10, 0x7fff
	v_mov_b32_e32 v11, s59
	s_waitcnt lgkmcnt(0)
	v_cmp_ne_u16_e64 s[34:35], s34, v9
	v_cndmask_b32_e64 v6, v10, v9, s[34:35]
	v_lshrrev_b32_sdwa v6, s68, v6 dst_sel:DWORD dst_unused:UNUSED_PAD src0_sel:DWORD src1_sel:WORD_0
	v_and_b32_e32 v6, s74, v6
	v_lshlrev_b32_e32 v6, 3, v6
	ds_read_b64 v[6:7], v6
	v_cmp_gt_i16_e64 s[34:35], 0, v9
	v_cndmask_b32_e64 v10, v10, 0, s[34:35]
	v_xor_b32_e32 v9, v10, v9
	s_waitcnt lgkmcnt(0)
	v_lshlrev_b64 v[6:7], 1, v[6:7]
	v_add_co_u32_e64 v6, s[34:35], s58, v6
	v_addc_co_u32_e64 v7, s[34:35], v11, v7, s[34:35]
	v_add_co_u32_e64 v6, s[34:35], v6, v8
	v_addc_co_u32_e64 v7, s[34:35], 0, v7, s[34:35]
	global_store_short v[6:7], v9, off offset:1536
.LBB192_73:
	s_or_b64 exec, exec, s[36:37]
	v_or_b32_e32 v48, 0x400, v2
	v_cmp_gt_u32_e64 s[34:35], s70, v48
	s_and_saveexec_b64 s[38:39], s[34:35]
	s_cbranch_execz .LBB192_75
; %bb.74:
	v_lshlrev_b32_e32 v8, 1, v2
	ds_read_u16 v9, v8 offset:4096
	s_movk_i32 s36, 0x8000
	v_mov_b32_e32 v10, 0x7fff
	v_mov_b32_e32 v11, s59
	s_waitcnt lgkmcnt(0)
	v_cmp_ne_u16_e64 s[36:37], s36, v9
	v_cndmask_b32_e64 v6, v10, v9, s[36:37]
	v_lshrrev_b32_sdwa v6, s68, v6 dst_sel:DWORD dst_unused:UNUSED_PAD src0_sel:DWORD src1_sel:WORD_0
	v_and_b32_e32 v6, s74, v6
	v_lshlrev_b32_e32 v6, 3, v6
	ds_read_b64 v[6:7], v6
	v_cmp_gt_i16_e64 s[36:37], 0, v9
	v_cndmask_b32_e64 v10, v10, 0, s[36:37]
	v_xor_b32_e32 v9, v10, v9
	s_waitcnt lgkmcnt(0)
	v_lshlrev_b64 v[6:7], 1, v[6:7]
	v_add_co_u32_e64 v6, s[36:37], s58, v6
	v_addc_co_u32_e64 v7, s[36:37], v11, v7, s[36:37]
	v_add_co_u32_e64 v6, s[36:37], v6, v8
	v_addc_co_u32_e64 v7, s[36:37], 0, v7, s[36:37]
	global_store_short v[6:7], v9, off offset:2048
.LBB192_75:
	s_or_b64 exec, exec, s[38:39]
	v_add_u32_e32 v49, 0x500, v2
	v_cmp_gt_u32_e64 s[36:37], s70, v49
	s_and_saveexec_b64 s[40:41], s[36:37]
	s_cbranch_execz .LBB192_77
; %bb.76:
	v_lshlrev_b32_e32 v8, 1, v2
	ds_read_u16 v9, v8 offset:4608
	s_movk_i32 s38, 0x8000
	v_mov_b32_e32 v10, 0x7fff
	v_mov_b32_e32 v11, s59
	s_waitcnt lgkmcnt(0)
	v_cmp_ne_u16_e64 s[38:39], s38, v9
	v_cndmask_b32_e64 v6, v10, v9, s[38:39]
	v_lshrrev_b32_sdwa v6, s68, v6 dst_sel:DWORD dst_unused:UNUSED_PAD src0_sel:DWORD src1_sel:WORD_0
	v_and_b32_e32 v6, s74, v6
	v_lshlrev_b32_e32 v6, 3, v6
	ds_read_b64 v[6:7], v6
	v_cmp_gt_i16_e64 s[38:39], 0, v9
	v_cndmask_b32_e64 v10, v10, 0, s[38:39]
	v_xor_b32_e32 v9, v10, v9
	s_waitcnt lgkmcnt(0)
	v_lshlrev_b64 v[6:7], 1, v[6:7]
	v_add_co_u32_e64 v6, s[38:39], s58, v6
	v_addc_co_u32_e64 v7, s[38:39], v11, v7, s[38:39]
	v_add_co_u32_e64 v6, s[38:39], v6, v8
	v_addc_co_u32_e64 v7, s[38:39], 0, v7, s[38:39]
	global_store_short v[6:7], v9, off offset:2560
.LBB192_77:
	s_or_b64 exec, exec, s[40:41]
	v_add_u32_e32 v50, 0x600, v2
	;; [unrolled: 29-line block ×3, first 2 shown]
	v_cmp_gt_u32_e64 s[40:41], s70, v51
	s_and_saveexec_b64 s[44:45], s[40:41]
	s_cbranch_execz .LBB192_81
; %bb.80:
	v_lshlrev_b32_e32 v8, 1, v2
	ds_read_u16 v9, v8 offset:5632
	s_movk_i32 s42, 0x8000
	v_mov_b32_e32 v10, 0x7fff
	v_mov_b32_e32 v11, s59
	s_waitcnt lgkmcnt(0)
	v_cmp_ne_u16_e64 s[42:43], s42, v9
	v_cndmask_b32_e64 v6, v10, v9, s[42:43]
	v_lshrrev_b32_sdwa v6, s68, v6 dst_sel:DWORD dst_unused:UNUSED_PAD src0_sel:DWORD src1_sel:WORD_0
	v_and_b32_e32 v6, s74, v6
	v_lshlrev_b32_e32 v6, 3, v6
	ds_read_b64 v[6:7], v6
	v_cmp_gt_i16_e64 s[42:43], 0, v9
	v_cndmask_b32_e64 v10, v10, 0, s[42:43]
	v_xor_b32_e32 v9, v10, v9
	s_waitcnt lgkmcnt(0)
	v_lshlrev_b64 v[6:7], 1, v[6:7]
	v_add_co_u32_e64 v6, s[42:43], s58, v6
	v_addc_co_u32_e64 v7, s[42:43], v11, v7, s[42:43]
	v_add_co_u32_e64 v6, s[42:43], v6, v8
	v_addc_co_u32_e64 v7, s[42:43], 0, v7, s[42:43]
	global_store_short v[6:7], v9, off offset:3584
.LBB192_81:
	s_or_b64 exec, exec, s[44:45]
	v_or_b32_e32 v52, 0x800, v2
	v_cmp_gt_u32_e64 s[42:43], s70, v52
	s_and_saveexec_b64 s[46:47], s[42:43]
	s_cbranch_execz .LBB192_83
; %bb.82:
	v_lshlrev_b32_e32 v6, 1, v2
	ds_read_u16 v8, v6 offset:6144
	s_movk_i32 s44, 0x8000
	v_mov_b32_e32 v9, 0x7fff
	v_mov_b32_e32 v10, s59
	s_waitcnt lgkmcnt(0)
	v_cmp_ne_u16_e64 s[44:45], s44, v8
	v_cndmask_b32_e64 v6, v9, v8, s[44:45]
	v_lshrrev_b32_sdwa v6, s68, v6 dst_sel:DWORD dst_unused:UNUSED_PAD src0_sel:DWORD src1_sel:WORD_0
	v_and_b32_e32 v6, s74, v6
	v_lshlrev_b32_e32 v6, 3, v6
	ds_read_b64 v[6:7], v6
	v_cmp_gt_i16_e64 s[44:45], 0, v8
	v_cndmask_b32_e64 v9, v9, 0, s[44:45]
	v_xor_b32_e32 v8, v9, v8
	v_lshlrev_b32_e32 v9, 1, v52
	s_waitcnt lgkmcnt(0)
	v_lshlrev_b64 v[6:7], 1, v[6:7]
	v_add_co_u32_e64 v6, s[44:45], s58, v6
	v_addc_co_u32_e64 v7, s[44:45], v10, v7, s[44:45]
	v_add_co_u32_e64 v6, s[44:45], v6, v9
	v_addc_co_u32_e64 v7, s[44:45], 0, v7, s[44:45]
	global_store_short v[6:7], v8, off
.LBB192_83:
	s_or_b64 exec, exec, s[46:47]
	v_add_u32_e32 v53, 0x900, v2
	v_cmp_gt_u32_e64 s[44:45], s70, v53
	s_and_saveexec_b64 s[48:49], s[44:45]
	s_cbranch_execz .LBB192_85
; %bb.84:
	v_lshlrev_b32_e32 v6, 1, v2
	ds_read_u16 v8, v6 offset:6656
	s_movk_i32 s46, 0x8000
	v_mov_b32_e32 v9, 0x7fff
	v_mov_b32_e32 v10, s59
	s_waitcnt lgkmcnt(0)
	v_cmp_ne_u16_e64 s[46:47], s46, v8
	v_cndmask_b32_e64 v6, v9, v8, s[46:47]
	v_lshrrev_b32_sdwa v6, s68, v6 dst_sel:DWORD dst_unused:UNUSED_PAD src0_sel:DWORD src1_sel:WORD_0
	v_and_b32_e32 v6, s74, v6
	v_lshlrev_b32_e32 v6, 3, v6
	ds_read_b64 v[6:7], v6
	v_cmp_gt_i16_e64 s[46:47], 0, v8
	v_cndmask_b32_e64 v9, v9, 0, s[46:47]
	v_xor_b32_e32 v8, v9, v8
	v_lshlrev_b32_e32 v9, 1, v53
	s_waitcnt lgkmcnt(0)
	v_lshlrev_b64 v[6:7], 1, v[6:7]
	v_add_co_u32_e64 v6, s[46:47], s58, v6
	v_addc_co_u32_e64 v7, s[46:47], v10, v7, s[46:47]
	v_add_co_u32_e64 v6, s[46:47], v6, v9
	v_addc_co_u32_e64 v7, s[46:47], 0, v7, s[46:47]
	global_store_short v[6:7], v8, off
.LBB192_85:
	s_or_b64 exec, exec, s[48:49]
	v_add_u32_e32 v54, 0xa00, v2
	;; [unrolled: 30-line block ×3, first 2 shown]
	v_cmp_gt_u32_e64 s[48:49], s70, v55
	s_and_saveexec_b64 s[70:71], s[48:49]
	s_cbranch_execz .LBB192_89
; %bb.88:
	v_lshlrev_b32_e32 v6, 1, v2
	ds_read_u16 v8, v6 offset:7680
	s_movk_i32 s52, 0x8000
	v_mov_b32_e32 v9, 0x7fff
	v_mov_b32_e32 v10, s59
	s_waitcnt lgkmcnt(0)
	v_cmp_ne_u16_e64 s[52:53], s52, v8
	v_cndmask_b32_e64 v6, v9, v8, s[52:53]
	v_lshrrev_b32_sdwa v6, s68, v6 dst_sel:DWORD dst_unused:UNUSED_PAD src0_sel:DWORD src1_sel:WORD_0
	v_and_b32_e32 v6, s74, v6
	v_lshlrev_b32_e32 v6, 3, v6
	ds_read_b64 v[6:7], v6
	v_cmp_gt_i16_e64 s[52:53], 0, v8
	v_cndmask_b32_e64 v9, v9, 0, s[52:53]
	v_xor_b32_e32 v8, v9, v8
	v_lshlrev_b32_e32 v9, 1, v55
	s_waitcnt lgkmcnt(0)
	v_lshlrev_b64 v[6:7], 1, v[6:7]
	v_add_co_u32_e64 v6, s[52:53], s58, v6
	v_addc_co_u32_e64 v7, s[52:53], v10, v7, s[52:53]
	v_add_co_u32_e64 v6, s[52:53], v6, v9
	v_addc_co_u32_e64 v7, s[52:53], 0, v7, s[52:53]
	global_store_short v[6:7], v8, off
.LBB192_89:
	s_or_b64 exec, exec, s[70:71]
	s_lshl_b64 s[52:53], s[54:55], 3
	s_add_u32 s52, s60, s52
	s_addc_u32 s53, s61, s53
	v_lshlrev_b32_e32 v6, 3, v13
	v_mov_b32_e32 v7, s53
	v_add_co_u32_e64 v6, s[52:53], s52, v6
	v_addc_co_u32_e64 v7, s[52:53], 0, v7, s[52:53]
	v_lshlrev_b32_e32 v8, 3, v12
	v_add_co_u32_e64 v30, s[52:53], v6, v8
	v_addc_co_u32_e64 v31, s[52:53], 0, v7, s[52:53]
                                        ; implicit-def: $vgpr6_vgpr7
	s_and_saveexec_b64 s[52:53], vcc
	s_xor_b64 s[52:53], exec, s[52:53]
	s_cbranch_execnz .LBB192_174
; %bb.90:
	s_or_b64 exec, exec, s[52:53]
                                        ; implicit-def: $vgpr8_vgpr9
	s_and_saveexec_b64 s[52:53], s[0:1]
	s_cbranch_execnz .LBB192_175
.LBB192_91:
	s_or_b64 exec, exec, s[52:53]
                                        ; implicit-def: $vgpr10_vgpr11
	s_and_saveexec_b64 s[0:1], s[2:3]
	s_cbranch_execnz .LBB192_176
.LBB192_92:
	s_or_b64 exec, exec, s[0:1]
                                        ; implicit-def: $vgpr12_vgpr13
	s_and_saveexec_b64 s[0:1], s[50:51]
	s_cbranch_execnz .LBB192_177
.LBB192_93:
	s_or_b64 exec, exec, s[0:1]
                                        ; implicit-def: $vgpr14_vgpr15
	s_and_saveexec_b64 s[0:1], s[8:9]
	s_cbranch_execnz .LBB192_178
.LBB192_94:
	s_or_b64 exec, exec, s[0:1]
                                        ; implicit-def: $vgpr16_vgpr17
	s_and_saveexec_b64 s[0:1], s[12:13]
	s_cbranch_execnz .LBB192_179
.LBB192_95:
	s_or_b64 exec, exec, s[0:1]
                                        ; implicit-def: $vgpr18_vgpr19
	s_and_saveexec_b64 s[0:1], s[16:17]
	s_cbranch_execnz .LBB192_180
.LBB192_96:
	s_or_b64 exec, exec, s[0:1]
                                        ; implicit-def: $vgpr20_vgpr21
	s_and_saveexec_b64 s[0:1], s[20:21]
	s_cbranch_execnz .LBB192_181
.LBB192_97:
	s_or_b64 exec, exec, s[0:1]
                                        ; implicit-def: $vgpr22_vgpr23
	s_and_saveexec_b64 s[0:1], s[22:23]
	s_cbranch_execnz .LBB192_182
.LBB192_98:
	s_or_b64 exec, exec, s[0:1]
                                        ; implicit-def: $vgpr24_vgpr25
	s_and_saveexec_b64 s[0:1], s[18:19]
	s_cbranch_execnz .LBB192_183
.LBB192_99:
	s_or_b64 exec, exec, s[0:1]
                                        ; implicit-def: $vgpr26_vgpr27
	s_and_saveexec_b64 s[0:1], s[14:15]
	s_cbranch_execnz .LBB192_184
.LBB192_100:
	s_or_b64 exec, exec, s[0:1]
                                        ; implicit-def: $vgpr28_vgpr29
	s_and_saveexec_b64 s[0:1], s[10:11]
	s_cbranch_execnz .LBB192_185
.LBB192_101:
	s_or_b64 exec, exec, s[0:1]
                                        ; implicit-def: $vgpr65
	s_and_saveexec_b64 s[0:1], s[24:25]
	s_cbranch_execnz .LBB192_186
.LBB192_102:
	s_or_b64 exec, exec, s[0:1]
                                        ; implicit-def: $vgpr64
	s_and_saveexec_b64 s[0:1], s[26:27]
	s_cbranch_execnz .LBB192_187
.LBB192_103:
	s_or_b64 exec, exec, s[0:1]
                                        ; implicit-def: $vgpr63
	s_and_saveexec_b64 s[0:1], s[28:29]
	s_cbranch_execnz .LBB192_188
.LBB192_104:
	s_or_b64 exec, exec, s[0:1]
                                        ; implicit-def: $vgpr62
	s_and_saveexec_b64 s[0:1], s[30:31]
	s_cbranch_execnz .LBB192_189
.LBB192_105:
	s_or_b64 exec, exec, s[0:1]
                                        ; implicit-def: $vgpr61
	s_and_saveexec_b64 s[0:1], s[34:35]
	s_cbranch_execnz .LBB192_190
.LBB192_106:
	s_or_b64 exec, exec, s[0:1]
                                        ; implicit-def: $vgpr60
	s_and_saveexec_b64 s[0:1], s[36:37]
	s_cbranch_execnz .LBB192_191
.LBB192_107:
	s_or_b64 exec, exec, s[0:1]
                                        ; implicit-def: $vgpr59
	s_and_saveexec_b64 s[0:1], s[38:39]
	s_cbranch_execnz .LBB192_192
.LBB192_108:
	s_or_b64 exec, exec, s[0:1]
                                        ; implicit-def: $vgpr58
	s_and_saveexec_b64 s[0:1], s[40:41]
	s_cbranch_execnz .LBB192_193
.LBB192_109:
	s_or_b64 exec, exec, s[0:1]
                                        ; implicit-def: $vgpr57
	s_and_saveexec_b64 s[0:1], s[42:43]
	s_cbranch_execz .LBB192_111
.LBB192_110:
	v_lshlrev_b32_e32 v30, 1, v2
	ds_read_u16 v30, v30 offset:6144
	s_movk_i32 s2, 0x8000
	v_mov_b32_e32 v31, 0x7fff
	s_waitcnt lgkmcnt(0)
	v_cmp_ne_u16_e32 vcc, s2, v30
	v_cndmask_b32_e32 v30, v31, v30, vcc
	v_lshrrev_b32_sdwa v30, s68, v30 dst_sel:DWORD dst_unused:UNUSED_PAD src0_sel:DWORD src1_sel:WORD_0
	v_and_b32_e32 v57, s74, v30
.LBB192_111:
	s_or_b64 exec, exec, s[0:1]
	v_mov_b32_e32 v30, 0
	v_mov_b32_e32 v56, 0
	s_and_saveexec_b64 s[0:1], s[44:45]
	s_cbranch_execnz .LBB192_194
; %bb.112:
	s_or_b64 exec, exec, s[0:1]
	s_and_saveexec_b64 s[0:1], s[46:47]
	s_cbranch_execnz .LBB192_195
.LBB192_113:
	s_or_b64 exec, exec, s[0:1]
	v_mov_b32_e32 v31, 0
	s_and_saveexec_b64 s[0:1], s[48:49]
	s_cbranch_execz .LBB192_115
.LBB192_114:
	v_lshlrev_b32_e32 v31, 1, v2
	ds_read_u16 v31, v31 offset:7680
	s_movk_i32 s2, 0x8000
	v_mov_b32_e32 v66, 0x7fff
	s_waitcnt lgkmcnt(0)
	v_cmp_ne_u16_e32 vcc, s2, v31
	v_cndmask_b32_e32 v31, v66, v31, vcc
	v_lshrrev_b32_sdwa v31, s68, v31 dst_sel:DWORD dst_unused:UNUSED_PAD src0_sel:DWORD src1_sel:WORD_0
	v_and_b32_e32 v31, s74, v31
.LBB192_115:
	s_or_b64 exec, exec, s[0:1]
	v_lshlrev_b32_e32 v45, 3, v45
	s_barrier
	s_waitcnt vmcnt(0)
	ds_write_b64 v45, v[6:7] offset:2048
	v_lshlrev_b32_e32 v6, 3, v44
	ds_write_b64 v6, v[8:9] offset:2048
	v_lshlrev_b32_e32 v6, 3, v43
	;; [unrolled: 2-line block ×11, first 2 shown]
	ds_write_b64 v6, v[28:29] offset:2048
	s_waitcnt lgkmcnt(0)
	s_barrier
	s_and_saveexec_b64 s[0:1], s[24:25]
	s_cbranch_execnz .LBB192_196
; %bb.116:
	s_or_b64 exec, exec, s[0:1]
	s_and_saveexec_b64 s[0:1], s[26:27]
	s_cbranch_execnz .LBB192_197
.LBB192_117:
	s_or_b64 exec, exec, s[0:1]
	s_and_saveexec_b64 s[0:1], s[28:29]
	s_cbranch_execnz .LBB192_198
.LBB192_118:
	s_or_b64 exec, exec, s[0:1]
	s_and_saveexec_b64 s[0:1], s[30:31]
	s_cbranch_execnz .LBB192_199
.LBB192_119:
	s_or_b64 exec, exec, s[0:1]
	s_and_saveexec_b64 s[0:1], s[34:35]
	s_cbranch_execnz .LBB192_200
.LBB192_120:
	s_or_b64 exec, exec, s[0:1]
	s_and_saveexec_b64 s[0:1], s[36:37]
	s_cbranch_execnz .LBB192_201
.LBB192_121:
	s_or_b64 exec, exec, s[0:1]
	s_and_saveexec_b64 s[0:1], s[38:39]
	s_cbranch_execnz .LBB192_202
.LBB192_122:
	s_or_b64 exec, exec, s[0:1]
	s_and_saveexec_b64 s[0:1], s[40:41]
	s_cbranch_execnz .LBB192_203
.LBB192_123:
	s_or_b64 exec, exec, s[0:1]
	s_and_saveexec_b64 s[0:1], s[42:43]
	s_cbranch_execnz .LBB192_204
.LBB192_124:
	s_or_b64 exec, exec, s[0:1]
	s_and_saveexec_b64 s[0:1], s[44:45]
	s_cbranch_execnz .LBB192_205
.LBB192_125:
	s_or_b64 exec, exec, s[0:1]
	s_and_saveexec_b64 s[0:1], s[46:47]
	s_cbranch_execnz .LBB192_206
.LBB192_126:
	s_or_b64 exec, exec, s[0:1]
	s_and_saveexec_b64 s[0:1], s[48:49]
	s_cbranch_execz .LBB192_128
.LBB192_127:
	v_lshlrev_b32_e32 v6, 3, v31
	ds_read_b64 v[6:7], v6
	v_lshlrev_b32_e32 v8, 3, v2
	ds_read_b64 v[8:9], v8 offset:24576
	v_mov_b32_e32 v10, s63
	s_waitcnt lgkmcnt(1)
	v_lshlrev_b64 v[6:7], 3, v[6:7]
	v_add_co_u32_e32 v6, vcc, s62, v6
	v_addc_co_u32_e32 v7, vcc, v10, v7, vcc
	v_lshlrev_b32_e32 v10, 3, v55
	v_add_co_u32_e32 v6, vcc, v6, v10
	v_addc_co_u32_e32 v7, vcc, 0, v7, vcc
	s_waitcnt lgkmcnt(0)
	global_store_dwordx2 v[6:7], v[8:9], off
.LBB192_128:
	s_or_b64 exec, exec, s[0:1]
	s_add_i32 s33, s33, -1
	s_cmp_eq_u32 s6, s33
	s_cselect_b64 s[0:1], -1, 0
	s_branch .LBB192_171
.LBB192_129:
	s_mov_b64 s[0:1], 0
                                        ; implicit-def: $vgpr33
                                        ; implicit-def: $vgpr2_vgpr3
                                        ; implicit-def: $vgpr4_vgpr5
                                        ; implicit-def: $vgpr32
	s_cbranch_execz .LBB192_171
; %bb.130:
	s_mov_b32 s55, 0
	s_lshl_b64 s[0:1], s[54:55], 1
	v_mbcnt_hi_u32_b32 v10, -1, v1
	s_add_u32 s0, s56, s0
	v_lshlrev_b32_e32 v1, 1, v10
	v_and_b32_e32 v2, 0x3ff, v0
	v_add_co_u32_e32 v1, vcc, s0, v1
	s_load_dword s8, s[4:5], 0x50
	s_load_dword s0, s[4:5], 0x5c
	s_addc_u32 s1, s57, s1
	v_and_b32_e32 v8, 0xc0, v2
	v_mul_u32_u24_e32 v3, 12, v8
	v_mov_b32_e32 v5, s1
	v_addc_co_u32_e32 v5, vcc, 0, v5, vcc
	v_lshlrev_b32_e32 v6, 1, v3
	v_add_co_u32_e32 v14, vcc, v1, v6
	s_add_u32 s1, s4, 0x50
	v_addc_co_u32_e32 v15, vcc, 0, v5, vcc
	s_addc_u32 s2, s5, 0
	s_waitcnt lgkmcnt(0)
	s_lshr_b32 s3, s0, 16
	global_load_ushort v1, v[14:15], off
	s_cmp_lt_u32 s6, s8
	s_cselect_b32 s0, 12, 18
	s_add_u32 s0, s1, s0
	v_mov_b32_e32 v4, 0
	s_addc_u32 s1, s2, 0
	global_load_ushort v5, v4, s[0:1]
	v_mul_u32_u24_e32 v7, 5, v2
	v_lshlrev_b32_e32 v7, 2, v7
	ds_write2_b32 v7, v4, v4 offset0:4 offset1:5
	ds_write2_b32 v7, v4, v4 offset0:6 offset1:7
	ds_write_b32 v7, v4 offset:32
	global_load_ushort v12, v[14:15], off offset:128
	global_load_ushort v16, v[14:15], off offset:256
	;; [unrolled: 1-line block ×11, first 2 shown]
	v_mov_b32_e32 v13, 0x7fff
	v_bfe_u32 v6, v0, 10, 10
	v_bfe_u32 v0, v0, 20, 10
	v_mad_u32_u24 v0, v0, s3, v6
	s_movk_i32 s2, 0x8000
	s_lshl_b32 s0, -1, s69
	s_not_b32 s9, s0
	s_waitcnt lgkmcnt(0)
	s_barrier
	s_waitcnt lgkmcnt(0)
	; wave barrier
	s_waitcnt vmcnt(12)
	v_cmp_gt_i16_e32 vcc, 0, v1
	v_cndmask_b32_e64 v6, v13, 0, vcc
	v_xor_b32_e32 v6, v6, v1
	v_cmp_ne_u16_e32 vcc, s2, v6
	v_cndmask_b32_e32 v9, v13, v6, vcc
	s_waitcnt vmcnt(11)
	v_mad_u64_u32 v[0:1], s[0:1], v0, v5, v[2:3]
	v_lshrrev_b32_sdwa v1, s68, v9 dst_sel:DWORD dst_unused:UNUSED_PAD src0_sel:DWORD src1_sel:WORD_0
	v_lshrrev_b32_e32 v18, 6, v0
	v_and_b32_e32 v0, s9, v1
	v_mul_u32_u24_e32 v1, 5, v0
	v_and_b32_e32 v11, 1, v0
	v_add_lshl_u32 v9, v18, v1, 2
	v_add_co_u32_e32 v1, vcc, -1, v11
	v_lshlrev_b32_e32 v5, 30, v0
	v_addc_co_u32_e64 v14, s[0:1], 0, -1, vcc
	v_cmp_ne_u32_e32 vcc, 0, v11
	v_cmp_gt_i64_e64 s[0:1], 0, v[4:5]
	v_not_b32_e32 v11, v5
	v_lshlrev_b32_e32 v5, 29, v0
	v_xor_b32_e32 v14, vcc_hi, v14
	v_xor_b32_e32 v1, vcc_lo, v1
	v_ashrrev_i32_e32 v11, 31, v11
	v_cmp_gt_i64_e32 vcc, 0, v[4:5]
	v_not_b32_e32 v15, v5
	v_lshlrev_b32_e32 v5, 28, v0
	v_and_b32_e32 v14, exec_hi, v14
	v_and_b32_e32 v1, exec_lo, v1
	v_xor_b32_e32 v19, s1, v11
	v_xor_b32_e32 v11, s0, v11
	v_ashrrev_i32_e32 v15, 31, v15
	v_cmp_gt_i64_e64 s[0:1], 0, v[4:5]
	v_not_b32_e32 v5, v5
	v_and_b32_e32 v14, v14, v19
	v_and_b32_e32 v1, v1, v11
	v_xor_b32_e32 v11, vcc_hi, v15
	v_xor_b32_e32 v15, vcc_lo, v15
	v_ashrrev_i32_e32 v5, 31, v5
	v_and_b32_e32 v11, v14, v11
	v_and_b32_e32 v1, v1, v15
	v_xor_b32_e32 v14, s1, v5
	v_xor_b32_e32 v5, s0, v5
	v_and_b32_e32 v1, v1, v5
	v_lshlrev_b32_e32 v5, 27, v0
	v_cmp_gt_i64_e32 vcc, 0, v[4:5]
	v_not_b32_e32 v5, v5
	v_ashrrev_i32_e32 v5, 31, v5
	v_and_b32_e32 v11, v11, v14
	v_xor_b32_e32 v14, vcc_hi, v5
	v_xor_b32_e32 v5, vcc_lo, v5
	v_and_b32_e32 v1, v1, v5
	v_lshlrev_b32_e32 v5, 26, v0
	v_cmp_gt_i64_e32 vcc, 0, v[4:5]
	v_not_b32_e32 v5, v5
	v_ashrrev_i32_e32 v5, 31, v5
	v_and_b32_e32 v11, v11, v14
	v_xor_b32_e32 v14, vcc_hi, v5
	v_xor_b32_e32 v5, vcc_lo, v5
	;; [unrolled: 8-line block ×3, first 2 shown]
	v_and_b32_e32 v11, v11, v14
	v_and_b32_e32 v14, v1, v5
	v_lshlrev_b32_e32 v5, 24, v0
	v_not_b32_e32 v0, v5
	v_cmp_gt_i64_e32 vcc, 0, v[4:5]
	v_ashrrev_i32_e32 v0, 31, v0
	v_xor_b32_e32 v1, vcc_hi, v0
	v_xor_b32_e32 v0, vcc_lo, v0
	v_and_b32_e32 v0, v14, v0
	v_and_b32_e32 v1, v11, v1
	v_mbcnt_lo_u32_b32 v5, v0, 0
	v_mbcnt_hi_u32_b32 v11, v1, v5
	v_cmp_eq_u32_e32 vcc, 0, v11
	v_cmp_ne_u64_e64 s[0:1], 0, v[0:1]
	s_and_b64 s[4:5], s[0:1], vcc
	s_and_saveexec_b64 s[0:1], s[4:5]
	s_cbranch_execz .LBB192_132
; %bb.131:
	v_bcnt_u32_b32 v0, v0, 0
	v_bcnt_u32_b32 v0, v1, v0
	ds_write_b32 v9, v0 offset:16
.LBB192_132:
	s_or_b64 exec, exec, s[0:1]
	s_waitcnt vmcnt(10)
	v_cmp_gt_i16_e32 vcc, 0, v12
	v_cndmask_b32_e64 v0, v13, 0, vcc
	v_xor_b32_e32 v12, v0, v12
	v_cmp_ne_u16_e32 vcc, s2, v12
	v_cndmask_b32_e32 v0, v13, v12, vcc
	v_lshrrev_b32_sdwa v0, s68, v0 dst_sel:DWORD dst_unused:UNUSED_PAD src0_sel:DWORD src1_sel:WORD_0
	v_and_b32_e32 v0, s9, v0
	v_mul_u32_u24_e32 v1, 5, v0
	v_add_lshl_u32 v14, v18, v1, 2
	v_and_b32_e32 v1, 1, v0
	v_add_co_u32_e32 v5, vcc, -1, v1
	v_addc_co_u32_e64 v15, s[0:1], 0, -1, vcc
	v_cmp_ne_u32_e32 vcc, 0, v1
	v_xor_b32_e32 v5, vcc_lo, v5
	v_xor_b32_e32 v1, vcc_hi, v15
	v_and_b32_e32 v15, exec_lo, v5
	v_lshlrev_b32_e32 v5, 30, v0
	v_cmp_gt_i64_e32 vcc, 0, v[4:5]
	v_not_b32_e32 v5, v5
	v_ashrrev_i32_e32 v5, 31, v5
	v_xor_b32_e32 v19, vcc_hi, v5
	v_xor_b32_e32 v5, vcc_lo, v5
	v_and_b32_e32 v15, v15, v5
	v_lshlrev_b32_e32 v5, 29, v0
	v_cmp_gt_i64_e32 vcc, 0, v[4:5]
	v_not_b32_e32 v5, v5
	v_and_b32_e32 v1, exec_hi, v1
	v_ashrrev_i32_e32 v5, 31, v5
	v_and_b32_e32 v1, v1, v19
	v_xor_b32_e32 v19, vcc_hi, v5
	v_xor_b32_e32 v5, vcc_lo, v5
	v_and_b32_e32 v15, v15, v5
	v_lshlrev_b32_e32 v5, 28, v0
	v_cmp_gt_i64_e32 vcc, 0, v[4:5]
	v_not_b32_e32 v5, v5
	v_ashrrev_i32_e32 v5, 31, v5
	v_and_b32_e32 v1, v1, v19
	v_xor_b32_e32 v19, vcc_hi, v5
	v_xor_b32_e32 v5, vcc_lo, v5
	v_and_b32_e32 v15, v15, v5
	v_lshlrev_b32_e32 v5, 27, v0
	v_cmp_gt_i64_e32 vcc, 0, v[4:5]
	v_not_b32_e32 v5, v5
	;; [unrolled: 8-line block ×4, first 2 shown]
	v_ashrrev_i32_e32 v5, 31, v5
	v_and_b32_e32 v1, v1, v19
	v_xor_b32_e32 v19, vcc_hi, v5
	v_xor_b32_e32 v5, vcc_lo, v5
	v_and_b32_e32 v15, v15, v5
	v_lshlrev_b32_e32 v5, 24, v0
	v_not_b32_e32 v0, v5
	v_cmp_gt_i64_e32 vcc, 0, v[4:5]
	v_ashrrev_i32_e32 v0, 31, v0
	v_xor_b32_e32 v4, vcc_hi, v0
	v_xor_b32_e32 v0, vcc_lo, v0
	; wave barrier
	ds_read_b32 v13, v14 offset:16
	v_and_b32_e32 v1, v1, v19
	v_and_b32_e32 v0, v15, v0
	;; [unrolled: 1-line block ×3, first 2 shown]
	v_mbcnt_lo_u32_b32 v4, v0, 0
	v_mbcnt_hi_u32_b32 v15, v1, v4
	v_cmp_eq_u32_e32 vcc, 0, v15
	v_cmp_ne_u64_e64 s[0:1], 0, v[0:1]
	s_and_b64 s[2:3], s[0:1], vcc
	; wave barrier
	s_and_saveexec_b64 s[0:1], s[2:3]
	s_cbranch_execz .LBB192_134
; %bb.133:
	v_bcnt_u32_b32 v0, v0, 0
	v_bcnt_u32_b32 v0, v1, v0
	s_waitcnt lgkmcnt(0)
	v_add_u32_e32 v0, v13, v0
	ds_write_b32 v14, v0 offset:16
.LBB192_134:
	s_or_b64 exec, exec, s[0:1]
	v_mov_b32_e32 v24, 0x7fff
	s_waitcnt vmcnt(9)
	v_cmp_gt_i16_e32 vcc, 0, v16
	v_cndmask_b32_e64 v1, v24, 0, vcc
	v_xor_b32_e32 v16, v1, v16
	s_movk_i32 s2, 0x8000
	v_cmp_ne_u16_e32 vcc, s2, v16
	v_cndmask_b32_e32 v1, v24, v16, vcc
	v_lshrrev_b32_sdwa v1, s68, v1 dst_sel:DWORD dst_unused:UNUSED_PAD src0_sel:DWORD src1_sel:WORD_0
	v_and_b32_e32 v4, s9, v1
	v_mul_u32_u24_e32 v1, 5, v4
	v_add_lshl_u32 v20, v18, v1, 2
	v_and_b32_e32 v1, 1, v4
	v_add_co_u32_e32 v5, vcc, -1, v1
	v_addc_co_u32_e64 v22, s[0:1], 0, -1, vcc
	v_cmp_ne_u32_e32 vcc, 0, v1
	v_xor_b32_e32 v1, vcc_hi, v22
	v_mov_b32_e32 v0, 0
	v_and_b32_e32 v22, exec_hi, v1
	v_lshlrev_b32_e32 v1, 30, v4
	v_xor_b32_e32 v5, vcc_lo, v5
	v_cmp_gt_i64_e32 vcc, 0, v[0:1]
	v_not_b32_e32 v1, v1
	v_ashrrev_i32_e32 v1, 31, v1
	v_and_b32_e32 v5, exec_lo, v5
	v_xor_b32_e32 v25, vcc_hi, v1
	v_xor_b32_e32 v1, vcc_lo, v1
	v_and_b32_e32 v5, v5, v1
	v_lshlrev_b32_e32 v1, 29, v4
	v_cmp_gt_i64_e32 vcc, 0, v[0:1]
	v_not_b32_e32 v1, v1
	v_ashrrev_i32_e32 v1, 31, v1
	v_and_b32_e32 v22, v22, v25
	v_xor_b32_e32 v25, vcc_hi, v1
	v_xor_b32_e32 v1, vcc_lo, v1
	v_and_b32_e32 v5, v5, v1
	v_lshlrev_b32_e32 v1, 28, v4
	v_cmp_gt_i64_e32 vcc, 0, v[0:1]
	v_not_b32_e32 v1, v1
	v_ashrrev_i32_e32 v1, 31, v1
	v_and_b32_e32 v22, v22, v25
	;; [unrolled: 8-line block ×5, first 2 shown]
	v_xor_b32_e32 v25, vcc_hi, v1
	v_xor_b32_e32 v1, vcc_lo, v1
	v_and_b32_e32 v22, v22, v25
	v_and_b32_e32 v25, v5, v1
	v_lshlrev_b32_e32 v1, 24, v4
	v_cmp_gt_i64_e32 vcc, 0, v[0:1]
	v_not_b32_e32 v1, v1
	v_ashrrev_i32_e32 v1, 31, v1
	v_xor_b32_e32 v4, vcc_hi, v1
	v_xor_b32_e32 v1, vcc_lo, v1
	; wave barrier
	ds_read_b32 v19, v20 offset:16
	v_and_b32_e32 v5, v22, v4
	v_and_b32_e32 v4, v25, v1
	v_mbcnt_lo_u32_b32 v1, v4, 0
	v_mbcnt_hi_u32_b32 v22, v5, v1
	v_cmp_eq_u32_e32 vcc, 0, v22
	v_cmp_ne_u64_e64 s[0:1], 0, v[4:5]
	s_and_b64 s[4:5], s[0:1], vcc
	; wave barrier
	s_and_saveexec_b64 s[0:1], s[4:5]
	s_cbranch_execz .LBB192_136
; %bb.135:
	v_bcnt_u32_b32 v1, v4, 0
	v_bcnt_u32_b32 v1, v5, v1
	s_waitcnt lgkmcnt(0)
	v_add_u32_e32 v1, v19, v1
	ds_write_b32 v20, v1 offset:16
.LBB192_136:
	s_or_b64 exec, exec, s[0:1]
	s_waitcnt vmcnt(8)
	v_cmp_gt_i16_e32 vcc, 0, v21
	v_cndmask_b32_e64 v1, v24, 0, vcc
	v_xor_b32_e32 v21, v1, v21
	v_cmp_ne_u16_e32 vcc, s2, v21
	v_cndmask_b32_e32 v1, v24, v21, vcc
	v_lshrrev_b32_sdwa v1, s68, v1 dst_sel:DWORD dst_unused:UNUSED_PAD src0_sel:DWORD src1_sel:WORD_0
	v_and_b32_e32 v4, s9, v1
	v_mul_u32_u24_e32 v1, 5, v4
	v_add_lshl_u32 v25, v18, v1, 2
	v_and_b32_e32 v1, 1, v4
	v_add_co_u32_e32 v5, vcc, -1, v1
	v_addc_co_u32_e64 v26, s[0:1], 0, -1, vcc
	v_cmp_ne_u32_e32 vcc, 0, v1
	v_xor_b32_e32 v1, vcc_hi, v26
	v_and_b32_e32 v26, exec_hi, v1
	v_lshlrev_b32_e32 v1, 30, v4
	v_xor_b32_e32 v5, vcc_lo, v5
	v_cmp_gt_i64_e32 vcc, 0, v[0:1]
	v_not_b32_e32 v1, v1
	v_ashrrev_i32_e32 v1, 31, v1
	v_and_b32_e32 v5, exec_lo, v5
	v_xor_b32_e32 v29, vcc_hi, v1
	v_xor_b32_e32 v1, vcc_lo, v1
	v_and_b32_e32 v5, v5, v1
	v_lshlrev_b32_e32 v1, 29, v4
	v_cmp_gt_i64_e32 vcc, 0, v[0:1]
	v_not_b32_e32 v1, v1
	v_ashrrev_i32_e32 v1, 31, v1
	v_and_b32_e32 v26, v26, v29
	v_xor_b32_e32 v29, vcc_hi, v1
	v_xor_b32_e32 v1, vcc_lo, v1
	v_and_b32_e32 v5, v5, v1
	v_lshlrev_b32_e32 v1, 28, v4
	v_cmp_gt_i64_e32 vcc, 0, v[0:1]
	v_not_b32_e32 v1, v1
	v_ashrrev_i32_e32 v1, 31, v1
	v_and_b32_e32 v26, v26, v29
	;; [unrolled: 8-line block ×5, first 2 shown]
	v_xor_b32_e32 v29, vcc_hi, v1
	v_xor_b32_e32 v1, vcc_lo, v1
	v_and_b32_e32 v5, v5, v1
	v_lshlrev_b32_e32 v1, 24, v4
	v_cmp_gt_i64_e32 vcc, 0, v[0:1]
	v_not_b32_e32 v0, v1
	v_ashrrev_i32_e32 v0, 31, v0
	v_xor_b32_e32 v1, vcc_hi, v0
	v_xor_b32_e32 v0, vcc_lo, v0
	; wave barrier
	ds_read_b32 v24, v25 offset:16
	v_and_b32_e32 v26, v26, v29
	v_and_b32_e32 v0, v5, v0
	;; [unrolled: 1-line block ×3, first 2 shown]
	v_mbcnt_lo_u32_b32 v4, v0, 0
	v_mbcnt_hi_u32_b32 v26, v1, v4
	v_cmp_eq_u32_e32 vcc, 0, v26
	v_cmp_ne_u64_e64 s[0:1], 0, v[0:1]
	s_and_b64 s[2:3], s[0:1], vcc
	; wave barrier
	s_and_saveexec_b64 s[0:1], s[2:3]
	s_cbranch_execz .LBB192_138
; %bb.137:
	v_bcnt_u32_b32 v0, v0, 0
	v_bcnt_u32_b32 v0, v1, v0
	s_waitcnt lgkmcnt(0)
	v_add_u32_e32 v0, v24, v0
	ds_write_b32 v25, v0 offset:16
.LBB192_138:
	s_or_b64 exec, exec, s[0:1]
	v_mov_b32_e32 v34, 0x7fff
	s_waitcnt vmcnt(7)
	v_cmp_gt_i16_e32 vcc, 0, v27
	v_cndmask_b32_e64 v1, v34, 0, vcc
	v_xor_b32_e32 v27, v1, v27
	s_movk_i32 s2, 0x8000
	v_cmp_ne_u16_e32 vcc, s2, v27
	v_cndmask_b32_e32 v1, v34, v27, vcc
	v_lshrrev_b32_sdwa v1, s68, v1 dst_sel:DWORD dst_unused:UNUSED_PAD src0_sel:DWORD src1_sel:WORD_0
	v_and_b32_e32 v4, s9, v1
	v_mul_u32_u24_e32 v1, 5, v4
	v_add_lshl_u32 v30, v18, v1, 2
	v_and_b32_e32 v1, 1, v4
	v_add_co_u32_e32 v5, vcc, -1, v1
	v_addc_co_u32_e64 v32, s[0:1], 0, -1, vcc
	v_cmp_ne_u32_e32 vcc, 0, v1
	v_xor_b32_e32 v1, vcc_hi, v32
	v_mov_b32_e32 v0, 0
	v_and_b32_e32 v32, exec_hi, v1
	v_lshlrev_b32_e32 v1, 30, v4
	v_xor_b32_e32 v5, vcc_lo, v5
	v_cmp_gt_i64_e32 vcc, 0, v[0:1]
	v_not_b32_e32 v1, v1
	v_ashrrev_i32_e32 v1, 31, v1
	v_and_b32_e32 v5, exec_lo, v5
	v_xor_b32_e32 v35, vcc_hi, v1
	v_xor_b32_e32 v1, vcc_lo, v1
	v_and_b32_e32 v5, v5, v1
	v_lshlrev_b32_e32 v1, 29, v4
	v_cmp_gt_i64_e32 vcc, 0, v[0:1]
	v_not_b32_e32 v1, v1
	v_ashrrev_i32_e32 v1, 31, v1
	v_and_b32_e32 v32, v32, v35
	v_xor_b32_e32 v35, vcc_hi, v1
	v_xor_b32_e32 v1, vcc_lo, v1
	v_and_b32_e32 v5, v5, v1
	v_lshlrev_b32_e32 v1, 28, v4
	v_cmp_gt_i64_e32 vcc, 0, v[0:1]
	v_not_b32_e32 v1, v1
	v_ashrrev_i32_e32 v1, 31, v1
	v_and_b32_e32 v32, v32, v35
	;; [unrolled: 8-line block ×5, first 2 shown]
	v_xor_b32_e32 v35, vcc_hi, v1
	v_xor_b32_e32 v1, vcc_lo, v1
	v_and_b32_e32 v32, v32, v35
	v_and_b32_e32 v35, v5, v1
	v_lshlrev_b32_e32 v1, 24, v4
	v_cmp_gt_i64_e32 vcc, 0, v[0:1]
	v_not_b32_e32 v1, v1
	v_ashrrev_i32_e32 v1, 31, v1
	v_xor_b32_e32 v4, vcc_hi, v1
	v_xor_b32_e32 v1, vcc_lo, v1
	; wave barrier
	ds_read_b32 v29, v30 offset:16
	v_and_b32_e32 v5, v32, v4
	v_and_b32_e32 v4, v35, v1
	v_mbcnt_lo_u32_b32 v1, v4, 0
	v_mbcnt_hi_u32_b32 v32, v5, v1
	v_cmp_eq_u32_e32 vcc, 0, v32
	v_cmp_ne_u64_e64 s[0:1], 0, v[4:5]
	s_and_b64 s[4:5], s[0:1], vcc
	; wave barrier
	s_and_saveexec_b64 s[0:1], s[4:5]
	s_cbranch_execz .LBB192_140
; %bb.139:
	v_bcnt_u32_b32 v1, v4, 0
	v_bcnt_u32_b32 v1, v5, v1
	s_waitcnt lgkmcnt(0)
	v_add_u32_e32 v1, v29, v1
	ds_write_b32 v30, v1 offset:16
.LBB192_140:
	s_or_b64 exec, exec, s[0:1]
	s_waitcnt vmcnt(6)
	v_cmp_gt_i16_e32 vcc, 0, v31
	v_cndmask_b32_e64 v1, v34, 0, vcc
	v_xor_b32_e32 v31, v1, v31
	v_cmp_ne_u16_e32 vcc, s2, v31
	v_cndmask_b32_e32 v1, v34, v31, vcc
	v_lshrrev_b32_sdwa v1, s68, v1 dst_sel:DWORD dst_unused:UNUSED_PAD src0_sel:DWORD src1_sel:WORD_0
	v_and_b32_e32 v4, s9, v1
	v_mul_u32_u24_e32 v1, 5, v4
	v_add_lshl_u32 v35, v18, v1, 2
	v_and_b32_e32 v1, 1, v4
	v_add_co_u32_e32 v5, vcc, -1, v1
	v_addc_co_u32_e64 v37, s[0:1], 0, -1, vcc
	v_cmp_ne_u32_e32 vcc, 0, v1
	v_xor_b32_e32 v1, vcc_hi, v37
	v_and_b32_e32 v37, exec_hi, v1
	v_lshlrev_b32_e32 v1, 30, v4
	v_xor_b32_e32 v5, vcc_lo, v5
	v_cmp_gt_i64_e32 vcc, 0, v[0:1]
	v_not_b32_e32 v1, v1
	v_ashrrev_i32_e32 v1, 31, v1
	v_and_b32_e32 v5, exec_lo, v5
	v_xor_b32_e32 v39, vcc_hi, v1
	v_xor_b32_e32 v1, vcc_lo, v1
	v_and_b32_e32 v5, v5, v1
	v_lshlrev_b32_e32 v1, 29, v4
	v_cmp_gt_i64_e32 vcc, 0, v[0:1]
	v_not_b32_e32 v1, v1
	v_ashrrev_i32_e32 v1, 31, v1
	v_and_b32_e32 v37, v37, v39
	v_xor_b32_e32 v39, vcc_hi, v1
	v_xor_b32_e32 v1, vcc_lo, v1
	v_and_b32_e32 v5, v5, v1
	v_lshlrev_b32_e32 v1, 28, v4
	v_cmp_gt_i64_e32 vcc, 0, v[0:1]
	v_not_b32_e32 v1, v1
	v_ashrrev_i32_e32 v1, 31, v1
	v_and_b32_e32 v37, v37, v39
	;; [unrolled: 8-line block ×5, first 2 shown]
	v_xor_b32_e32 v39, vcc_hi, v1
	v_xor_b32_e32 v1, vcc_lo, v1
	v_and_b32_e32 v5, v5, v1
	v_lshlrev_b32_e32 v1, 24, v4
	v_cmp_gt_i64_e32 vcc, 0, v[0:1]
	v_not_b32_e32 v0, v1
	v_ashrrev_i32_e32 v0, 31, v0
	v_xor_b32_e32 v1, vcc_hi, v0
	v_xor_b32_e32 v0, vcc_lo, v0
	; wave barrier
	ds_read_b32 v34, v35 offset:16
	v_and_b32_e32 v37, v37, v39
	v_and_b32_e32 v0, v5, v0
	;; [unrolled: 1-line block ×3, first 2 shown]
	v_mbcnt_lo_u32_b32 v4, v0, 0
	v_mbcnt_hi_u32_b32 v37, v1, v4
	v_cmp_eq_u32_e32 vcc, 0, v37
	v_cmp_ne_u64_e64 s[0:1], 0, v[0:1]
	s_and_b64 s[2:3], s[0:1], vcc
	; wave barrier
	s_and_saveexec_b64 s[0:1], s[2:3]
	s_cbranch_execz .LBB192_142
; %bb.141:
	v_bcnt_u32_b32 v0, v0, 0
	v_bcnt_u32_b32 v0, v1, v0
	s_waitcnt lgkmcnt(0)
	v_add_u32_e32 v0, v34, v0
	ds_write_b32 v35, v0 offset:16
.LBB192_142:
	s_or_b64 exec, exec, s[0:1]
	v_mov_b32_e32 v42, 0x7fff
	s_waitcnt vmcnt(5)
	v_cmp_gt_i16_e32 vcc, 0, v36
	v_cndmask_b32_e64 v1, v42, 0, vcc
	v_xor_b32_e32 v36, v1, v36
	s_movk_i32 s2, 0x8000
	v_cmp_ne_u16_e32 vcc, s2, v36
	v_cndmask_b32_e32 v1, v42, v36, vcc
	v_lshrrev_b32_sdwa v1, s68, v1 dst_sel:DWORD dst_unused:UNUSED_PAD src0_sel:DWORD src1_sel:WORD_0
	v_and_b32_e32 v4, s9, v1
	v_mul_u32_u24_e32 v1, 5, v4
	v_add_lshl_u32 v40, v18, v1, 2
	v_and_b32_e32 v1, 1, v4
	v_add_co_u32_e32 v5, vcc, -1, v1
	v_addc_co_u32_e64 v41, s[0:1], 0, -1, vcc
	v_cmp_ne_u32_e32 vcc, 0, v1
	v_xor_b32_e32 v1, vcc_hi, v41
	v_mov_b32_e32 v0, 0
	v_and_b32_e32 v41, exec_hi, v1
	v_lshlrev_b32_e32 v1, 30, v4
	v_xor_b32_e32 v5, vcc_lo, v5
	v_cmp_gt_i64_e32 vcc, 0, v[0:1]
	v_not_b32_e32 v1, v1
	v_ashrrev_i32_e32 v1, 31, v1
	v_and_b32_e32 v5, exec_lo, v5
	v_xor_b32_e32 v43, vcc_hi, v1
	v_xor_b32_e32 v1, vcc_lo, v1
	v_and_b32_e32 v5, v5, v1
	v_lshlrev_b32_e32 v1, 29, v4
	v_cmp_gt_i64_e32 vcc, 0, v[0:1]
	v_not_b32_e32 v1, v1
	v_ashrrev_i32_e32 v1, 31, v1
	v_and_b32_e32 v41, v41, v43
	v_xor_b32_e32 v43, vcc_hi, v1
	v_xor_b32_e32 v1, vcc_lo, v1
	v_and_b32_e32 v5, v5, v1
	v_lshlrev_b32_e32 v1, 28, v4
	v_cmp_gt_i64_e32 vcc, 0, v[0:1]
	v_not_b32_e32 v1, v1
	v_ashrrev_i32_e32 v1, 31, v1
	v_and_b32_e32 v41, v41, v43
	;; [unrolled: 8-line block ×5, first 2 shown]
	v_xor_b32_e32 v43, vcc_hi, v1
	v_xor_b32_e32 v1, vcc_lo, v1
	v_and_b32_e32 v41, v41, v43
	v_and_b32_e32 v43, v5, v1
	v_lshlrev_b32_e32 v1, 24, v4
	v_cmp_gt_i64_e32 vcc, 0, v[0:1]
	v_not_b32_e32 v1, v1
	v_ashrrev_i32_e32 v1, 31, v1
	v_xor_b32_e32 v4, vcc_hi, v1
	v_xor_b32_e32 v1, vcc_lo, v1
	; wave barrier
	ds_read_b32 v39, v40 offset:16
	v_and_b32_e32 v5, v41, v4
	v_and_b32_e32 v4, v43, v1
	v_mbcnt_lo_u32_b32 v1, v4, 0
	v_mbcnt_hi_u32_b32 v41, v5, v1
	v_cmp_eq_u32_e32 vcc, 0, v41
	v_cmp_ne_u64_e64 s[0:1], 0, v[4:5]
	s_and_b64 s[4:5], s[0:1], vcc
	; wave barrier
	s_and_saveexec_b64 s[0:1], s[4:5]
	s_cbranch_execz .LBB192_144
; %bb.143:
	v_bcnt_u32_b32 v1, v4, 0
	v_bcnt_u32_b32 v1, v5, v1
	s_waitcnt lgkmcnt(0)
	v_add_u32_e32 v1, v39, v1
	ds_write_b32 v40, v1 offset:16
.LBB192_144:
	s_or_b64 exec, exec, s[0:1]
	s_waitcnt vmcnt(4)
	v_cmp_gt_i16_e32 vcc, 0, v38
	v_cndmask_b32_e64 v1, v42, 0, vcc
	v_xor_b32_e32 v38, v1, v38
	v_cmp_ne_u16_e32 vcc, s2, v38
	v_cndmask_b32_e32 v1, v42, v38, vcc
	v_lshrrev_b32_sdwa v1, s68, v1 dst_sel:DWORD dst_unused:UNUSED_PAD src0_sel:DWORD src1_sel:WORD_0
	v_and_b32_e32 v4, s9, v1
	v_mul_u32_u24_e32 v1, 5, v4
	v_add_lshl_u32 v43, v18, v1, 2
	v_and_b32_e32 v1, 1, v4
	v_add_co_u32_e32 v5, vcc, -1, v1
	v_addc_co_u32_e64 v44, s[0:1], 0, -1, vcc
	v_cmp_ne_u32_e32 vcc, 0, v1
	v_xor_b32_e32 v1, vcc_hi, v44
	v_and_b32_e32 v44, exec_hi, v1
	v_lshlrev_b32_e32 v1, 30, v4
	v_xor_b32_e32 v5, vcc_lo, v5
	v_cmp_gt_i64_e32 vcc, 0, v[0:1]
	v_not_b32_e32 v1, v1
	v_ashrrev_i32_e32 v1, 31, v1
	v_and_b32_e32 v5, exec_lo, v5
	v_xor_b32_e32 v45, vcc_hi, v1
	v_xor_b32_e32 v1, vcc_lo, v1
	v_and_b32_e32 v5, v5, v1
	v_lshlrev_b32_e32 v1, 29, v4
	v_cmp_gt_i64_e32 vcc, 0, v[0:1]
	v_not_b32_e32 v1, v1
	v_ashrrev_i32_e32 v1, 31, v1
	v_and_b32_e32 v44, v44, v45
	v_xor_b32_e32 v45, vcc_hi, v1
	v_xor_b32_e32 v1, vcc_lo, v1
	v_and_b32_e32 v5, v5, v1
	v_lshlrev_b32_e32 v1, 28, v4
	v_cmp_gt_i64_e32 vcc, 0, v[0:1]
	v_not_b32_e32 v1, v1
	v_ashrrev_i32_e32 v1, 31, v1
	v_and_b32_e32 v44, v44, v45
	;; [unrolled: 8-line block ×5, first 2 shown]
	v_xor_b32_e32 v45, vcc_hi, v1
	v_xor_b32_e32 v1, vcc_lo, v1
	v_and_b32_e32 v5, v5, v1
	v_lshlrev_b32_e32 v1, 24, v4
	v_cmp_gt_i64_e32 vcc, 0, v[0:1]
	v_not_b32_e32 v0, v1
	v_ashrrev_i32_e32 v0, 31, v0
	v_xor_b32_e32 v1, vcc_hi, v0
	v_xor_b32_e32 v0, vcc_lo, v0
	; wave barrier
	ds_read_b32 v42, v43 offset:16
	v_and_b32_e32 v44, v44, v45
	v_and_b32_e32 v0, v5, v0
	;; [unrolled: 1-line block ×3, first 2 shown]
	v_mbcnt_lo_u32_b32 v4, v0, 0
	v_mbcnt_hi_u32_b32 v44, v1, v4
	v_cmp_eq_u32_e32 vcc, 0, v44
	v_cmp_ne_u64_e64 s[0:1], 0, v[0:1]
	s_and_b64 s[2:3], s[0:1], vcc
	; wave barrier
	s_and_saveexec_b64 s[0:1], s[2:3]
	s_cbranch_execz .LBB192_146
; %bb.145:
	v_bcnt_u32_b32 v0, v0, 0
	v_bcnt_u32_b32 v0, v1, v0
	s_waitcnt lgkmcnt(0)
	v_add_u32_e32 v0, v42, v0
	ds_write_b32 v43, v0 offset:16
.LBB192_146:
	s_or_b64 exec, exec, s[0:1]
	v_mov_b32_e32 v49, 0x7fff
	s_waitcnt vmcnt(3)
	v_cmp_gt_i16_e32 vcc, 0, v33
	v_cndmask_b32_e64 v1, v49, 0, vcc
	v_xor_b32_e32 v33, v1, v33
	s_movk_i32 s2, 0x8000
	v_cmp_ne_u16_e32 vcc, s2, v33
	v_cndmask_b32_e32 v1, v49, v33, vcc
	v_lshrrev_b32_sdwa v1, s68, v1 dst_sel:DWORD dst_unused:UNUSED_PAD src0_sel:DWORD src1_sel:WORD_0
	v_and_b32_e32 v4, s9, v1
	v_mul_u32_u24_e32 v1, 5, v4
	v_add_lshl_u32 v46, v18, v1, 2
	v_and_b32_e32 v1, 1, v4
	v_add_co_u32_e32 v5, vcc, -1, v1
	v_addc_co_u32_e64 v47, s[0:1], 0, -1, vcc
	v_cmp_ne_u32_e32 vcc, 0, v1
	v_xor_b32_e32 v1, vcc_hi, v47
	v_mov_b32_e32 v0, 0
	v_and_b32_e32 v47, exec_hi, v1
	v_lshlrev_b32_e32 v1, 30, v4
	v_xor_b32_e32 v5, vcc_lo, v5
	v_cmp_gt_i64_e32 vcc, 0, v[0:1]
	v_not_b32_e32 v1, v1
	v_ashrrev_i32_e32 v1, 31, v1
	v_and_b32_e32 v5, exec_lo, v5
	v_xor_b32_e32 v48, vcc_hi, v1
	v_xor_b32_e32 v1, vcc_lo, v1
	v_and_b32_e32 v5, v5, v1
	v_lshlrev_b32_e32 v1, 29, v4
	v_cmp_gt_i64_e32 vcc, 0, v[0:1]
	v_not_b32_e32 v1, v1
	v_ashrrev_i32_e32 v1, 31, v1
	v_and_b32_e32 v47, v47, v48
	v_xor_b32_e32 v48, vcc_hi, v1
	v_xor_b32_e32 v1, vcc_lo, v1
	v_and_b32_e32 v5, v5, v1
	v_lshlrev_b32_e32 v1, 28, v4
	v_cmp_gt_i64_e32 vcc, 0, v[0:1]
	v_not_b32_e32 v1, v1
	v_ashrrev_i32_e32 v1, 31, v1
	v_and_b32_e32 v47, v47, v48
	;; [unrolled: 8-line block ×5, first 2 shown]
	v_xor_b32_e32 v48, vcc_hi, v1
	v_xor_b32_e32 v1, vcc_lo, v1
	v_and_b32_e32 v47, v47, v48
	v_and_b32_e32 v48, v5, v1
	v_lshlrev_b32_e32 v1, 24, v4
	v_cmp_gt_i64_e32 vcc, 0, v[0:1]
	v_not_b32_e32 v1, v1
	v_ashrrev_i32_e32 v1, 31, v1
	v_xor_b32_e32 v4, vcc_hi, v1
	v_xor_b32_e32 v1, vcc_lo, v1
	; wave barrier
	ds_read_b32 v45, v46 offset:16
	v_and_b32_e32 v5, v47, v4
	v_and_b32_e32 v4, v48, v1
	v_mbcnt_lo_u32_b32 v1, v4, 0
	v_mbcnt_hi_u32_b32 v48, v5, v1
	v_cmp_eq_u32_e32 vcc, 0, v48
	v_cmp_ne_u64_e64 s[0:1], 0, v[4:5]
	s_and_b64 s[4:5], s[0:1], vcc
	; wave barrier
	s_and_saveexec_b64 s[0:1], s[4:5]
	s_cbranch_execz .LBB192_148
; %bb.147:
	v_bcnt_u32_b32 v1, v4, 0
	v_bcnt_u32_b32 v1, v5, v1
	s_waitcnt lgkmcnt(0)
	v_add_u32_e32 v1, v45, v1
	ds_write_b32 v46, v1 offset:16
.LBB192_148:
	s_or_b64 exec, exec, s[0:1]
	s_waitcnt vmcnt(2)
	v_cmp_gt_i16_e32 vcc, 0, v28
	v_cndmask_b32_e64 v1, v49, 0, vcc
	v_xor_b32_e32 v47, v1, v28
	v_cmp_ne_u16_e32 vcc, s2, v47
	v_cndmask_b32_e32 v1, v49, v47, vcc
	v_lshrrev_b32_sdwa v1, s68, v1 dst_sel:DWORD dst_unused:UNUSED_PAD src0_sel:DWORD src1_sel:WORD_0
	v_and_b32_e32 v4, s9, v1
	v_mul_u32_u24_e32 v1, 5, v4
	v_add_lshl_u32 v28, v18, v1, 2
	v_and_b32_e32 v1, 1, v4
	v_add_co_u32_e32 v5, vcc, -1, v1
	v_addc_co_u32_e64 v50, s[0:1], 0, -1, vcc
	v_cmp_ne_u32_e32 vcc, 0, v1
	v_xor_b32_e32 v1, vcc_hi, v50
	v_and_b32_e32 v50, exec_hi, v1
	v_lshlrev_b32_e32 v1, 30, v4
	v_xor_b32_e32 v5, vcc_lo, v5
	v_cmp_gt_i64_e32 vcc, 0, v[0:1]
	v_not_b32_e32 v1, v1
	v_ashrrev_i32_e32 v1, 31, v1
	v_and_b32_e32 v5, exec_lo, v5
	v_xor_b32_e32 v51, vcc_hi, v1
	v_xor_b32_e32 v1, vcc_lo, v1
	v_and_b32_e32 v5, v5, v1
	v_lshlrev_b32_e32 v1, 29, v4
	v_cmp_gt_i64_e32 vcc, 0, v[0:1]
	v_not_b32_e32 v1, v1
	v_ashrrev_i32_e32 v1, 31, v1
	v_and_b32_e32 v50, v50, v51
	v_xor_b32_e32 v51, vcc_hi, v1
	v_xor_b32_e32 v1, vcc_lo, v1
	v_and_b32_e32 v5, v5, v1
	v_lshlrev_b32_e32 v1, 28, v4
	v_cmp_gt_i64_e32 vcc, 0, v[0:1]
	v_not_b32_e32 v1, v1
	v_ashrrev_i32_e32 v1, 31, v1
	v_and_b32_e32 v50, v50, v51
	;; [unrolled: 8-line block ×5, first 2 shown]
	v_xor_b32_e32 v51, vcc_hi, v1
	v_xor_b32_e32 v1, vcc_lo, v1
	v_and_b32_e32 v5, v5, v1
	v_lshlrev_b32_e32 v1, 24, v4
	v_cmp_gt_i64_e32 vcc, 0, v[0:1]
	v_not_b32_e32 v0, v1
	v_ashrrev_i32_e32 v0, 31, v0
	v_xor_b32_e32 v1, vcc_hi, v0
	v_xor_b32_e32 v0, vcc_lo, v0
	; wave barrier
	ds_read_b32 v49, v28 offset:16
	v_and_b32_e32 v50, v50, v51
	v_and_b32_e32 v0, v5, v0
	;; [unrolled: 1-line block ×3, first 2 shown]
	v_mbcnt_lo_u32_b32 v4, v0, 0
	v_mbcnt_hi_u32_b32 v51, v1, v4
	v_cmp_eq_u32_e32 vcc, 0, v51
	v_cmp_ne_u64_e64 s[0:1], 0, v[0:1]
	s_and_b64 s[2:3], s[0:1], vcc
	; wave barrier
	s_and_saveexec_b64 s[0:1], s[2:3]
	s_cbranch_execz .LBB192_150
; %bb.149:
	v_bcnt_u32_b32 v0, v0, 0
	v_bcnt_u32_b32 v0, v1, v0
	s_waitcnt lgkmcnt(0)
	v_add_u32_e32 v0, v49, v0
	ds_write_b32 v28, v0 offset:16
.LBB192_150:
	s_or_b64 exec, exec, s[0:1]
	v_mov_b32_e32 v55, 0x7fff
	s_waitcnt vmcnt(1)
	v_cmp_gt_i16_e32 vcc, 0, v23
	v_cndmask_b32_e64 v1, v55, 0, vcc
	v_xor_b32_e32 v50, v1, v23
	s_movk_i32 s2, 0x8000
	v_cmp_ne_u16_e32 vcc, s2, v50
	v_cndmask_b32_e32 v1, v55, v50, vcc
	v_lshrrev_b32_sdwa v1, s68, v1 dst_sel:DWORD dst_unused:UNUSED_PAD src0_sel:DWORD src1_sel:WORD_0
	v_and_b32_e32 v4, s9, v1
	v_mul_u32_u24_e32 v1, 5, v4
	v_add_lshl_u32 v23, v1, v18, 2
	v_and_b32_e32 v1, 1, v4
	v_add_co_u32_e32 v5, vcc, -1, v1
	v_addc_co_u32_e64 v53, s[0:1], 0, -1, vcc
	v_cmp_ne_u32_e32 vcc, 0, v1
	v_xor_b32_e32 v1, vcc_hi, v53
	v_mov_b32_e32 v0, 0
	v_and_b32_e32 v53, exec_hi, v1
	v_lshlrev_b32_e32 v1, 30, v4
	v_xor_b32_e32 v5, vcc_lo, v5
	v_cmp_gt_i64_e32 vcc, 0, v[0:1]
	v_not_b32_e32 v1, v1
	v_ashrrev_i32_e32 v1, 31, v1
	v_and_b32_e32 v5, exec_lo, v5
	v_xor_b32_e32 v54, vcc_hi, v1
	v_xor_b32_e32 v1, vcc_lo, v1
	v_and_b32_e32 v5, v5, v1
	v_lshlrev_b32_e32 v1, 29, v4
	v_cmp_gt_i64_e32 vcc, 0, v[0:1]
	v_not_b32_e32 v1, v1
	v_ashrrev_i32_e32 v1, 31, v1
	v_and_b32_e32 v53, v53, v54
	v_xor_b32_e32 v54, vcc_hi, v1
	v_xor_b32_e32 v1, vcc_lo, v1
	v_and_b32_e32 v5, v5, v1
	v_lshlrev_b32_e32 v1, 28, v4
	v_cmp_gt_i64_e32 vcc, 0, v[0:1]
	v_not_b32_e32 v1, v1
	v_ashrrev_i32_e32 v1, 31, v1
	v_and_b32_e32 v53, v53, v54
	;; [unrolled: 8-line block ×5, first 2 shown]
	v_xor_b32_e32 v54, vcc_hi, v1
	v_xor_b32_e32 v1, vcc_lo, v1
	v_and_b32_e32 v53, v53, v54
	v_and_b32_e32 v54, v5, v1
	v_lshlrev_b32_e32 v1, 24, v4
	v_cmp_gt_i64_e32 vcc, 0, v[0:1]
	v_not_b32_e32 v1, v1
	v_ashrrev_i32_e32 v1, 31, v1
	v_xor_b32_e32 v4, vcc_hi, v1
	v_xor_b32_e32 v1, vcc_lo, v1
	; wave barrier
	ds_read_b32 v52, v23 offset:16
	v_and_b32_e32 v5, v53, v4
	v_and_b32_e32 v4, v54, v1
	v_mbcnt_lo_u32_b32 v1, v4, 0
	v_mbcnt_hi_u32_b32 v54, v5, v1
	v_cmp_eq_u32_e32 vcc, 0, v54
	v_cmp_ne_u64_e64 s[0:1], 0, v[4:5]
	s_and_b64 s[4:5], s[0:1], vcc
	; wave barrier
	s_and_saveexec_b64 s[0:1], s[4:5]
	s_cbranch_execz .LBB192_152
; %bb.151:
	v_bcnt_u32_b32 v1, v4, 0
	v_bcnt_u32_b32 v1, v5, v1
	s_waitcnt lgkmcnt(0)
	v_add_u32_e32 v1, v52, v1
	ds_write_b32 v23, v1 offset:16
.LBB192_152:
	s_or_b64 exec, exec, s[0:1]
	s_waitcnt vmcnt(0)
	v_cmp_gt_i16_e32 vcc, 0, v17
	v_cndmask_b32_e64 v1, v55, 0, vcc
	v_xor_b32_e32 v53, v1, v17
	v_cmp_ne_u16_e32 vcc, s2, v53
	v_cndmask_b32_e32 v1, v55, v53, vcc
	v_lshrrev_b32_sdwa v1, s68, v1 dst_sel:DWORD dst_unused:UNUSED_PAD src0_sel:DWORD src1_sel:WORD_0
	v_and_b32_e32 v4, s9, v1
	v_mul_u32_u24_e32 v1, 5, v4
	v_add_lshl_u32 v17, v1, v18, 2
	v_and_b32_e32 v1, 1, v4
	v_add_co_u32_e32 v5, vcc, -1, v1
	v_addc_co_u32_e64 v18, s[0:1], 0, -1, vcc
	v_cmp_ne_u32_e32 vcc, 0, v1
	v_xor_b32_e32 v1, vcc_hi, v18
	v_and_b32_e32 v18, exec_hi, v1
	v_lshlrev_b32_e32 v1, 30, v4
	v_xor_b32_e32 v5, vcc_lo, v5
	v_cmp_gt_i64_e32 vcc, 0, v[0:1]
	v_not_b32_e32 v1, v1
	v_ashrrev_i32_e32 v1, 31, v1
	v_and_b32_e32 v5, exec_lo, v5
	v_xor_b32_e32 v57, vcc_hi, v1
	v_xor_b32_e32 v1, vcc_lo, v1
	v_and_b32_e32 v5, v5, v1
	v_lshlrev_b32_e32 v1, 29, v4
	v_cmp_gt_i64_e32 vcc, 0, v[0:1]
	v_not_b32_e32 v1, v1
	v_ashrrev_i32_e32 v1, 31, v1
	v_and_b32_e32 v18, v18, v57
	v_xor_b32_e32 v57, vcc_hi, v1
	v_xor_b32_e32 v1, vcc_lo, v1
	v_and_b32_e32 v5, v5, v1
	v_lshlrev_b32_e32 v1, 28, v4
	v_cmp_gt_i64_e32 vcc, 0, v[0:1]
	v_not_b32_e32 v1, v1
	v_ashrrev_i32_e32 v1, 31, v1
	v_and_b32_e32 v18, v18, v57
	;; [unrolled: 8-line block ×5, first 2 shown]
	v_xor_b32_e32 v57, vcc_hi, v1
	v_xor_b32_e32 v1, vcc_lo, v1
	v_and_b32_e32 v5, v5, v1
	v_lshlrev_b32_e32 v1, 24, v4
	v_cmp_gt_i64_e32 vcc, 0, v[0:1]
	v_not_b32_e32 v0, v1
	v_ashrrev_i32_e32 v0, 31, v0
	v_xor_b32_e32 v1, vcc_hi, v0
	v_xor_b32_e32 v0, vcc_lo, v0
	; wave barrier
	ds_read_b32 v55, v17 offset:16
	v_and_b32_e32 v18, v18, v57
	v_and_b32_e32 v0, v5, v0
	;; [unrolled: 1-line block ×3, first 2 shown]
	v_mbcnt_lo_u32_b32 v4, v0, 0
	v_mbcnt_hi_u32_b32 v57, v1, v4
	v_cmp_eq_u32_e32 vcc, 0, v57
	v_cmp_ne_u64_e64 s[0:1], 0, v[0:1]
	v_add_u32_e32 v56, 16, v7
	s_and_b64 s[2:3], s[0:1], vcc
	; wave barrier
	s_and_saveexec_b64 s[0:1], s[2:3]
	s_cbranch_execz .LBB192_154
; %bb.153:
	v_bcnt_u32_b32 v0, v0, 0
	v_bcnt_u32_b32 v0, v1, v0
	s_waitcnt lgkmcnt(0)
	v_add_u32_e32 v0, v55, v0
	ds_write_b32 v17, v0 offset:16
.LBB192_154:
	s_or_b64 exec, exec, s[0:1]
	; wave barrier
	s_waitcnt lgkmcnt(0)
	s_barrier
	ds_read2_b32 v[4:5], v7 offset0:4 offset1:5
	ds_read2_b32 v[0:1], v56 offset0:2 offset1:3
	ds_read_b32 v18, v56 offset:16
	v_min_u32_e32 v8, 0xc0, v8
	v_or_b32_e32 v8, 63, v8
	s_waitcnt lgkmcnt(1)
	v_add3_u32 v58, v5, v4, v0
	s_waitcnt lgkmcnt(0)
	v_add3_u32 v18, v58, v1, v18
	v_and_b32_e32 v58, 15, v10
	v_cmp_ne_u32_e32 vcc, 0, v58
	v_mov_b32_dpp v59, v18 row_shr:1 row_mask:0xf bank_mask:0xf
	v_cndmask_b32_e32 v59, 0, v59, vcc
	v_add_u32_e32 v18, v59, v18
	v_cmp_lt_u32_e32 vcc, 1, v58
	s_nop 0
	v_mov_b32_dpp v59, v18 row_shr:2 row_mask:0xf bank_mask:0xf
	v_cndmask_b32_e32 v59, 0, v59, vcc
	v_add_u32_e32 v18, v18, v59
	v_cmp_lt_u32_e32 vcc, 3, v58
	s_nop 0
	;; [unrolled: 5-line block ×3, first 2 shown]
	v_mov_b32_dpp v59, v18 row_shr:8 row_mask:0xf bank_mask:0xf
	v_cndmask_b32_e32 v58, 0, v59, vcc
	v_add_u32_e32 v18, v18, v58
	v_bfe_i32 v59, v10, 4, 1
	v_cmp_lt_u32_e32 vcc, 31, v10
	v_mov_b32_dpp v58, v18 row_bcast:15 row_mask:0xf bank_mask:0xf
	v_and_b32_e32 v58, v59, v58
	v_add_u32_e32 v18, v18, v58
	s_nop 1
	v_mov_b32_dpp v58, v18 row_bcast:31 row_mask:0xf bank_mask:0xf
	v_cndmask_b32_e32 v58, 0, v58, vcc
	v_add_u32_e32 v18, v18, v58
	v_lshrrev_b32_e32 v58, 6, v2
	v_cmp_eq_u32_e32 vcc, v8, v2
	s_and_saveexec_b64 s[0:1], vcc
	s_cbranch_execz .LBB192_156
; %bb.155:
	v_lshlrev_b32_e32 v8, 2, v58
	ds_write_b32 v8, v18
.LBB192_156:
	s_or_b64 exec, exec, s[0:1]
	v_cmp_gt_u32_e32 vcc, 4, v2
	s_waitcnt lgkmcnt(0)
	s_barrier
	s_and_saveexec_b64 s[0:1], vcc
	s_cbranch_execz .LBB192_158
; %bb.157:
	v_lshlrev_b32_e32 v8, 2, v2
	ds_read_b32 v59, v8
	v_and_b32_e32 v60, 3, v10
	v_cmp_ne_u32_e32 vcc, 0, v60
	s_waitcnt lgkmcnt(0)
	v_mov_b32_dpp v61, v59 row_shr:1 row_mask:0xf bank_mask:0xf
	v_cndmask_b32_e32 v61, 0, v61, vcc
	v_add_u32_e32 v59, v61, v59
	v_cmp_lt_u32_e32 vcc, 1, v60
	s_nop 0
	v_mov_b32_dpp v61, v59 row_shr:2 row_mask:0xf bank_mask:0xf
	v_cndmask_b32_e32 v60, 0, v61, vcc
	v_add_u32_e32 v59, v59, v60
	ds_write_b32 v8, v59
.LBB192_158:
	s_or_b64 exec, exec, s[0:1]
	v_cmp_lt_u32_e32 vcc, 63, v2
	v_mov_b32_e32 v8, 0
	s_waitcnt lgkmcnt(0)
	s_barrier
	s_and_saveexec_b64 s[0:1], vcc
	s_cbranch_execz .LBB192_160
; %bb.159:
	v_lshl_add_u32 v8, v58, 2, -4
	ds_read_b32 v8, v8
.LBB192_160:
	s_or_b64 exec, exec, s[0:1]
	v_add_u32_e32 v58, -1, v10
	v_and_b32_e32 v59, 64, v10
	v_cmp_lt_i32_e32 vcc, v58, v59
	v_cndmask_b32_e32 v58, v58, v10, vcc
	s_waitcnt lgkmcnt(0)
	v_add_u32_e32 v18, v8, v18
	v_lshlrev_b32_e32 v58, 2, v58
	ds_bpermute_b32 v18, v58, v18
	v_cmp_eq_u32_e32 vcc, 0, v10
	s_movk_i32 s0, 0x100
	s_waitcnt lgkmcnt(0)
	v_cndmask_b32_e32 v8, v18, v8, vcc
	v_cmp_ne_u32_e32 vcc, 0, v2
	v_cndmask_b32_e32 v8, 0, v8, vcc
	v_add_u32_e32 v4, v8, v4
	v_add_u32_e32 v5, v4, v5
	;; [unrolled: 1-line block ×4, first 2 shown]
	ds_write2_b32 v7, v8, v4 offset0:4 offset1:5
	ds_write2_b32 v56, v5, v0 offset0:2 offset1:3
	ds_write_b32 v56, v1 offset:16
	s_waitcnt lgkmcnt(0)
	s_barrier
	ds_read_b32 v1, v14 offset:16
	ds_read_b32 v5, v20 offset:16
	;; [unrolled: 1-line block ×13, first 2 shown]
	v_add_u32_e32 v7, 1, v2
	v_cmp_ne_u32_e32 vcc, s0, v7
	v_mov_b32_e32 v0, 0xc00
	s_and_saveexec_b64 s[0:1], vcc
	s_cbranch_execz .LBB192_162
; %bb.161:
	v_mul_u32_u24_e32 v0, 5, v7
	v_lshlrev_b32_e32 v0, 2, v0
	ds_read_b32 v0, v0 offset:16
.LBB192_162:
	s_or_b64 exec, exec, s[0:1]
	s_waitcnt lgkmcnt(1)
	v_add_u32_e32 v28, v9, v11
	v_add3_u32 v25, v15, v13, v1
	v_lshlrev_b32_e32 v1, 1, v28
	v_add3_u32 v23, v22, v19, v5
	s_waitcnt lgkmcnt(0)
	s_barrier
	ds_write_b16 v1, v6 offset:2048
	v_lshlrev_b32_e32 v1, 1, v25
	v_add3_u32 v22, v26, v24, v8
	ds_write_b16 v1, v12 offset:2048
	v_lshlrev_b32_e32 v1, 1, v23
	v_add3_u32 v20, v32, v29, v14
	ds_write_b16 v1, v16 offset:2048
	v_lshlrev_b32_e32 v1, 1, v22
	v_add3_u32 v19, v37, v34, v18
	ds_write_b16 v1, v21 offset:2048
	v_lshlrev_b32_e32 v1, 1, v20
	v_add3_u32 v18, v41, v39, v30
	ds_write_b16 v1, v27 offset:2048
	v_lshlrev_b32_e32 v1, 1, v19
	v_add3_u32 v17, v44, v42, v35
	ds_write_b16 v1, v31 offset:2048
	v_lshlrev_b32_e32 v1, 1, v18
	v_add3_u32 v15, v48, v45, v40
	ds_write_b16 v1, v36 offset:2048
	v_lshlrev_b32_e32 v1, 1, v17
	v_add3_u32 v14, v51, v49, v43
	ds_write_b16 v1, v38 offset:2048
	v_lshlrev_b32_e32 v1, 1, v15
	v_add3_u32 v13, v54, v52, v46
	ds_write_b16 v1, v33 offset:2048
	v_lshlrev_b32_e32 v1, 1, v14
	v_add3_u32 v11, v57, v55, v56
	ds_write_b16 v1, v47 offset:2048
	v_lshlrev_b32_e32 v1, 1, v13
	ds_write_b16 v1, v50 offset:2048
	v_lshlrev_b32_e32 v1, 1, v11
	ds_write_b16 v1, v53 offset:2048
	v_sub_u32_e32 v32, v0, v4
	v_lshl_add_u32 v0, s6, 8, v2
	v_mov_b32_e32 v1, 0
	v_lshlrev_b64 v[6:7], 2, v[0:1]
	v_mov_b32_e32 v12, s73
	v_add_co_u32_e32 v6, vcc, s72, v6
	v_addc_co_u32_e32 v7, vcc, v12, v7, vcc
	v_or_b32_e32 v0, 2.0, v32
	s_mov_b64 s[0:1], 0
	s_brev_b32 s10, 1
	v_mov_b32_e32 v5, 0
	s_waitcnt lgkmcnt(0)
	s_barrier
	global_store_dword v[6:7], v0, off
                                        ; implicit-def: $sgpr2_sgpr3
	s_branch .LBB192_165
.LBB192_163:                            ;   in Loop: Header=BB192_165 Depth=1
	s_or_b64 exec, exec, s[4:5]
.LBB192_164:                            ;   in Loop: Header=BB192_165 Depth=1
	s_or_b64 exec, exec, s[2:3]
	v_and_b32_e32 v8, 0x3fffffff, v16
	v_add_u32_e32 v5, v8, v5
	v_cmp_eq_u32_e64 s[2:3], s10, v0
	s_and_b64 s[4:5], exec, s[2:3]
	s_or_b64 s[0:1], s[4:5], s[0:1]
	s_andn2_b64 exec, exec, s[0:1]
	s_cbranch_execz .LBB192_170
.LBB192_165:                            ; =>This Loop Header: Depth=1
                                        ;     Child Loop BB192_168 Depth 2
	s_or_b64 s[2:3], s[2:3], exec
	s_cmp_eq_u32 s7, 0
	s_cbranch_scc1 .LBB192_169
; %bb.166:                              ;   in Loop: Header=BB192_165 Depth=1
	s_add_i32 s7, s7, -1
	v_lshl_add_u32 v0, s7, 8, v2
	v_lshlrev_b64 v[8:9], 2, v[0:1]
	v_add_co_u32_e32 v8, vcc, s72, v8
	v_addc_co_u32_e32 v9, vcc, v12, v9, vcc
	global_load_dword v16, v[8:9], off glc
	s_waitcnt vmcnt(0)
	v_and_b32_e32 v0, -2.0, v16
	v_cmp_eq_u32_e32 vcc, 0, v0
	s_and_saveexec_b64 s[2:3], vcc
	s_cbranch_execz .LBB192_164
; %bb.167:                              ;   in Loop: Header=BB192_165 Depth=1
	s_mov_b64 s[4:5], 0
.LBB192_168:                            ;   Parent Loop BB192_165 Depth=1
                                        ; =>  This Inner Loop Header: Depth=2
	global_load_dword v16, v[8:9], off glc
	s_waitcnt vmcnt(0)
	v_and_b32_e32 v0, -2.0, v16
	v_cmp_ne_u32_e32 vcc, 0, v0
	s_or_b64 s[4:5], vcc, s[4:5]
	s_andn2_b64 exec, exec, s[4:5]
	s_cbranch_execnz .LBB192_168
	s_branch .LBB192_163
.LBB192_169:                            ;   in Loop: Header=BB192_165 Depth=1
                                        ; implicit-def: $sgpr7
	s_and_b64 s[4:5], exec, s[2:3]
	s_or_b64 s[0:1], s[4:5], s[0:1]
	s_andn2_b64 exec, exec, s[0:1]
	s_cbranch_execnz .LBB192_165
.LBB192_170:
	s_or_b64 exec, exec, s[0:1]
	v_add_u32_e32 v0, v5, v32
	v_or_b32_e32 v0, 0x80000000, v0
	global_store_dword v[6:7], v0, off
	v_lshlrev_b32_e32 v33, 3, v2
	global_load_dwordx2 v[0:1], v33, s[64:65]
	v_sub_co_u32_e32 v5, vcc, v5, v4
	v_subb_co_u32_e64 v6, s[0:1], 0, 0, vcc
	s_movk_i32 s0, 0x8000
	v_mad_i32_i24 v8, v2, -6, v33
	v_mov_b32_e32 v12, 0x7fff
	v_lshlrev_b32_e32 v16, 1, v2
	v_mov_b32_e32 v7, s59
	v_mov_b32_e32 v21, s59
	;; [unrolled: 1-line block ×4, first 2 shown]
	v_add_u32_e32 v56, 0x900, v2
	v_add_u32_e32 v60, 0xa00, v2
	;; [unrolled: 1-line block ×3, first 2 shown]
	v_lshlrev_b32_e32 v3, 3, v3
	s_waitcnt vmcnt(0)
	v_add_co_u32_e32 v0, vcc, v5, v0
	v_addc_co_u32_e32 v1, vcc, v6, v1, vcc
	ds_write_b64 v33, v[0:1]
	s_waitcnt lgkmcnt(0)
	s_barrier
	ds_read_u16 v0, v8 offset:2048
	ds_read_u16 v1, v16 offset:2560
	;; [unrolled: 1-line block ×7, first 2 shown]
	s_waitcnt lgkmcnt(6)
	v_cmp_ne_u16_e32 vcc, s0, v0
	v_cndmask_b32_e32 v6, v12, v0, vcc
	v_cmp_gt_i16_e32 vcc, 0, v0
	v_cndmask_b32_e64 v8, v12, 0, vcc
	s_waitcnt lgkmcnt(5)
	v_cmp_ne_u16_e32 vcc, s0, v1
	v_cndmask_b32_e32 v9, v12, v1, vcc
	v_cmp_gt_i16_e32 vcc, 0, v1
	v_cndmask_b32_e64 v26, v12, 0, vcc
	s_waitcnt lgkmcnt(4)
	v_cmp_ne_u16_e32 vcc, s0, v5
	v_cndmask_b32_e32 v27, v12, v5, vcc
	v_lshrrev_b32_sdwa v6, s68, v6 dst_sel:DWORD dst_unused:UNUSED_PAD src0_sel:DWORD src1_sel:WORD_0
	v_cmp_gt_i16_e32 vcc, 0, v5
	v_xor_b32_e32 v8, v8, v0
	v_lshrrev_b32_sdwa v0, s68, v9 dst_sel:DWORD dst_unused:UNUSED_PAD src0_sel:DWORD src1_sel:WORD_0
	v_xor_b32_e32 v37, v26, v1
	v_lshrrev_b32_sdwa v1, s68, v27 dst_sel:DWORD dst_unused:UNUSED_PAD src0_sel:DWORD src1_sel:WORD_0
	v_and_b32_e32 v6, s9, v6
	v_cndmask_b32_e64 v36, v12, 0, vcc
	v_and_b32_e32 v0, s9, v0
	v_and_b32_e32 v1, s9, v1
	v_lshlrev_b32_e32 v50, 3, v6
	v_xor_b32_e32 v5, v36, v5
	v_lshlrev_b32_e32 v51, 3, v0
	v_lshlrev_b32_e32 v52, 3, v1
	ds_read_b64 v[0:1], v50
	ds_read_u16 v6, v16 offset:3072
	ds_read_u16 v36, v16 offset:4096
	;; [unrolled: 1-line block ×5, first 2 shown]
	s_waitcnt lgkmcnt(4)
	v_cmp_ne_u16_e32 vcc, s0, v6
	v_cndmask_b32_e32 v9, v12, v6, vcc
	v_cmp_gt_i16_e32 vcc, 0, v6
	v_lshlrev_b64 v[0:1], 1, v[0:1]
	v_cndmask_b32_e64 v26, v12, 0, vcc
	s_waitcnt lgkmcnt(3)
	v_cmp_ne_u16_e32 vcc, s0, v36
	v_cndmask_b32_e32 v27, v12, v36, vcc
	v_add_co_u32_e32 v0, vcc, s58, v0
	v_addc_co_u32_e32 v1, vcc, v7, v1, vcc
	v_add_co_u32_e32 v0, vcc, v0, v16
	v_addc_co_u32_e32 v1, vcc, 0, v1, vcc
	global_store_short v[0:1], v8, off
	ds_read_b64 v[0:1], v51
	v_lshrrev_b32_sdwa v7, s68, v9 dst_sel:DWORD dst_unused:UNUSED_PAD src0_sel:DWORD src1_sel:WORD_0
	v_xor_b32_e32 v41, v26, v6
	v_lshrrev_b32_sdwa v6, s68, v27 dst_sel:DWORD dst_unused:UNUSED_PAD src0_sel:DWORD src1_sel:WORD_0
	v_and_b32_e32 v7, s9, v7
	s_waitcnt lgkmcnt(0)
	v_lshlrev_b64 v[0:1], 1, v[0:1]
	v_and_b32_e32 v6, s9, v6
	v_lshlrev_b32_e32 v53, 3, v7
	v_add_co_u32_e32 v0, vcc, s58, v0
	v_lshlrev_b32_e32 v54, 3, v6
	ds_read_b64 v[6:7], v53
	ds_read_b64 v[8:9], v52
	;; [unrolled: 1-line block ×3, first 2 shown]
	v_addc_co_u32_e32 v1, vcc, v21, v1, vcc
	v_add_co_u32_e32 v0, vcc, v0, v16
	v_addc_co_u32_e32 v1, vcc, 0, v1, vcc
	global_store_short v[0:1], v37, off offset:512
	s_waitcnt lgkmcnt(2)
	v_lshlrev_b64 v[0:1], 1, v[6:7]
	v_add_co_u32_e32 v0, vcc, s58, v0
	v_addc_co_u32_e32 v1, vcc, v24, v1, vcc
	v_add_co_u32_e32 v0, vcc, v0, v16
	s_waitcnt lgkmcnt(1)
	v_lshlrev_b64 v[6:7], 1, v[8:9]
	v_addc_co_u32_e32 v1, vcc, 0, v1, vcc
	global_store_short v[0:1], v41, off offset:1024
	v_add_co_u32_e32 v0, vcc, s58, v6
	v_addc_co_u32_e32 v1, vcc, v29, v7, vcc
	v_add_co_u32_e32 v0, vcc, v0, v16
	v_addc_co_u32_e32 v1, vcc, 0, v1, vcc
	v_cmp_gt_i16_e32 vcc, 0, v36
	global_store_short v[0:1], v5, off offset:1536
	v_cndmask_b32_e64 v0, v12, 0, vcc
	v_xor_b32_e32 v5, v0, v36
	s_waitcnt lgkmcnt(0)
	v_lshlrev_b64 v[0:1], 1, v[26:27]
	v_mov_b32_e32 v6, s59
	v_add_co_u32_e32 v0, vcc, s58, v0
	v_addc_co_u32_e32 v1, vcc, v6, v1, vcc
	v_add_co_u32_e32 v0, vcc, v0, v16
	v_addc_co_u32_e32 v1, vcc, 0, v1, vcc
	v_cmp_ne_u16_e32 vcc, s0, v30
	global_store_short v[0:1], v5, off offset:2048
	v_cndmask_b32_e32 v0, v12, v30, vcc
	v_lshrrev_b32_sdwa v0, s68, v0 dst_sel:DWORD dst_unused:UNUSED_PAD src0_sel:DWORD src1_sel:WORD_0
	v_cmp_gt_i16_e32 vcc, 0, v30
	v_and_b32_e32 v0, s9, v0
	v_cndmask_b32_e64 v1, v12, 0, vcc
	v_cmp_ne_u16_e32 vcc, s0, v38
	v_lshlrev_b32_e32 v21, 3, v0
	v_cndmask_b32_e32 v0, v12, v38, vcc
	v_lshrrev_b32_sdwa v0, s68, v0 dst_sel:DWORD dst_unused:UNUSED_PAD src0_sel:DWORD src1_sel:WORD_0
	v_and_b32_e32 v0, s9, v0
	v_cmp_ne_u16_e32 vcc, s0, v31
	v_lshlrev_b32_e32 v24, 3, v0
	v_cndmask_b32_e32 v0, v12, v31, vcc
	v_lshrrev_b32_sdwa v0, s68, v0 dst_sel:DWORD dst_unused:UNUSED_PAD src0_sel:DWORD src1_sel:WORD_0
	v_and_b32_e32 v0, s9, v0
	v_cmp_ne_u16_e32 vcc, s0, v39
	v_lshlrev_b32_e32 v29, 3, v0
	v_cndmask_b32_e32 v0, v12, v39, vcc
	v_lshrrev_b32_sdwa v0, s68, v0 dst_sel:DWORD dst_unused:UNUSED_PAD src0_sel:DWORD src1_sel:WORD_0
	v_xor_b32_e32 v5, v1, v30
	v_and_b32_e32 v6, s9, v0
	ds_read_b64 v[0:1], v21
	v_mov_b32_e32 v30, s59
	v_lshlrev_b32_e32 v55, 3, v6
	ds_read_b64 v[6:7], v24
	ds_read_b64 v[8:9], v29
	;; [unrolled: 1-line block ×3, first 2 shown]
	s_waitcnt lgkmcnt(3)
	v_lshlrev_b64 v[0:1], 1, v[0:1]
	v_add_co_u32_e32 v0, vcc, s58, v0
	v_addc_co_u32_e32 v1, vcc, v30, v1, vcc
	v_add_co_u32_e32 v0, vcc, v0, v16
	v_addc_co_u32_e32 v1, vcc, 0, v1, vcc
	v_cmp_gt_i16_e32 vcc, 0, v38
	global_store_short v[0:1], v5, off offset:2560
	v_cndmask_b32_e64 v0, v12, 0, vcc
	v_xor_b32_e32 v5, v0, v38
	s_waitcnt lgkmcnt(2)
	v_lshlrev_b64 v[0:1], 1, v[6:7]
	v_mov_b32_e32 v6, s59
	v_add_co_u32_e32 v0, vcc, s58, v0
	v_addc_co_u32_e32 v1, vcc, v6, v1, vcc
	v_add_co_u32_e32 v0, vcc, v0, v16
	v_addc_co_u32_e32 v1, vcc, 0, v1, vcc
	v_cmp_gt_i16_e32 vcc, 0, v31
	global_store_short v[0:1], v5, off offset:3072
	v_cndmask_b32_e64 v0, v12, 0, vcc
	v_xor_b32_e32 v5, v0, v31
	s_waitcnt lgkmcnt(1)
	v_lshlrev_b64 v[0:1], 1, v[8:9]
	v_add_co_u32_e32 v0, vcc, s58, v0
	v_addc_co_u32_e32 v1, vcc, v6, v1, vcc
	v_add_co_u32_e32 v0, vcc, v0, v16
	v_addc_co_u32_e32 v1, vcc, 0, v1, vcc
	v_cmp_gt_i16_e32 vcc, 0, v39
	global_store_short v[0:1], v5, off offset:3584
	v_cndmask_b32_e64 v0, v12, 0, vcc
	v_xor_b32_e32 v5, v0, v39
	s_waitcnt lgkmcnt(0)
	v_lshlrev_b64 v[0:1], 1, v[26:27]
	v_or_b32_e32 v16, 0x800, v2
	v_add_co_u32_e32 v0, vcc, s58, v0
	v_addc_co_u32_e32 v1, vcc, v6, v1, vcc
	v_lshlrev_b32_e32 v6, 1, v16
	v_add_co_u32_e32 v0, vcc, v0, v6
	v_addc_co_u32_e32 v1, vcc, 0, v1, vcc
	v_cmp_ne_u16_e32 vcc, s0, v34
	global_store_short v[0:1], v5, off
	v_cndmask_b32_e32 v0, v12, v34, vcc
	v_lshrrev_b32_sdwa v0, s68, v0 dst_sel:DWORD dst_unused:UNUSED_PAD src0_sel:DWORD src1_sel:WORD_0
	v_cmp_gt_i16_e32 vcc, 0, v34
	v_and_b32_e32 v0, s9, v0
	v_cndmask_b32_e64 v1, v12, 0, vcc
	v_cmp_ne_u16_e32 vcc, s0, v40
	v_lshlrev_b32_e32 v57, 3, v0
	v_cndmask_b32_e32 v0, v12, v40, vcc
	v_lshrrev_b32_sdwa v0, s68, v0 dst_sel:DWORD dst_unused:UNUSED_PAD src0_sel:DWORD src1_sel:WORD_0
	v_and_b32_e32 v0, s9, v0
	v_cmp_ne_u16_e32 vcc, s0, v35
	v_lshlrev_b32_e32 v58, 3, v0
	v_cndmask_b32_e32 v0, v12, v35, vcc
	v_xor_b32_e32 v5, v1, v34
	v_lshrrev_b32_sdwa v6, s68, v0 dst_sel:DWORD dst_unused:UNUSED_PAD src0_sel:DWORD src1_sel:WORD_0
	ds_read_b64 v[0:1], v57
	v_mov_b32_e32 v26, s59
	v_and_b32_e32 v6, s9, v6
	v_lshlrev_b32_e32 v59, 3, v6
	ds_read_b64 v[6:7], v58
	ds_read_b64 v[8:9], v59
	s_waitcnt lgkmcnt(2)
	v_lshlrev_b64 v[0:1], 1, v[0:1]
	v_add_co_u32_e32 v0, vcc, s58, v0
	v_addc_co_u32_e32 v1, vcc, v26, v1, vcc
	v_lshlrev_b32_e32 v26, 1, v56
	v_add_co_u32_e32 v0, vcc, v0, v26
	v_addc_co_u32_e32 v1, vcc, 0, v1, vcc
	v_cmp_gt_i16_e32 vcc, 0, v40
	global_store_short v[0:1], v5, off
	v_cndmask_b32_e64 v0, v12, 0, vcc
	v_xor_b32_e32 v5, v0, v40
	s_waitcnt lgkmcnt(1)
	v_lshlrev_b64 v[0:1], 1, v[6:7]
	v_mov_b32_e32 v6, s59
	v_add_co_u32_e32 v0, vcc, s58, v0
	v_addc_co_u32_e32 v1, vcc, v6, v1, vcc
	v_lshlrev_b32_e32 v6, 1, v60
	v_add_co_u32_e32 v0, vcc, v0, v6
	v_addc_co_u32_e32 v1, vcc, 0, v1, vcc
	v_cmp_gt_i16_e32 vcc, 0, v35
	global_store_short v[0:1], v5, off
	v_cndmask_b32_e64 v0, v12, 0, vcc
	v_xor_b32_e32 v5, v0, v35
	s_waitcnt lgkmcnt(0)
	v_lshlrev_b64 v[0:1], 1, v[8:9]
	v_mov_b32_e32 v6, s59
	v_add_co_u32_e32 v0, vcc, s58, v0
	v_addc_co_u32_e32 v1, vcc, v6, v1, vcc
	v_lshlrev_b32_e32 v6, 1, v61
	v_add_co_u32_e32 v0, vcc, v0, v6
	s_lshl_b64 s[0:1], s[54:55], 3
	v_addc_co_u32_e32 v1, vcc, 0, v1, vcc
	s_add_u32 s0, s60, s0
	global_store_short v[0:1], v5, off
	s_addc_u32 s1, s61, s1
	v_lshlrev_b32_e32 v0, 3, v10
	v_mov_b32_e32 v1, s1
	v_add_co_u32_e32 v0, vcc, s0, v0
	v_addc_co_u32_e32 v1, vcc, 0, v1, vcc
	v_add_co_u32_e32 v0, vcc, v0, v3
	v_addc_co_u32_e32 v1, vcc, 0, v1, vcc
	global_load_dwordx2 v[6:7], v[0:1], off
	global_load_dwordx2 v[8:9], v[0:1], off offset:512
	global_load_dwordx2 v[26:27], v[0:1], off offset:1024
	;; [unrolled: 1-line block ×7, first 2 shown]
	s_movk_i32 s0, 0x1000
	v_add_co_u32_e32 v0, vcc, s0, v0
	v_addc_co_u32_e32 v1, vcc, 0, v1, vcc
	global_load_dwordx2 v[42:43], v[0:1], off
	global_load_dwordx2 v[44:45], v[0:1], off offset:512
	global_load_dwordx2 v[46:47], v[0:1], off offset:1024
	;; [unrolled: 1-line block ×3, first 2 shown]
	v_lshlrev_b32_e32 v0, 3, v28
	s_barrier
	v_lshlrev_b32_e32 v16, 3, v16
	s_add_i32 s8, s8, -1
	v_mov_b32_e32 v3, 0
	s_cmp_eq_u32 s6, s8
	v_mov_b32_e32 v5, v3
	s_cselect_b64 s[0:1], -1, 0
	s_waitcnt vmcnt(11)
	ds_write_b64 v0, v[6:7] offset:2048
	v_lshlrev_b32_e32 v0, 3, v25
	s_waitcnt vmcnt(10)
	ds_write_b64 v0, v[8:9] offset:2048
	v_lshlrev_b32_e32 v0, 3, v23
	;; [unrolled: 3-line block ×11, first 2 shown]
	s_waitcnt vmcnt(0)
	ds_write_b64 v0, v[48:49] offset:2048
	s_waitcnt lgkmcnt(0)
	s_barrier
	ds_read_b64 v[0:1], v50
	ds_read2st64_b64 v[6:9], v33 offset0:4 offset1:8
	ds_read_b64 v[10:11], v51
	ds_read_b64 v[12:13], v53
	;; [unrolled: 1-line block ×3, first 2 shown]
	s_waitcnt lgkmcnt(4)
	v_lshlrev_b64 v[0:1], 3, v[0:1]
	v_mov_b32_e32 v17, s63
	v_add_co_u32_e32 v0, vcc, s62, v0
	v_addc_co_u32_e32 v1, vcc, v17, v1, vcc
	v_add_co_u32_e32 v0, vcc, v0, v33
	v_addc_co_u32_e32 v1, vcc, 0, v1, vcc
	s_waitcnt lgkmcnt(3)
	global_store_dwordx2 v[0:1], v[6:7], off
	s_waitcnt lgkmcnt(2)
	v_lshlrev_b64 v[0:1], 3, v[10:11]
	v_mov_b32_e32 v6, s63
	v_add_co_u32_e32 v0, vcc, s62, v0
	v_addc_co_u32_e32 v1, vcc, v6, v1, vcc
	v_add_co_u32_e32 v0, vcc, v0, v33
	v_addc_co_u32_e32 v1, vcc, 0, v1, vcc
	global_store_dwordx2 v[0:1], v[8:9], off offset:2048
	ds_read2st64_b64 v[6:9], v33 offset0:12 offset1:16
	s_waitcnt lgkmcnt(2)
	v_lshlrev_b64 v[0:1], 3, v[12:13]
	v_mov_b32_e32 v10, s63
	v_add_co_u32_e32 v0, vcc, s62, v0
	v_addc_co_u32_e32 v1, vcc, v10, v1, vcc
	v_add_u32_e32 v10, 0x1000, v33
	v_add_co_u32_e32 v0, vcc, v0, v10
	v_addc_co_u32_e32 v1, vcc, 0, v1, vcc
	s_waitcnt lgkmcnt(0)
	global_store_dwordx2 v[0:1], v[6:7], off
	v_lshlrev_b64 v[0:1], 3, v[14:15]
	v_mov_b32_e32 v6, s63
	v_add_co_u32_e32 v0, vcc, s62, v0
	v_addc_co_u32_e32 v1, vcc, v6, v1, vcc
	v_add_u32_e32 v6, 0x1800, v33
	v_add_co_u32_e32 v0, vcc, v0, v6
	v_addc_co_u32_e32 v1, vcc, 0, v1, vcc
	global_store_dwordx2 v[0:1], v[8:9], off
	ds_read_b64 v[0:1], v54
	ds_read2st64_b64 v[6:9], v33 offset0:20 offset1:24
	ds_read_b64 v[10:11], v21
	ds_read_b64 v[12:13], v24
	;; [unrolled: 1-line block ×3, first 2 shown]
	s_waitcnt lgkmcnt(4)
	v_lshlrev_b64 v[0:1], 3, v[0:1]
	v_add_co_u32_e32 v0, vcc, s62, v0
	v_addc_co_u32_e32 v1, vcc, v17, v1, vcc
	v_or_b32_e32 v17, 0x2000, v33
	v_add_co_u32_e32 v0, vcc, v0, v17
	v_addc_co_u32_e32 v1, vcc, 0, v1, vcc
	s_waitcnt lgkmcnt(3)
	global_store_dwordx2 v[0:1], v[6:7], off
	s_waitcnt lgkmcnt(2)
	v_lshlrev_b64 v[0:1], 3, v[10:11]
	v_mov_b32_e32 v6, s63
	v_add_co_u32_e32 v0, vcc, s62, v0
	v_addc_co_u32_e32 v1, vcc, v6, v1, vcc
	v_add_u32_e32 v6, 0x2800, v33
	v_add_co_u32_e32 v0, vcc, v0, v6
	v_addc_co_u32_e32 v1, vcc, 0, v1, vcc
	global_store_dwordx2 v[0:1], v[8:9], off
	ds_read2st64_b64 v[6:9], v33 offset0:28 offset1:32
	s_waitcnt lgkmcnt(2)
	v_lshlrev_b64 v[0:1], 3, v[12:13]
	v_mov_b32_e32 v10, s63
	v_add_co_u32_e32 v0, vcc, s62, v0
	v_addc_co_u32_e32 v1, vcc, v10, v1, vcc
	v_add_u32_e32 v10, 0x3000, v33
	v_add_co_u32_e32 v0, vcc, v0, v10
	v_addc_co_u32_e32 v1, vcc, 0, v1, vcc
	s_waitcnt lgkmcnt(0)
	global_store_dwordx2 v[0:1], v[6:7], off
	v_lshlrev_b64 v[0:1], 3, v[14:15]
	v_mov_b32_e32 v6, s63
	v_add_co_u32_e32 v0, vcc, s62, v0
	v_addc_co_u32_e32 v1, vcc, v6, v1, vcc
	v_add_u32_e32 v6, 0x3800, v33
	v_add_co_u32_e32 v0, vcc, v0, v6
	v_addc_co_u32_e32 v1, vcc, 0, v1, vcc
	global_store_dwordx2 v[0:1], v[8:9], off
	ds_read_b64 v[0:1], v55
	ds_read2st64_b64 v[6:9], v33 offset0:36 offset1:40
	ds_read_b64 v[10:11], v57
	ds_read_b64 v[12:13], v58
	;; [unrolled: 1-line block ×3, first 2 shown]
	s_waitcnt lgkmcnt(4)
	v_lshlrev_b64 v[0:1], 3, v[0:1]
	v_mov_b32_e32 v17, s63
	v_add_co_u32_e32 v0, vcc, s62, v0
	v_addc_co_u32_e32 v1, vcc, v17, v1, vcc
	v_add_co_u32_e32 v0, vcc, v0, v16
	v_addc_co_u32_e32 v1, vcc, 0, v1, vcc
	s_waitcnt lgkmcnt(3)
	global_store_dwordx2 v[0:1], v[6:7], off
	s_waitcnt lgkmcnt(2)
	v_lshlrev_b64 v[0:1], 3, v[10:11]
	v_mov_b32_e32 v6, s63
	v_add_co_u32_e32 v0, vcc, s62, v0
	v_addc_co_u32_e32 v1, vcc, v6, v1, vcc
	v_lshlrev_b32_e32 v6, 3, v56
	v_add_co_u32_e32 v0, vcc, v0, v6
	v_addc_co_u32_e32 v1, vcc, 0, v1, vcc
	global_store_dwordx2 v[0:1], v[8:9], off
	ds_read2st64_b64 v[6:9], v33 offset0:44 offset1:48
	s_waitcnt lgkmcnt(2)
	v_lshlrev_b64 v[0:1], 3, v[12:13]
	v_mov_b32_e32 v10, s63
	v_add_co_u32_e32 v0, vcc, s62, v0
	v_addc_co_u32_e32 v1, vcc, v10, v1, vcc
	v_lshlrev_b32_e32 v10, 3, v60
	v_add_co_u32_e32 v0, vcc, v0, v10
	v_addc_co_u32_e32 v1, vcc, 0, v1, vcc
	s_waitcnt lgkmcnt(0)
	global_store_dwordx2 v[0:1], v[6:7], off
	v_lshlrev_b64 v[0:1], 3, v[14:15]
	v_mov_b32_e32 v6, s63
	v_add_co_u32_e32 v0, vcc, s62, v0
	v_addc_co_u32_e32 v1, vcc, v6, v1, vcc
	v_lshlrev_b32_e32 v6, 3, v61
	v_add_co_u32_e32 v0, vcc, v0, v6
	v_addc_co_u32_e32 v1, vcc, 0, v1, vcc
	global_store_dwordx2 v[0:1], v[8:9], off
.LBB192_171:
	s_and_b64 vcc, exec, s[0:1]
	s_cbranch_vccnz .LBB192_173
; %bb.172:
	s_endpgm
.LBB192_173:
	v_lshlrev_b64 v[0:1], 3, v[2:3]
	ds_read_b64 v[2:3], v33
	v_add_co_u32_e32 v4, vcc, v4, v32
	v_addc_co_u32_e32 v5, vcc, 0, v5, vcc
	v_mov_b32_e32 v6, s67
	v_add_co_u32_e32 v0, vcc, s66, v0
	v_addc_co_u32_e32 v1, vcc, v6, v1, vcc
	s_waitcnt lgkmcnt(0)
	v_add_co_u32_e32 v2, vcc, v4, v2
	v_addc_co_u32_e32 v3, vcc, v5, v3, vcc
	global_store_dwordx2 v[0:1], v[2:3], off
	s_endpgm
.LBB192_174:
	global_load_dwordx2 v[6:7], v[30:31], off
	s_or_b64 exec, exec, s[52:53]
                                        ; implicit-def: $vgpr8_vgpr9
	s_and_saveexec_b64 s[52:53], s[0:1]
	s_cbranch_execz .LBB192_91
.LBB192_175:
	global_load_dwordx2 v[8:9], v[30:31], off offset:512
	s_or_b64 exec, exec, s[52:53]
                                        ; implicit-def: $vgpr10_vgpr11
	s_and_saveexec_b64 s[0:1], s[2:3]
	s_cbranch_execz .LBB192_92
.LBB192_176:
	global_load_dwordx2 v[10:11], v[30:31], off offset:1024
	s_or_b64 exec, exec, s[0:1]
                                        ; implicit-def: $vgpr12_vgpr13
	s_and_saveexec_b64 s[0:1], s[50:51]
	s_cbranch_execz .LBB192_93
.LBB192_177:
	global_load_dwordx2 v[12:13], v[30:31], off offset:1536
	s_or_b64 exec, exec, s[0:1]
                                        ; implicit-def: $vgpr14_vgpr15
	s_and_saveexec_b64 s[0:1], s[8:9]
	s_cbranch_execz .LBB192_94
.LBB192_178:
	global_load_dwordx2 v[14:15], v[30:31], off offset:2048
	s_or_b64 exec, exec, s[0:1]
                                        ; implicit-def: $vgpr16_vgpr17
	s_and_saveexec_b64 s[0:1], s[12:13]
	s_cbranch_execz .LBB192_95
.LBB192_179:
	global_load_dwordx2 v[16:17], v[30:31], off offset:2560
	s_or_b64 exec, exec, s[0:1]
                                        ; implicit-def: $vgpr18_vgpr19
	s_and_saveexec_b64 s[0:1], s[16:17]
	s_cbranch_execz .LBB192_96
.LBB192_180:
	global_load_dwordx2 v[18:19], v[30:31], off offset:3072
	s_or_b64 exec, exec, s[0:1]
                                        ; implicit-def: $vgpr20_vgpr21
	s_and_saveexec_b64 s[0:1], s[20:21]
	s_cbranch_execz .LBB192_97
.LBB192_181:
	global_load_dwordx2 v[20:21], v[30:31], off offset:3584
	s_or_b64 exec, exec, s[0:1]
                                        ; implicit-def: $vgpr22_vgpr23
	s_and_saveexec_b64 s[0:1], s[22:23]
	s_cbranch_execz .LBB192_98
.LBB192_182:
	v_add_co_u32_e32 v22, vcc, 0x1000, v30
	v_addc_co_u32_e32 v23, vcc, 0, v31, vcc
	global_load_dwordx2 v[22:23], v[22:23], off
	s_or_b64 exec, exec, s[0:1]
                                        ; implicit-def: $vgpr24_vgpr25
	s_and_saveexec_b64 s[0:1], s[18:19]
	s_cbranch_execz .LBB192_99
.LBB192_183:
	v_add_co_u32_e32 v24, vcc, 0x1000, v30
	v_addc_co_u32_e32 v25, vcc, 0, v31, vcc
	global_load_dwordx2 v[24:25], v[24:25], off offset:512
	s_or_b64 exec, exec, s[0:1]
                                        ; implicit-def: $vgpr26_vgpr27
	s_and_saveexec_b64 s[0:1], s[14:15]
	s_cbranch_execz .LBB192_100
.LBB192_184:
	v_add_co_u32_e32 v26, vcc, 0x1000, v30
	v_addc_co_u32_e32 v27, vcc, 0, v31, vcc
	global_load_dwordx2 v[26:27], v[26:27], off offset:1024
	s_or_b64 exec, exec, s[0:1]
                                        ; implicit-def: $vgpr28_vgpr29
	s_and_saveexec_b64 s[0:1], s[10:11]
	s_cbranch_execz .LBB192_101
.LBB192_185:
	v_add_co_u32_e32 v28, vcc, 0x1000, v30
	v_addc_co_u32_e32 v29, vcc, 0, v31, vcc
	global_load_dwordx2 v[28:29], v[28:29], off offset:1536
	s_or_b64 exec, exec, s[0:1]
                                        ; implicit-def: $vgpr65
	s_and_saveexec_b64 s[0:1], s[24:25]
	s_cbranch_execz .LBB192_102
.LBB192_186:
	v_lshlrev_b32_e32 v30, 1, v2
	ds_read_u16 v30, v30 offset:2048
	s_movk_i32 s2, 0x8000
	v_mov_b32_e32 v31, 0x7fff
	s_waitcnt lgkmcnt(0)
	v_cmp_ne_u16_e32 vcc, s2, v30
	v_cndmask_b32_e32 v30, v31, v30, vcc
	v_lshrrev_b32_sdwa v30, s68, v30 dst_sel:DWORD dst_unused:UNUSED_PAD src0_sel:DWORD src1_sel:WORD_0
	v_and_b32_e32 v65, s74, v30
	s_or_b64 exec, exec, s[0:1]
                                        ; implicit-def: $vgpr64
	s_and_saveexec_b64 s[0:1], s[26:27]
	s_cbranch_execz .LBB192_103
.LBB192_187:
	v_lshlrev_b32_e32 v30, 1, v2
	ds_read_u16 v30, v30 offset:2560
	s_movk_i32 s2, 0x8000
	v_mov_b32_e32 v31, 0x7fff
	s_waitcnt lgkmcnt(0)
	v_cmp_ne_u16_e32 vcc, s2, v30
	v_cndmask_b32_e32 v30, v31, v30, vcc
	v_lshrrev_b32_sdwa v30, s68, v30 dst_sel:DWORD dst_unused:UNUSED_PAD src0_sel:DWORD src1_sel:WORD_0
	v_and_b32_e32 v64, s74, v30
	s_or_b64 exec, exec, s[0:1]
                                        ; implicit-def: $vgpr63
	s_and_saveexec_b64 s[0:1], s[28:29]
	s_cbranch_execz .LBB192_104
.LBB192_188:
	v_lshlrev_b32_e32 v30, 1, v2
	ds_read_u16 v30, v30 offset:3072
	s_movk_i32 s2, 0x8000
	v_mov_b32_e32 v31, 0x7fff
	s_waitcnt lgkmcnt(0)
	v_cmp_ne_u16_e32 vcc, s2, v30
	v_cndmask_b32_e32 v30, v31, v30, vcc
	v_lshrrev_b32_sdwa v30, s68, v30 dst_sel:DWORD dst_unused:UNUSED_PAD src0_sel:DWORD src1_sel:WORD_0
	v_and_b32_e32 v63, s74, v30
	s_or_b64 exec, exec, s[0:1]
                                        ; implicit-def: $vgpr62
	s_and_saveexec_b64 s[0:1], s[30:31]
	s_cbranch_execz .LBB192_105
.LBB192_189:
	v_lshlrev_b32_e32 v30, 1, v2
	ds_read_u16 v30, v30 offset:3584
	s_movk_i32 s2, 0x8000
	v_mov_b32_e32 v31, 0x7fff
	s_waitcnt lgkmcnt(0)
	v_cmp_ne_u16_e32 vcc, s2, v30
	v_cndmask_b32_e32 v30, v31, v30, vcc
	v_lshrrev_b32_sdwa v30, s68, v30 dst_sel:DWORD dst_unused:UNUSED_PAD src0_sel:DWORD src1_sel:WORD_0
	v_and_b32_e32 v62, s74, v30
	s_or_b64 exec, exec, s[0:1]
                                        ; implicit-def: $vgpr61
	s_and_saveexec_b64 s[0:1], s[34:35]
	s_cbranch_execz .LBB192_106
.LBB192_190:
	v_lshlrev_b32_e32 v30, 1, v2
	ds_read_u16 v30, v30 offset:4096
	s_movk_i32 s2, 0x8000
	v_mov_b32_e32 v31, 0x7fff
	s_waitcnt lgkmcnt(0)
	v_cmp_ne_u16_e32 vcc, s2, v30
	v_cndmask_b32_e32 v30, v31, v30, vcc
	v_lshrrev_b32_sdwa v30, s68, v30 dst_sel:DWORD dst_unused:UNUSED_PAD src0_sel:DWORD src1_sel:WORD_0
	v_and_b32_e32 v61, s74, v30
	s_or_b64 exec, exec, s[0:1]
                                        ; implicit-def: $vgpr60
	s_and_saveexec_b64 s[0:1], s[36:37]
	s_cbranch_execz .LBB192_107
.LBB192_191:
	v_lshlrev_b32_e32 v30, 1, v2
	ds_read_u16 v30, v30 offset:4608
	s_movk_i32 s2, 0x8000
	v_mov_b32_e32 v31, 0x7fff
	s_waitcnt lgkmcnt(0)
	v_cmp_ne_u16_e32 vcc, s2, v30
	v_cndmask_b32_e32 v30, v31, v30, vcc
	v_lshrrev_b32_sdwa v30, s68, v30 dst_sel:DWORD dst_unused:UNUSED_PAD src0_sel:DWORD src1_sel:WORD_0
	v_and_b32_e32 v60, s74, v30
	s_or_b64 exec, exec, s[0:1]
                                        ; implicit-def: $vgpr59
	s_and_saveexec_b64 s[0:1], s[38:39]
	s_cbranch_execz .LBB192_108
.LBB192_192:
	v_lshlrev_b32_e32 v30, 1, v2
	ds_read_u16 v30, v30 offset:5120
	s_movk_i32 s2, 0x8000
	v_mov_b32_e32 v31, 0x7fff
	s_waitcnt lgkmcnt(0)
	v_cmp_ne_u16_e32 vcc, s2, v30
	v_cndmask_b32_e32 v30, v31, v30, vcc
	v_lshrrev_b32_sdwa v30, s68, v30 dst_sel:DWORD dst_unused:UNUSED_PAD src0_sel:DWORD src1_sel:WORD_0
	v_and_b32_e32 v59, s74, v30
	s_or_b64 exec, exec, s[0:1]
                                        ; implicit-def: $vgpr58
	s_and_saveexec_b64 s[0:1], s[40:41]
	s_cbranch_execz .LBB192_109
.LBB192_193:
	v_lshlrev_b32_e32 v30, 1, v2
	ds_read_u16 v30, v30 offset:5632
	s_movk_i32 s2, 0x8000
	v_mov_b32_e32 v31, 0x7fff
	s_waitcnt lgkmcnt(0)
	v_cmp_ne_u16_e32 vcc, s2, v30
	v_cndmask_b32_e32 v30, v31, v30, vcc
	v_lshrrev_b32_sdwa v30, s68, v30 dst_sel:DWORD dst_unused:UNUSED_PAD src0_sel:DWORD src1_sel:WORD_0
	v_and_b32_e32 v58, s74, v30
	s_or_b64 exec, exec, s[0:1]
                                        ; implicit-def: $vgpr57
	s_and_saveexec_b64 s[0:1], s[42:43]
	s_cbranch_execnz .LBB192_110
	s_branch .LBB192_111
.LBB192_194:
	v_lshlrev_b32_e32 v31, 1, v2
	ds_read_u16 v31, v31 offset:6656
	s_movk_i32 s2, 0x8000
	v_mov_b32_e32 v56, 0x7fff
	s_waitcnt lgkmcnt(0)
	v_cmp_ne_u16_e32 vcc, s2, v31
	v_cndmask_b32_e32 v31, v56, v31, vcc
	v_lshrrev_b32_sdwa v31, s68, v31 dst_sel:DWORD dst_unused:UNUSED_PAD src0_sel:DWORD src1_sel:WORD_0
	v_and_b32_e32 v56, s74, v31
	s_or_b64 exec, exec, s[0:1]
	s_and_saveexec_b64 s[0:1], s[46:47]
	s_cbranch_execz .LBB192_113
.LBB192_195:
	v_lshlrev_b32_e32 v30, 1, v2
	ds_read_u16 v30, v30 offset:7168
	s_movk_i32 s2, 0x8000
	v_mov_b32_e32 v31, 0x7fff
	s_waitcnt lgkmcnt(0)
	v_cmp_ne_u16_e32 vcc, s2, v30
	v_cndmask_b32_e32 v30, v31, v30, vcc
	v_lshrrev_b32_sdwa v30, s68, v30 dst_sel:DWORD dst_unused:UNUSED_PAD src0_sel:DWORD src1_sel:WORD_0
	v_and_b32_e32 v30, s74, v30
	s_or_b64 exec, exec, s[0:1]
	v_mov_b32_e32 v31, 0
	s_and_saveexec_b64 s[0:1], s[48:49]
	s_cbranch_execnz .LBB192_114
	s_branch .LBB192_115
.LBB192_196:
	v_lshlrev_b32_e32 v6, 3, v65
	ds_read_b64 v[6:7], v6
	ds_read_b64 v[8:9], v33 offset:2048
	v_mov_b32_e32 v10, s63
	s_waitcnt lgkmcnt(1)
	v_lshlrev_b64 v[6:7], 3, v[6:7]
	v_add_co_u32_e32 v6, vcc, s62, v6
	v_addc_co_u32_e32 v7, vcc, v10, v7, vcc
	v_add_co_u32_e32 v6, vcc, v6, v33
	v_addc_co_u32_e32 v7, vcc, 0, v7, vcc
	s_waitcnt lgkmcnt(0)
	global_store_dwordx2 v[6:7], v[8:9], off
	s_or_b64 exec, exec, s[0:1]
	s_and_saveexec_b64 s[0:1], s[26:27]
	s_cbranch_execz .LBB192_117
.LBB192_197:
	v_lshlrev_b32_e32 v6, 3, v64
	ds_read_b64 v[6:7], v6
	v_lshlrev_b32_e32 v10, 3, v2
	ds_read_b64 v[8:9], v10 offset:4096
	v_mov_b32_e32 v11, s63
	s_waitcnt lgkmcnt(1)
	v_lshlrev_b64 v[6:7], 3, v[6:7]
	v_add_co_u32_e32 v6, vcc, s62, v6
	v_addc_co_u32_e32 v7, vcc, v11, v7, vcc
	v_add_co_u32_e32 v6, vcc, v6, v10
	v_addc_co_u32_e32 v7, vcc, 0, v7, vcc
	s_waitcnt lgkmcnt(0)
	global_store_dwordx2 v[6:7], v[8:9], off offset:2048
	s_or_b64 exec, exec, s[0:1]
	s_and_saveexec_b64 s[0:1], s[28:29]
	s_cbranch_execz .LBB192_118
.LBB192_198:
	v_lshlrev_b32_e32 v6, 3, v63
	ds_read_b64 v[6:7], v6
	v_lshlrev_b32_e32 v8, 3, v2
	ds_read_b64 v[8:9], v8 offset:6144
	v_mov_b32_e32 v10, s63
	s_waitcnt lgkmcnt(1)
	v_lshlrev_b64 v[6:7], 3, v[6:7]
	v_add_co_u32_e32 v6, vcc, s62, v6
	v_addc_co_u32_e32 v7, vcc, v10, v7, vcc
	v_lshlrev_b32_e32 v10, 3, v46
	v_add_co_u32_e32 v6, vcc, v6, v10
	v_addc_co_u32_e32 v7, vcc, 0, v7, vcc
	s_waitcnt lgkmcnt(0)
	global_store_dwordx2 v[6:7], v[8:9], off
	s_or_b64 exec, exec, s[0:1]
	s_and_saveexec_b64 s[0:1], s[30:31]
	s_cbranch_execz .LBB192_119
.LBB192_199:
	v_lshlrev_b32_e32 v6, 3, v62
	ds_read_b64 v[6:7], v6
	v_lshlrev_b32_e32 v8, 3, v2
	ds_read_b64 v[8:9], v8 offset:8192
	v_mov_b32_e32 v10, s63
	s_waitcnt lgkmcnt(1)
	v_lshlrev_b64 v[6:7], 3, v[6:7]
	v_add_co_u32_e32 v6, vcc, s62, v6
	v_addc_co_u32_e32 v7, vcc, v10, v7, vcc
	v_lshlrev_b32_e32 v10, 3, v47
	v_add_co_u32_e32 v6, vcc, v6, v10
	v_addc_co_u32_e32 v7, vcc, 0, v7, vcc
	s_waitcnt lgkmcnt(0)
	global_store_dwordx2 v[6:7], v[8:9], off
	s_or_b64 exec, exec, s[0:1]
	s_and_saveexec_b64 s[0:1], s[34:35]
	s_cbranch_execz .LBB192_120
.LBB192_200:
	v_lshlrev_b32_e32 v6, 3, v61
	ds_read_b64 v[6:7], v6
	v_lshlrev_b32_e32 v8, 3, v2
	ds_read_b64 v[8:9], v8 offset:10240
	v_mov_b32_e32 v10, s63
	s_waitcnt lgkmcnt(1)
	v_lshlrev_b64 v[6:7], 3, v[6:7]
	v_add_co_u32_e32 v6, vcc, s62, v6
	v_addc_co_u32_e32 v7, vcc, v10, v7, vcc
	v_lshlrev_b32_e32 v10, 3, v48
	v_add_co_u32_e32 v6, vcc, v6, v10
	v_addc_co_u32_e32 v7, vcc, 0, v7, vcc
	s_waitcnt lgkmcnt(0)
	global_store_dwordx2 v[6:7], v[8:9], off
	s_or_b64 exec, exec, s[0:1]
	s_and_saveexec_b64 s[0:1], s[36:37]
	s_cbranch_execz .LBB192_121
.LBB192_201:
	v_lshlrev_b32_e32 v6, 3, v60
	ds_read_b64 v[6:7], v6
	v_lshlrev_b32_e32 v8, 3, v2
	ds_read_b64 v[8:9], v8 offset:12288
	v_mov_b32_e32 v10, s63
	s_waitcnt lgkmcnt(1)
	v_lshlrev_b64 v[6:7], 3, v[6:7]
	v_add_co_u32_e32 v6, vcc, s62, v6
	v_addc_co_u32_e32 v7, vcc, v10, v7, vcc
	v_lshlrev_b32_e32 v10, 3, v49
	v_add_co_u32_e32 v6, vcc, v6, v10
	v_addc_co_u32_e32 v7, vcc, 0, v7, vcc
	s_waitcnt lgkmcnt(0)
	global_store_dwordx2 v[6:7], v[8:9], off
	s_or_b64 exec, exec, s[0:1]
	s_and_saveexec_b64 s[0:1], s[38:39]
	s_cbranch_execz .LBB192_122
.LBB192_202:
	v_lshlrev_b32_e32 v6, 3, v59
	ds_read_b64 v[6:7], v6
	v_lshlrev_b32_e32 v8, 3, v2
	ds_read_b64 v[8:9], v8 offset:14336
	v_mov_b32_e32 v10, s63
	s_waitcnt lgkmcnt(1)
	v_lshlrev_b64 v[6:7], 3, v[6:7]
	v_add_co_u32_e32 v6, vcc, s62, v6
	v_addc_co_u32_e32 v7, vcc, v10, v7, vcc
	v_lshlrev_b32_e32 v10, 3, v50
	v_add_co_u32_e32 v6, vcc, v6, v10
	v_addc_co_u32_e32 v7, vcc, 0, v7, vcc
	s_waitcnt lgkmcnt(0)
	global_store_dwordx2 v[6:7], v[8:9], off
	s_or_b64 exec, exec, s[0:1]
	s_and_saveexec_b64 s[0:1], s[40:41]
	s_cbranch_execz .LBB192_123
.LBB192_203:
	v_lshlrev_b32_e32 v6, 3, v58
	ds_read_b64 v[6:7], v6
	v_lshlrev_b32_e32 v8, 3, v2
	ds_read_b64 v[8:9], v8 offset:16384
	v_mov_b32_e32 v10, s63
	s_waitcnt lgkmcnt(1)
	v_lshlrev_b64 v[6:7], 3, v[6:7]
	v_add_co_u32_e32 v6, vcc, s62, v6
	v_addc_co_u32_e32 v7, vcc, v10, v7, vcc
	v_lshlrev_b32_e32 v10, 3, v51
	v_add_co_u32_e32 v6, vcc, v6, v10
	v_addc_co_u32_e32 v7, vcc, 0, v7, vcc
	s_waitcnt lgkmcnt(0)
	global_store_dwordx2 v[6:7], v[8:9], off
	s_or_b64 exec, exec, s[0:1]
	s_and_saveexec_b64 s[0:1], s[42:43]
	s_cbranch_execz .LBB192_124
.LBB192_204:
	v_lshlrev_b32_e32 v6, 3, v57
	ds_read_b64 v[6:7], v6
	v_lshlrev_b32_e32 v8, 3, v2
	ds_read_b64 v[8:9], v8 offset:18432
	v_mov_b32_e32 v10, s63
	s_waitcnt lgkmcnt(1)
	v_lshlrev_b64 v[6:7], 3, v[6:7]
	v_add_co_u32_e32 v6, vcc, s62, v6
	v_addc_co_u32_e32 v7, vcc, v10, v7, vcc
	v_lshlrev_b32_e32 v10, 3, v52
	v_add_co_u32_e32 v6, vcc, v6, v10
	v_addc_co_u32_e32 v7, vcc, 0, v7, vcc
	s_waitcnt lgkmcnt(0)
	global_store_dwordx2 v[6:7], v[8:9], off
	s_or_b64 exec, exec, s[0:1]
	s_and_saveexec_b64 s[0:1], s[44:45]
	s_cbranch_execz .LBB192_125
.LBB192_205:
	v_lshlrev_b32_e32 v6, 3, v56
	ds_read_b64 v[6:7], v6
	v_lshlrev_b32_e32 v8, 3, v2
	ds_read_b64 v[8:9], v8 offset:20480
	v_mov_b32_e32 v10, s63
	s_waitcnt lgkmcnt(1)
	v_lshlrev_b64 v[6:7], 3, v[6:7]
	v_add_co_u32_e32 v6, vcc, s62, v6
	v_addc_co_u32_e32 v7, vcc, v10, v7, vcc
	v_lshlrev_b32_e32 v10, 3, v53
	v_add_co_u32_e32 v6, vcc, v6, v10
	v_addc_co_u32_e32 v7, vcc, 0, v7, vcc
	s_waitcnt lgkmcnt(0)
	global_store_dwordx2 v[6:7], v[8:9], off
	s_or_b64 exec, exec, s[0:1]
	s_and_saveexec_b64 s[0:1], s[46:47]
	s_cbranch_execz .LBB192_126
.LBB192_206:
	v_lshlrev_b32_e32 v6, 3, v30
	ds_read_b64 v[6:7], v6
	v_lshlrev_b32_e32 v8, 3, v2
	ds_read_b64 v[8:9], v8 offset:22528
	v_mov_b32_e32 v10, s63
	s_waitcnt lgkmcnt(1)
	v_lshlrev_b64 v[6:7], 3, v[6:7]
	v_add_co_u32_e32 v6, vcc, s62, v6
	v_addc_co_u32_e32 v7, vcc, v10, v7, vcc
	v_lshlrev_b32_e32 v10, 3, v54
	v_add_co_u32_e32 v6, vcc, v6, v10
	v_addc_co_u32_e32 v7, vcc, 0, v7, vcc
	s_waitcnt lgkmcnt(0)
	global_store_dwordx2 v[6:7], v[8:9], off
	s_or_b64 exec, exec, s[0:1]
	s_and_saveexec_b64 s[0:1], s[48:49]
	s_cbranch_execnz .LBB192_127
	s_branch .LBB192_128
	.section	.rodata,"a",@progbits
	.p2align	6, 0x0
	.amdhsa_kernel _ZN7rocprim17ROCPRIM_304000_NS6detail25onesweep_iteration_kernelINS1_34wrapped_radix_sort_onesweep_configINS0_14default_configE6__halfN2at4cuda3cub6detail10OpaqueTypeILi8EEEEELb1EPS5_SD_PSB_SE_mNS0_19identity_decomposerEEEvT1_T2_T3_T4_jPT5_SL_PNS1_23onesweep_lookback_stateET6_jjj
		.amdhsa_group_segment_fixed_size 26624
		.amdhsa_private_segment_fixed_size 0
		.amdhsa_kernarg_size 336
		.amdhsa_user_sgpr_count 6
		.amdhsa_user_sgpr_private_segment_buffer 1
		.amdhsa_user_sgpr_dispatch_ptr 0
		.amdhsa_user_sgpr_queue_ptr 0
		.amdhsa_user_sgpr_kernarg_segment_ptr 1
		.amdhsa_user_sgpr_dispatch_id 0
		.amdhsa_user_sgpr_flat_scratch_init 0
		.amdhsa_user_sgpr_kernarg_preload_length 0
		.amdhsa_user_sgpr_kernarg_preload_offset 0
		.amdhsa_user_sgpr_private_segment_size 0
		.amdhsa_uses_dynamic_stack 0
		.amdhsa_system_sgpr_private_segment_wavefront_offset 0
		.amdhsa_system_sgpr_workgroup_id_x 1
		.amdhsa_system_sgpr_workgroup_id_y 0
		.amdhsa_system_sgpr_workgroup_id_z 0
		.amdhsa_system_sgpr_workgroup_info 0
		.amdhsa_system_vgpr_workitem_id 2
		.amdhsa_next_free_vgpr 67
		.amdhsa_next_free_sgpr 75
		.amdhsa_accum_offset 68
		.amdhsa_reserve_vcc 1
		.amdhsa_reserve_flat_scratch 0
		.amdhsa_float_round_mode_32 0
		.amdhsa_float_round_mode_16_64 0
		.amdhsa_float_denorm_mode_32 3
		.amdhsa_float_denorm_mode_16_64 3
		.amdhsa_dx10_clamp 1
		.amdhsa_ieee_mode 1
		.amdhsa_fp16_overflow 0
		.amdhsa_tg_split 0
		.amdhsa_exception_fp_ieee_invalid_op 0
		.amdhsa_exception_fp_denorm_src 0
		.amdhsa_exception_fp_ieee_div_zero 0
		.amdhsa_exception_fp_ieee_overflow 0
		.amdhsa_exception_fp_ieee_underflow 0
		.amdhsa_exception_fp_ieee_inexact 0
		.amdhsa_exception_int_div_zero 0
	.end_amdhsa_kernel
	.section	.text._ZN7rocprim17ROCPRIM_304000_NS6detail25onesweep_iteration_kernelINS1_34wrapped_radix_sort_onesweep_configINS0_14default_configE6__halfN2at4cuda3cub6detail10OpaqueTypeILi8EEEEELb1EPS5_SD_PSB_SE_mNS0_19identity_decomposerEEEvT1_T2_T3_T4_jPT5_SL_PNS1_23onesweep_lookback_stateET6_jjj,"axG",@progbits,_ZN7rocprim17ROCPRIM_304000_NS6detail25onesweep_iteration_kernelINS1_34wrapped_radix_sort_onesweep_configINS0_14default_configE6__halfN2at4cuda3cub6detail10OpaqueTypeILi8EEEEELb1EPS5_SD_PSB_SE_mNS0_19identity_decomposerEEEvT1_T2_T3_T4_jPT5_SL_PNS1_23onesweep_lookback_stateET6_jjj,comdat
.Lfunc_end192:
	.size	_ZN7rocprim17ROCPRIM_304000_NS6detail25onesweep_iteration_kernelINS1_34wrapped_radix_sort_onesweep_configINS0_14default_configE6__halfN2at4cuda3cub6detail10OpaqueTypeILi8EEEEELb1EPS5_SD_PSB_SE_mNS0_19identity_decomposerEEEvT1_T2_T3_T4_jPT5_SL_PNS1_23onesweep_lookback_stateET6_jjj, .Lfunc_end192-_ZN7rocprim17ROCPRIM_304000_NS6detail25onesweep_iteration_kernelINS1_34wrapped_radix_sort_onesweep_configINS0_14default_configE6__halfN2at4cuda3cub6detail10OpaqueTypeILi8EEEEELb1EPS5_SD_PSB_SE_mNS0_19identity_decomposerEEEvT1_T2_T3_T4_jPT5_SL_PNS1_23onesweep_lookback_stateET6_jjj
                                        ; -- End function
	.section	.AMDGPU.csdata,"",@progbits
; Kernel info:
; codeLenInByte = 21012
; NumSgprs: 79
; NumVgprs: 67
; NumAgprs: 0
; TotalNumVgprs: 67
; ScratchSize: 0
; MemoryBound: 0
; FloatMode: 240
; IeeeMode: 1
; LDSByteSize: 26624 bytes/workgroup (compile time only)
; SGPRBlocks: 9
; VGPRBlocks: 8
; NumSGPRsForWavesPerEU: 79
; NumVGPRsForWavesPerEU: 67
; AccumOffset: 68
; Occupancy: 2
; WaveLimiterHint : 1
; COMPUTE_PGM_RSRC2:SCRATCH_EN: 0
; COMPUTE_PGM_RSRC2:USER_SGPR: 6
; COMPUTE_PGM_RSRC2:TRAP_HANDLER: 0
; COMPUTE_PGM_RSRC2:TGID_X_EN: 1
; COMPUTE_PGM_RSRC2:TGID_Y_EN: 0
; COMPUTE_PGM_RSRC2:TGID_Z_EN: 0
; COMPUTE_PGM_RSRC2:TIDIG_COMP_CNT: 2
; COMPUTE_PGM_RSRC3_GFX90A:ACCUM_OFFSET: 16
; COMPUTE_PGM_RSRC3_GFX90A:TG_SPLIT: 0
	.section	.text._ZN7rocprim17ROCPRIM_304000_NS6detail28radix_sort_block_sort_kernelINS1_36wrapped_radix_sort_block_sort_configINS0_13kernel_configILj256ELj4ELj4294967295EEE6__halfN2at4cuda3cub6detail10OpaqueTypeILi8EEEEELb0EPKS6_PS6_PKSC_PSC_NS0_19identity_decomposerEEEvT1_T2_T3_T4_jT5_jj,"axG",@progbits,_ZN7rocprim17ROCPRIM_304000_NS6detail28radix_sort_block_sort_kernelINS1_36wrapped_radix_sort_block_sort_configINS0_13kernel_configILj256ELj4ELj4294967295EEE6__halfN2at4cuda3cub6detail10OpaqueTypeILi8EEEEELb0EPKS6_PS6_PKSC_PSC_NS0_19identity_decomposerEEEvT1_T2_T3_T4_jT5_jj,comdat
	.protected	_ZN7rocprim17ROCPRIM_304000_NS6detail28radix_sort_block_sort_kernelINS1_36wrapped_radix_sort_block_sort_configINS0_13kernel_configILj256ELj4ELj4294967295EEE6__halfN2at4cuda3cub6detail10OpaqueTypeILi8EEEEELb0EPKS6_PS6_PKSC_PSC_NS0_19identity_decomposerEEEvT1_T2_T3_T4_jT5_jj ; -- Begin function _ZN7rocprim17ROCPRIM_304000_NS6detail28radix_sort_block_sort_kernelINS1_36wrapped_radix_sort_block_sort_configINS0_13kernel_configILj256ELj4ELj4294967295EEE6__halfN2at4cuda3cub6detail10OpaqueTypeILi8EEEEELb0EPKS6_PS6_PKSC_PSC_NS0_19identity_decomposerEEEvT1_T2_T3_T4_jT5_jj
	.globl	_ZN7rocprim17ROCPRIM_304000_NS6detail28radix_sort_block_sort_kernelINS1_36wrapped_radix_sort_block_sort_configINS0_13kernel_configILj256ELj4ELj4294967295EEE6__halfN2at4cuda3cub6detail10OpaqueTypeILi8EEEEELb0EPKS6_PS6_PKSC_PSC_NS0_19identity_decomposerEEEvT1_T2_T3_T4_jT5_jj
	.p2align	8
	.type	_ZN7rocprim17ROCPRIM_304000_NS6detail28radix_sort_block_sort_kernelINS1_36wrapped_radix_sort_block_sort_configINS0_13kernel_configILj256ELj4ELj4294967295EEE6__halfN2at4cuda3cub6detail10OpaqueTypeILi8EEEEELb0EPKS6_PS6_PKSC_PSC_NS0_19identity_decomposerEEEvT1_T2_T3_T4_jT5_jj,@function
_ZN7rocprim17ROCPRIM_304000_NS6detail28radix_sort_block_sort_kernelINS1_36wrapped_radix_sort_block_sort_configINS0_13kernel_configILj256ELj4ELj4294967295EEE6__halfN2at4cuda3cub6detail10OpaqueTypeILi8EEEEELb0EPKS6_PS6_PKSC_PSC_NS0_19identity_decomposerEEEvT1_T2_T3_T4_jT5_jj: ; @_ZN7rocprim17ROCPRIM_304000_NS6detail28radix_sort_block_sort_kernelINS1_36wrapped_radix_sort_block_sort_configINS0_13kernel_configILj256ELj4ELj4294967295EEE6__halfN2at4cuda3cub6detail10OpaqueTypeILi8EEEEELb0EPKS6_PS6_PKSC_PSC_NS0_19identity_decomposerEEEvT1_T2_T3_T4_jT5_jj
; %bb.0:
	s_load_dword s2, s[4:5], 0x20
	s_load_dwordx8 s[36:43], s[4:5], 0x0
	s_lshl_b32 s28, s6, 10
	s_mov_b32 s29, 0
	v_mbcnt_lo_u32_b32 v1, -1, 0
	s_waitcnt lgkmcnt(0)
	s_lshr_b32 s0, s2, 10
	s_cmp_lg_u32 s6, s0
	s_cselect_b64 s[30:31], -1, 0
	s_lshl_b64 s[34:35], s[28:29], 1
	v_and_b32_e32 v8, 0x3ff, v0
	s_add_u32 s1, s36, s34
	v_mbcnt_hi_u32_b32 v1, -1, v1
	s_addc_u32 s3, s37, s35
	v_lshlrev_b32_e32 v6, 2, v8
	v_lshlrev_b32_e32 v2, 1, v1
	v_and_b32_e32 v7, 0x300, v6
	v_mov_b32_e32 v3, s3
	v_add_co_u32_e32 v2, vcc, s1, v2
	v_addc_co_u32_e32 v3, vcc, 0, v3, vcc
	v_lshlrev_b32_e32 v4, 1, v7
	v_add_co_u32_e32 v4, vcc, v2, v4
	s_cmp_eq_u32 s6, s0
	v_addc_co_u32_e32 v5, vcc, 0, v3, vcc
	v_lshlrev_b32_e32 v17, 3, v1
	v_lshlrev_b32_e32 v16, 3, v7
	v_add_u32_e32 v9, v1, v7
	s_cbranch_scc1 .LBB193_2
; %bb.1:
	s_lshl_b64 s[0:1], s[28:29], 3
	s_add_u32 s0, s40, s0
	s_addc_u32 s1, s41, s1
	v_mov_b32_e32 v2, s1
	v_add_co_u32_e32 v3, vcc, s0, v17
	v_addc_co_u32_e32 v2, vcc, 0, v2, vcc
	v_add_co_u32_e32 v18, vcc, v3, v16
	v_addc_co_u32_e32 v19, vcc, 0, v2, vcc
	global_load_ushort v12, v[4:5], off
	global_load_ushort v10, v[4:5], off offset:128
	global_load_ushort v15, v[4:5], off offset:256
	;; [unrolled: 1-line block ×3, first 2 shown]
	global_load_dwordx2 v[2:3], v[18:19], off
	global_load_dwordx2 v[20:21], v[18:19], off offset:512
	global_load_dwordx2 v[22:23], v[18:19], off offset:1024
	;; [unrolled: 1-line block ×3, first 2 shown]
	v_add_u32_e32 v18, v1, v7
	v_add_u32_e32 v7, 64, v18
	;; [unrolled: 1-line block ×4, first 2 shown]
	s_sub_i32 s33, s2, s28
	s_cbranch_execz .LBB193_3
	s_branch .LBB193_17
.LBB193_2:
                                        ; implicit-def: $vgpr2_vgpr3
                                        ; implicit-def: $vgpr20_vgpr21
                                        ; implicit-def: $vgpr22_vgpr23
                                        ; implicit-def: $vgpr24_vgpr25
                                        ; implicit-def: $vgpr12
                                        ; implicit-def: $vgpr10
                                        ; implicit-def: $vgpr15
                                        ; implicit-def: $vgpr14
                                        ; implicit-def: $vgpr18
                                        ; implicit-def: $vgpr7
                                        ; implicit-def: $vgpr11
                                        ; implicit-def: $vgpr13
	s_sub_i32 s33, s2, s28
.LBB193_3:
	v_cmp_gt_u32_e32 vcc, s33, v9
	s_waitcnt vmcnt(6)
	v_mov_b32_e32 v10, 0x7fff
	v_mov_b32_e32 v12, 0x7fff
	s_and_saveexec_b64 s[0:1], vcc
	s_cbranch_execz .LBB193_5
; %bb.4:
	global_load_ushort v12, v[4:5], off
.LBB193_5:
	s_or_b64 exec, exec, s[0:1]
	v_add_u32_e32 v7, 64, v9
	v_cmp_gt_u32_e64 s[0:1], s33, v7
	s_and_saveexec_b64 s[2:3], s[0:1]
	s_cbranch_execz .LBB193_7
; %bb.6:
	global_load_ushort v10, v[4:5], off offset:128
.LBB193_7:
	s_or_b64 exec, exec, s[2:3]
	v_add_u32_e32 v11, 0x80, v9
	v_cmp_gt_u32_e64 s[2:3], s33, v11
	s_waitcnt vmcnt(4)
	v_mov_b32_e32 v14, 0x7fff
	v_mov_b32_e32 v15, 0x7fff
	s_and_saveexec_b64 s[6:7], s[2:3]
	s_cbranch_execz .LBB193_9
; %bb.8:
	global_load_ushort v15, v[4:5], off offset:256
.LBB193_9:
	s_or_b64 exec, exec, s[6:7]
	v_add_u32_e32 v13, 0xc0, v9
	v_cmp_gt_u32_e64 s[6:7], s33, v13
	s_and_saveexec_b64 s[8:9], s[6:7]
	s_cbranch_execz .LBB193_11
; %bb.10:
	global_load_ushort v14, v[4:5], off offset:384
.LBB193_11:
	s_or_b64 exec, exec, s[8:9]
	s_lshl_b64 s[8:9], s[28:29], 3
	s_add_u32 s8, s40, s8
	s_addc_u32 s9, s41, s9
	s_waitcnt vmcnt(3)
	v_mov_b32_e32 v2, s9
	v_add_co_u32_e64 v3, s[8:9], s8, v17
	v_addc_co_u32_e64 v2, s[8:9], 0, v2, s[8:9]
	v_add_co_u32_e64 v4, s[8:9], v3, v16
	v_addc_co_u32_e64 v5, s[8:9], 0, v2, s[8:9]
                                        ; implicit-def: $vgpr2_vgpr3
	s_and_saveexec_b64 s[8:9], vcc
	s_cbranch_execnz .LBB193_54
; %bb.12:
	s_or_b64 exec, exec, s[8:9]
                                        ; implicit-def: $vgpr20_vgpr21
	s_and_saveexec_b64 s[8:9], s[0:1]
	s_cbranch_execnz .LBB193_55
.LBB193_13:
	s_or_b64 exec, exec, s[8:9]
                                        ; implicit-def: $vgpr22_vgpr23
	s_and_saveexec_b64 s[0:1], s[2:3]
	s_cbranch_execnz .LBB193_56
.LBB193_14:
	s_or_b64 exec, exec, s[0:1]
                                        ; implicit-def: $vgpr24_vgpr25
	s_and_saveexec_b64 s[0:1], s[6:7]
	s_cbranch_execz .LBB193_16
.LBB193_15:
	global_load_dwordx2 v[24:25], v[4:5], off offset:1536
.LBB193_16:
	s_or_b64 exec, exec, s[0:1]
	v_mov_b32_e32 v18, v9
.LBB193_17:
	s_load_dwordx2 s[36:37], s[4:5], 0x28
	s_load_dword s0, s[4:5], 0x3c
	v_mov_b32_e32 v9, 0xffff8000
	s_waitcnt vmcnt(0)
	v_cmp_lt_i16_e32 vcc, -1, v12
	v_cndmask_b32_e32 v4, -1, v9, vcc
	v_cmp_lt_i16_e32 vcc, -1, v10
	v_xor_b32_e32 v19, v4, v12
	v_cndmask_b32_e32 v4, -1, v9, vcc
	v_cmp_lt_i16_e32 vcc, -1, v15
	v_xor_b32_e32 v47, v4, v10
	;; [unrolled: 3-line block ×3, first 2 shown]
	v_cndmask_b32_e32 v4, -1, v9, vcc
	v_xor_b32_e32 v49, v4, v14
	s_waitcnt lgkmcnt(0)
	s_lshr_b32 s1, s0, 16
	v_bfe_u32 v4, v0, 10, 10
	v_bfe_u32 v0, v0, 20, 10
	s_and_b32 s0, s0, 0xffff
	v_mad_u32_u24 v0, v0, s1, v4
	v_mad_u64_u32 v[4:5], s[0:1], v0, s0, v[8:9]
	v_and_b32_e32 v0, 15, v1
	v_cmp_eq_u32_e64 s[0:1], 0, v0
	v_cmp_lt_u32_e64 s[2:3], 1, v0
	v_cmp_lt_u32_e64 s[4:5], 3, v0
	v_cmp_lt_u32_e64 s[6:7], 7, v0
	v_and_b32_e32 v0, 16, v1
	v_cmp_eq_u32_e64 s[8:9], 0, v0
	v_and_b32_e32 v0, 0x3c0, v8
	v_min_u32_e32 v0, 0xc0, v0
	v_or_b32_e32 v0, 63, v0
	v_lshrrev_b32_e32 v29, 6, v4
	v_cmp_eq_u32_e64 s[12:13], v0, v8
	v_add_u32_e32 v0, -1, v1
	v_and_b32_e32 v4, 64, v1
	v_cmp_lt_i32_e32 vcc, v0, v4
	v_cndmask_b32_e32 v0, v0, v1, vcc
	s_mov_b32 s26, 0
	v_cmp_lt_u32_e64 s[10:11], 31, v1
	v_lshlrev_b32_e32 v31, 2, v0
	v_cmp_eq_u32_e64 s[18:19], 0, v1
	v_lshrrev_b32_e32 v0, 4, v8
	v_and_b32_e32 v1, 3, v1
	v_lshlrev_b32_e32 v27, 2, v6
	v_and_b32_e32 v32, 60, v0
	v_mul_i32_i24_e32 v0, -12, v8
	v_cmp_eq_u32_e64 s[22:23], 0, v1
	v_cmp_lt_u32_e64 s[24:25], 1, v1
	v_lshlrev_b32_e32 v34, 1, v18
	v_lshlrev_b32_e32 v35, 1, v7
	;; [unrolled: 1-line block ×4, first 2 shown]
	v_mul_lo_u32 v1, v18, 6
	v_mul_lo_u32 v4, v7, 6
	;; [unrolled: 1-line block ×4, first 2 shown]
	s_mov_b32 s27, s26
	s_mov_b32 s44, s26
	;; [unrolled: 1-line block ×3, first 2 shown]
	s_add_i32 s40, s37, s36
	v_cmp_gt_u32_e64 s[14:15], 4, v8
	v_cmp_lt_u32_e64 s[16:17], 63, v8
	v_cmp_eq_u32_e64 s[20:21], 0, v8
	v_add_u32_e32 v33, -4, v32
	v_pk_mov_b32 v[14:15], s[26:27], s[26:27] op_sel:[0,1]
	v_pk_mov_b32 v[16:17], s[44:45], s[44:45] op_sel:[0,1]
	s_movk_i32 s41, 0x7fff
	v_add_u32_e32 v38, v27, v0
	v_add_u32_e32 v39, v34, v1
	v_add_u32_e32 v40, v35, v4
	v_add_u32_e32 v41, v36, v5
	v_add_u32_e32 v42, v37, v6
	v_mov_b32_e32 v18, 0
	s_branch .LBB193_19
.LBB193_18:                             ;   in Loop: Header=BB193_19 Depth=1
	v_mad_u64_u32 v[2:3], s[26:27], v52, 6, v[30:31]
	s_barrier
	ds_write_b16 v30, v46
	ds_write_b16 v28, v45
	;; [unrolled: 1-line block ×4, first 2 shown]
	s_waitcnt lgkmcnt(0)
	s_barrier
	ds_read_u16 v19, v34
	ds_read_u16 v47, v35
	;; [unrolled: 1-line block ×4, first 2 shown]
	s_waitcnt lgkmcnt(0)
	s_barrier
	ds_write_b64 v2, v[12:13]
	v_mad_u64_u32 v[2:3], s[26:27], v51, 6, v[28:29]
	ds_write_b64 v2, v[10:11]
	v_mad_u64_u32 v[2:3], s[26:27], v50, 6, v[26:27]
	;; [unrolled: 2-line block ×3, first 2 shown]
	ds_write_b64 v2, v[4:5]
	s_waitcnt lgkmcnt(0)
	s_barrier
	ds_read_b64 v[2:3], v39
	ds_read_b64 v[20:21], v40
	;; [unrolled: 1-line block ×4, first 2 shown]
	s_add_i32 s37, s37, -8
	s_waitcnt lgkmcnt(0)
	s_barrier
	s_cbranch_execz .LBB193_35
.LBB193_19:                             ; =>This Inner Loop Header: Depth=1
	v_mov_b32_e32 v46, v19
	s_min_u32 s26, s37, 8
	v_cmp_ne_u16_e32 vcc, s41, v46
	s_lshl_b32 s26, -1, s26
	v_cndmask_b32_e32 v0, v9, v46, vcc
	s_not_b32 s44, s26
	v_lshrrev_b32_sdwa v0, s36, v0 dst_sel:DWORD dst_unused:UNUSED_PAD src0_sel:DWORD src1_sel:WORD_0
	v_and_b32_e32 v0, s44, v0
	v_lshl_add_u32 v1, v0, 2, v29
	v_pk_mov_b32 v[10:11], v[20:21], v[20:21] op_sel:[0,1]
	v_lshl_add_u32 v20, v1, 2, 16
	v_and_b32_e32 v1, 1, v0
	v_pk_mov_b32 v[12:13], v[2:3], v[2:3] op_sel:[0,1]
	v_add_co_u32_e32 v2, vcc, -1, v1
	v_addc_co_u32_e64 v3, s[26:27], 0, -1, vcc
	v_cmp_ne_u32_e32 vcc, 0, v1
	v_lshlrev_b32_e32 v19, 30, v0
	v_xor_b32_e32 v1, vcc_hi, v3
	v_not_b32_e32 v3, v19
	v_xor_b32_e32 v2, vcc_lo, v2
	v_cmp_gt_i64_e32 vcc, 0, v[18:19]
	v_ashrrev_i32_e32 v3, 31, v3
	v_and_b32_e32 v1, exec_hi, v1
	v_xor_b32_e32 v19, vcc_hi, v3
	v_and_b32_e32 v2, exec_lo, v2
	v_xor_b32_e32 v3, vcc_lo, v3
	v_and_b32_e32 v1, v1, v19
	v_lshlrev_b32_e32 v19, 29, v0
	v_and_b32_e32 v2, v2, v3
	v_not_b32_e32 v3, v19
	v_cmp_gt_i64_e32 vcc, 0, v[18:19]
	v_ashrrev_i32_e32 v3, 31, v3
	v_xor_b32_e32 v19, vcc_hi, v3
	v_xor_b32_e32 v3, vcc_lo, v3
	v_and_b32_e32 v1, v1, v19
	v_lshlrev_b32_e32 v19, 28, v0
	v_and_b32_e32 v2, v2, v3
	v_not_b32_e32 v3, v19
	v_cmp_gt_i64_e32 vcc, 0, v[18:19]
	v_ashrrev_i32_e32 v3, 31, v3
	v_xor_b32_e32 v19, vcc_hi, v3
	v_xor_b32_e32 v3, vcc_lo, v3
	v_and_b32_e32 v1, v1, v19
	v_lshlrev_b32_e32 v19, 27, v0
	v_and_b32_e32 v2, v2, v3
	v_not_b32_e32 v3, v19
	v_cmp_gt_i64_e32 vcc, 0, v[18:19]
	v_ashrrev_i32_e32 v3, 31, v3
	v_xor_b32_e32 v19, vcc_hi, v3
	v_xor_b32_e32 v3, vcc_lo, v3
	v_and_b32_e32 v1, v1, v19
	v_lshlrev_b32_e32 v19, 26, v0
	v_and_b32_e32 v2, v2, v3
	v_not_b32_e32 v3, v19
	v_cmp_gt_i64_e32 vcc, 0, v[18:19]
	v_ashrrev_i32_e32 v3, 31, v3
	v_xor_b32_e32 v19, vcc_hi, v3
	v_xor_b32_e32 v3, vcc_lo, v3
	v_and_b32_e32 v1, v1, v19
	v_lshlrev_b32_e32 v19, 25, v0
	v_and_b32_e32 v2, v2, v3
	v_not_b32_e32 v3, v19
	v_cmp_gt_i64_e32 vcc, 0, v[18:19]
	v_ashrrev_i32_e32 v3, 31, v3
	v_xor_b32_e32 v19, vcc_hi, v3
	v_and_b32_e32 v1, v1, v19
	v_lshlrev_b32_e32 v19, 24, v0
	v_not_b32_e32 v0, v19
	v_xor_b32_e32 v3, vcc_lo, v3
	v_cmp_gt_i64_e32 vcc, 0, v[18:19]
	v_ashrrev_i32_e32 v0, 31, v0
	v_and_b32_e32 v2, v2, v3
	v_xor_b32_e32 v3, vcc_hi, v0
	v_xor_b32_e32 v0, vcc_lo, v0
	v_and_b32_e32 v0, v2, v0
	v_and_b32_e32 v1, v1, v3
	v_mbcnt_lo_u32_b32 v2, v0, 0
	v_mbcnt_hi_u32_b32 v21, v1, v2
	v_cmp_eq_u32_e32 vcc, 0, v21
	v_cmp_ne_u64_e64 s[26:27], 0, v[0:1]
	v_pk_mov_b32 v[6:7], v[22:23], v[22:23] op_sel:[0,1]
	v_pk_mov_b32 v[4:5], v[24:25], v[24:25] op_sel:[0,1]
	v_mov_b32_e32 v45, v47
	v_mov_b32_e32 v44, v48
	;; [unrolled: 1-line block ×3, first 2 shown]
	s_and_b64 s[46:47], s[26:27], vcc
	ds_write2_b64 v27, v[14:15], v[16:17] offset0:2 offset1:3
	s_waitcnt lgkmcnt(0)
	s_barrier
	s_waitcnt lgkmcnt(0)
	; wave barrier
	s_and_saveexec_b64 s[26:27], s[46:47]
	s_cbranch_execz .LBB193_21
; %bb.20:                               ;   in Loop: Header=BB193_19 Depth=1
	v_bcnt_u32_b32 v0, v0, 0
	v_bcnt_u32_b32 v0, v1, v0
	ds_write_b32 v20, v0
.LBB193_21:                             ;   in Loop: Header=BB193_19 Depth=1
	s_or_b64 exec, exec, s[26:27]
	v_cmp_ne_u16_e32 vcc, s41, v45
	v_cndmask_b32_e32 v0, v9, v45, vcc
	v_lshrrev_b32_sdwa v0, s36, v0 dst_sel:DWORD dst_unused:UNUSED_PAD src0_sel:DWORD src1_sel:WORD_0
	v_and_b32_e32 v0, s44, v0
	v_lshlrev_b32_e32 v1, 2, v0
	v_add_lshl_u32 v1, v1, v29, 2
	; wave barrier
	v_add_u32_e32 v23, 16, v1
	ds_read_b32 v22, v1 offset:16
	v_and_b32_e32 v1, 1, v0
	v_add_co_u32_e32 v2, vcc, -1, v1
	v_addc_co_u32_e64 v3, s[26:27], 0, -1, vcc
	v_cmp_ne_u32_e32 vcc, 0, v1
	v_lshlrev_b32_e32 v19, 30, v0
	v_xor_b32_e32 v1, vcc_hi, v3
	v_not_b32_e32 v3, v19
	v_xor_b32_e32 v2, vcc_lo, v2
	v_cmp_gt_i64_e32 vcc, 0, v[18:19]
	v_ashrrev_i32_e32 v3, 31, v3
	v_and_b32_e32 v1, exec_hi, v1
	v_xor_b32_e32 v19, vcc_hi, v3
	v_and_b32_e32 v2, exec_lo, v2
	v_xor_b32_e32 v3, vcc_lo, v3
	v_and_b32_e32 v1, v1, v19
	v_lshlrev_b32_e32 v19, 29, v0
	v_and_b32_e32 v2, v2, v3
	v_not_b32_e32 v3, v19
	v_cmp_gt_i64_e32 vcc, 0, v[18:19]
	v_ashrrev_i32_e32 v3, 31, v3
	v_xor_b32_e32 v19, vcc_hi, v3
	v_xor_b32_e32 v3, vcc_lo, v3
	v_and_b32_e32 v1, v1, v19
	v_lshlrev_b32_e32 v19, 28, v0
	v_and_b32_e32 v2, v2, v3
	v_not_b32_e32 v3, v19
	v_cmp_gt_i64_e32 vcc, 0, v[18:19]
	v_ashrrev_i32_e32 v3, 31, v3
	v_xor_b32_e32 v19, vcc_hi, v3
	;; [unrolled: 8-line block ×5, first 2 shown]
	v_and_b32_e32 v1, v1, v19
	v_lshlrev_b32_e32 v19, 24, v0
	v_not_b32_e32 v0, v19
	v_xor_b32_e32 v3, vcc_lo, v3
	v_cmp_gt_i64_e32 vcc, 0, v[18:19]
	v_ashrrev_i32_e32 v0, 31, v0
	v_and_b32_e32 v2, v2, v3
	v_xor_b32_e32 v3, vcc_hi, v0
	v_xor_b32_e32 v0, vcc_lo, v0
	v_and_b32_e32 v0, v2, v0
	v_and_b32_e32 v1, v1, v3
	v_mbcnt_lo_u32_b32 v2, v0, 0
	v_mbcnt_hi_u32_b32 v24, v1, v2
	v_cmp_eq_u32_e32 vcc, 0, v24
	v_cmp_ne_u64_e64 s[26:27], 0, v[0:1]
	s_and_b64 s[46:47], s[26:27], vcc
	; wave barrier
	s_and_saveexec_b64 s[26:27], s[46:47]
	s_cbranch_execz .LBB193_23
; %bb.22:                               ;   in Loop: Header=BB193_19 Depth=1
	v_bcnt_u32_b32 v0, v0, 0
	v_bcnt_u32_b32 v0, v1, v0
	s_waitcnt lgkmcnt(0)
	v_add_u32_e32 v0, v22, v0
	ds_write_b32 v23, v0
.LBB193_23:                             ;   in Loop: Header=BB193_19 Depth=1
	s_or_b64 exec, exec, s[26:27]
	v_cmp_ne_u16_e32 vcc, s41, v44
	v_cndmask_b32_e32 v0, v9, v44, vcc
	v_lshrrev_b32_sdwa v0, s36, v0 dst_sel:DWORD dst_unused:UNUSED_PAD src0_sel:DWORD src1_sel:WORD_0
	v_and_b32_e32 v0, s44, v0
	v_lshlrev_b32_e32 v1, 2, v0
	v_add_lshl_u32 v1, v1, v29, 2
	; wave barrier
	v_add_u32_e32 v26, 16, v1
	ds_read_b32 v25, v1 offset:16
	v_and_b32_e32 v1, 1, v0
	v_add_co_u32_e32 v2, vcc, -1, v1
	v_addc_co_u32_e64 v3, s[26:27], 0, -1, vcc
	v_cmp_ne_u32_e32 vcc, 0, v1
	v_lshlrev_b32_e32 v19, 30, v0
	v_xor_b32_e32 v1, vcc_hi, v3
	v_not_b32_e32 v3, v19
	v_xor_b32_e32 v2, vcc_lo, v2
	v_cmp_gt_i64_e32 vcc, 0, v[18:19]
	v_ashrrev_i32_e32 v3, 31, v3
	v_and_b32_e32 v1, exec_hi, v1
	v_xor_b32_e32 v19, vcc_hi, v3
	v_and_b32_e32 v2, exec_lo, v2
	v_xor_b32_e32 v3, vcc_lo, v3
	v_and_b32_e32 v1, v1, v19
	v_lshlrev_b32_e32 v19, 29, v0
	v_and_b32_e32 v2, v2, v3
	v_not_b32_e32 v3, v19
	v_cmp_gt_i64_e32 vcc, 0, v[18:19]
	v_ashrrev_i32_e32 v3, 31, v3
	v_xor_b32_e32 v19, vcc_hi, v3
	v_xor_b32_e32 v3, vcc_lo, v3
	v_and_b32_e32 v1, v1, v19
	v_lshlrev_b32_e32 v19, 28, v0
	v_and_b32_e32 v2, v2, v3
	v_not_b32_e32 v3, v19
	v_cmp_gt_i64_e32 vcc, 0, v[18:19]
	v_ashrrev_i32_e32 v3, 31, v3
	v_xor_b32_e32 v19, vcc_hi, v3
	;; [unrolled: 8-line block ×5, first 2 shown]
	v_and_b32_e32 v1, v1, v19
	v_lshlrev_b32_e32 v19, 24, v0
	v_not_b32_e32 v0, v19
	v_xor_b32_e32 v3, vcc_lo, v3
	v_cmp_gt_i64_e32 vcc, 0, v[18:19]
	v_ashrrev_i32_e32 v0, 31, v0
	v_and_b32_e32 v2, v2, v3
	v_xor_b32_e32 v3, vcc_hi, v0
	v_xor_b32_e32 v0, vcc_lo, v0
	v_and_b32_e32 v0, v2, v0
	v_and_b32_e32 v1, v1, v3
	v_mbcnt_lo_u32_b32 v2, v0, 0
	v_mbcnt_hi_u32_b32 v28, v1, v2
	v_cmp_eq_u32_e32 vcc, 0, v28
	v_cmp_ne_u64_e64 s[26:27], 0, v[0:1]
	s_and_b64 s[46:47], s[26:27], vcc
	; wave barrier
	s_and_saveexec_b64 s[26:27], s[46:47]
	s_cbranch_execz .LBB193_25
; %bb.24:                               ;   in Loop: Header=BB193_19 Depth=1
	v_bcnt_u32_b32 v0, v0, 0
	v_bcnt_u32_b32 v0, v1, v0
	s_waitcnt lgkmcnt(0)
	v_add_u32_e32 v0, v25, v0
	ds_write_b32 v26, v0
.LBB193_25:                             ;   in Loop: Header=BB193_19 Depth=1
	s_or_b64 exec, exec, s[26:27]
	v_cmp_ne_u16_e32 vcc, s41, v43
	v_cndmask_b32_e32 v0, v9, v43, vcc
	v_lshrrev_b32_sdwa v0, s36, v0 dst_sel:DWORD dst_unused:UNUSED_PAD src0_sel:DWORD src1_sel:WORD_0
	v_and_b32_e32 v0, s44, v0
	v_lshlrev_b32_e32 v1, 2, v0
	v_add_lshl_u32 v1, v1, v29, 2
	; wave barrier
	v_add_u32_e32 v47, 16, v1
	ds_read_b32 v30, v1 offset:16
	v_and_b32_e32 v1, 1, v0
	v_add_co_u32_e32 v2, vcc, -1, v1
	v_addc_co_u32_e64 v3, s[26:27], 0, -1, vcc
	v_cmp_ne_u32_e32 vcc, 0, v1
	v_lshlrev_b32_e32 v19, 30, v0
	v_xor_b32_e32 v1, vcc_hi, v3
	v_not_b32_e32 v3, v19
	v_xor_b32_e32 v2, vcc_lo, v2
	v_cmp_gt_i64_e32 vcc, 0, v[18:19]
	v_ashrrev_i32_e32 v3, 31, v3
	v_and_b32_e32 v1, exec_hi, v1
	v_xor_b32_e32 v19, vcc_hi, v3
	v_and_b32_e32 v2, exec_lo, v2
	v_xor_b32_e32 v3, vcc_lo, v3
	v_and_b32_e32 v1, v1, v19
	v_lshlrev_b32_e32 v19, 29, v0
	v_and_b32_e32 v2, v2, v3
	v_not_b32_e32 v3, v19
	v_cmp_gt_i64_e32 vcc, 0, v[18:19]
	v_ashrrev_i32_e32 v3, 31, v3
	v_xor_b32_e32 v19, vcc_hi, v3
	v_xor_b32_e32 v3, vcc_lo, v3
	v_and_b32_e32 v1, v1, v19
	v_lshlrev_b32_e32 v19, 28, v0
	v_and_b32_e32 v2, v2, v3
	v_not_b32_e32 v3, v19
	v_cmp_gt_i64_e32 vcc, 0, v[18:19]
	v_ashrrev_i32_e32 v3, 31, v3
	v_xor_b32_e32 v19, vcc_hi, v3
	;; [unrolled: 8-line block ×5, first 2 shown]
	v_and_b32_e32 v1, v1, v19
	v_lshlrev_b32_e32 v19, 24, v0
	v_not_b32_e32 v0, v19
	v_xor_b32_e32 v3, vcc_lo, v3
	v_cmp_gt_i64_e32 vcc, 0, v[18:19]
	v_ashrrev_i32_e32 v0, 31, v0
	v_and_b32_e32 v2, v2, v3
	v_xor_b32_e32 v3, vcc_hi, v0
	v_xor_b32_e32 v0, vcc_lo, v0
	v_and_b32_e32 v0, v2, v0
	v_and_b32_e32 v1, v1, v3
	v_mbcnt_lo_u32_b32 v2, v0, 0
	v_mbcnt_hi_u32_b32 v19, v1, v2
	v_cmp_eq_u32_e32 vcc, 0, v19
	v_cmp_ne_u64_e64 s[26:27], 0, v[0:1]
	s_and_b64 s[44:45], s[26:27], vcc
	; wave barrier
	s_and_saveexec_b64 s[26:27], s[44:45]
	s_cbranch_execz .LBB193_27
; %bb.26:                               ;   in Loop: Header=BB193_19 Depth=1
	v_bcnt_u32_b32 v0, v0, 0
	v_bcnt_u32_b32 v0, v1, v0
	s_waitcnt lgkmcnt(0)
	v_add_u32_e32 v0, v30, v0
	ds_write_b32 v47, v0
.LBB193_27:                             ;   in Loop: Header=BB193_19 Depth=1
	s_or_b64 exec, exec, s[26:27]
	; wave barrier
	s_waitcnt lgkmcnt(0)
	s_barrier
	ds_read2_b64 v[0:3], v27 offset0:2 offset1:3
	s_waitcnt lgkmcnt(0)
	v_add_u32_e32 v48, v1, v0
	v_add3_u32 v3, v48, v2, v3
	s_nop 1
	v_mov_b32_dpp v48, v3 row_shr:1 row_mask:0xf bank_mask:0xf
	v_cndmask_b32_e64 v48, v48, 0, s[0:1]
	v_add_u32_e32 v3, v48, v3
	s_nop 1
	v_mov_b32_dpp v48, v3 row_shr:2 row_mask:0xf bank_mask:0xf
	v_cndmask_b32_e64 v48, 0, v48, s[2:3]
	v_add_u32_e32 v3, v3, v48
	;; [unrolled: 4-line block ×4, first 2 shown]
	s_nop 1
	v_mov_b32_dpp v48, v3 row_bcast:15 row_mask:0xf bank_mask:0xf
	v_cndmask_b32_e64 v48, v48, 0, s[8:9]
	v_add_u32_e32 v3, v3, v48
	s_nop 1
	v_mov_b32_dpp v48, v3 row_bcast:31 row_mask:0xf bank_mask:0xf
	v_cndmask_b32_e64 v48, 0, v48, s[10:11]
	v_add_u32_e32 v3, v3, v48
	s_and_saveexec_b64 s[26:27], s[12:13]
	s_cbranch_execz .LBB193_29
; %bb.28:                               ;   in Loop: Header=BB193_19 Depth=1
	ds_write_b32 v32, v3
.LBB193_29:                             ;   in Loop: Header=BB193_19 Depth=1
	s_or_b64 exec, exec, s[26:27]
	s_waitcnt lgkmcnt(0)
	s_barrier
	s_and_saveexec_b64 s[26:27], s[14:15]
	s_cbranch_execz .LBB193_31
; %bb.30:                               ;   in Loop: Header=BB193_19 Depth=1
	ds_read_b32 v48, v38
	s_waitcnt lgkmcnt(0)
	s_nop 0
	v_mov_b32_dpp v49, v48 row_shr:1 row_mask:0xf bank_mask:0xf
	v_cndmask_b32_e64 v49, v49, 0, s[22:23]
	v_add_u32_e32 v48, v49, v48
	s_nop 1
	v_mov_b32_dpp v49, v48 row_shr:2 row_mask:0xf bank_mask:0xf
	v_cndmask_b32_e64 v49, 0, v49, s[24:25]
	v_add_u32_e32 v48, v48, v49
	ds_write_b32 v38, v48
.LBB193_31:                             ;   in Loop: Header=BB193_19 Depth=1
	s_or_b64 exec, exec, s[26:27]
	v_mov_b32_e32 v48, 0
	s_waitcnt lgkmcnt(0)
	s_barrier
	s_and_saveexec_b64 s[26:27], s[16:17]
	s_cbranch_execz .LBB193_33
; %bb.32:                               ;   in Loop: Header=BB193_19 Depth=1
	ds_read_b32 v48, v33
.LBB193_33:                             ;   in Loop: Header=BB193_19 Depth=1
	s_or_b64 exec, exec, s[26:27]
	s_waitcnt lgkmcnt(0)
	v_add_u32_e32 v3, v48, v3
	ds_bpermute_b32 v3, v31, v3
	s_add_i32 s36, s36, 8
	s_cmp_ge_u32 s36, s40
	s_waitcnt lgkmcnt(0)
	v_cndmask_b32_e64 v3, v3, v48, s[18:19]
	v_cndmask_b32_e64 v48, v3, 0, s[20:21]
	v_add_u32_e32 v49, v48, v0
	v_add_u32_e32 v0, v49, v1
	;; [unrolled: 1-line block ×3, first 2 shown]
	ds_write2_b64 v27, v[48:49], v[0:1] offset0:2 offset1:3
	s_waitcnt lgkmcnt(0)
	s_barrier
	ds_read_b32 v0, v20
	ds_read_b32 v1, v23
	;; [unrolled: 1-line block ×4, first 2 shown]
	s_waitcnt lgkmcnt(0)
	v_add_u32_e32 v52, v0, v21
	v_add3_u32 v51, v24, v22, v1
	v_add3_u32 v50, v28, v25, v2
	;; [unrolled: 1-line block ×3, first 2 shown]
	v_lshlrev_b32_e32 v30, 1, v52
	v_lshlrev_b32_e32 v28, 1, v51
	;; [unrolled: 1-line block ×4, first 2 shown]
	s_cbranch_scc0 .LBB193_18
; %bb.34:
                                        ; implicit-def: $sgpr36
                                        ; implicit-def: $vgpr2_vgpr3
                                        ; implicit-def: $vgpr20_vgpr21
                                        ; implicit-def: $vgpr22_vgpr23
                                        ; implicit-def: $vgpr24_vgpr25
                                        ; implicit-def: $vgpr19
                                        ; implicit-def: $vgpr47
                                        ; implicit-def: $vgpr48
                                        ; implicit-def: $vgpr49
.LBB193_35:
	v_lshlrev_b32_e32 v16, 1, v8
	s_barrier
	ds_write_b16 v30, v46
	ds_write_b16 v28, v45
	;; [unrolled: 1-line block ×4, first 2 shown]
	s_waitcnt lgkmcnt(0)
	s_barrier
	ds_read_u16 v9, v16
	ds_read_u16 v14, v16 offset:512
	ds_read_u16 v17, v16 offset:1024
	;; [unrolled: 1-line block ×3, first 2 shown]
	v_mad_u64_u32 v[2:3], s[0:1], v52, 6, v[30:31]
	s_waitcnt lgkmcnt(0)
	s_barrier
	ds_write_b64 v2, v[12:13]
	v_mad_u64_u32 v[2:3], s[0:1], v51, 6, v[28:29]
	ds_write_b64 v2, v[10:11]
	v_mad_u64_u32 v[2:3], s[0:1], v50, 6, v[26:27]
	v_mad_u64_u32 v[0:1], s[0:1], v1, 6, v[0:1]
	v_mov_b32_e32 v10, 0xffff8000
	v_cmp_lt_i16_e32 vcc, -1, v9
	ds_write_b64 v2, v[6:7]
	ds_write_b64 v0, v[4:5]
	v_mad_u32_u24 v0, v8, 6, v16
	v_cndmask_b32_e64 v11, v10, -1, vcc
	v_cmp_lt_i16_e32 vcc, -1, v14
	s_waitcnt lgkmcnt(0)
	s_barrier
	ds_read2st64_b64 v[4:7], v0 offset1:4
	ds_read2st64_b64 v[0:3], v0 offset0:8 offset1:12
	v_xor_b32_e32 v15, v11, v9
	v_cndmask_b32_e64 v9, v10, -1, vcc
	v_cmp_lt_i16_e32 vcc, -1, v17
	s_add_u32 s0, s38, s34
	v_xor_b32_e32 v14, v9, v14
	v_cndmask_b32_e64 v9, v10, -1, vcc
	v_cmp_lt_i16_e32 vcc, -1, v18
	s_addc_u32 s1, s39, s35
	v_xor_b32_e32 v13, v9, v17
	v_cndmask_b32_e64 v9, v10, -1, vcc
	v_mov_b32_e32 v11, s1
	v_add_co_u32_e32 v10, vcc, s0, v16
	v_addc_co_u32_e32 v11, vcc, 0, v11, vcc
	v_xor_b32_e32 v9, v9, v18
	s_andn2_b64 vcc, exec, s[30:31]
	v_lshlrev_b32_e32 v12, 3, v8
	s_cbranch_vccnz .LBB193_37
; %bb.36:
	s_lshl_b64 s[0:1], s[28:29], 3
	s_add_u32 s0, s42, s0
	s_addc_u32 s1, s43, s1
	v_mov_b32_e32 v16, s1
	v_add_co_u32_e32 v17, vcc, s0, v12
	v_addc_co_u32_e32 v18, vcc, 0, v16, vcc
	v_add_co_u32_e32 v16, vcc, 0x1000, v17
	global_store_short v[10:11], v15, off
	global_store_short v[10:11], v14, off offset:512
	global_store_short v[10:11], v13, off offset:1024
	;; [unrolled: 1-line block ×3, first 2 shown]
	s_waitcnt lgkmcnt(1)
	global_store_dwordx2 v12, v[4:5], s[0:1]
	global_store_dwordx2 v12, v[6:7], s[0:1] offset:2048
	v_addc_co_u32_e32 v17, vcc, 0, v18, vcc
	s_mov_b64 s[6:7], -1
	s_waitcnt lgkmcnt(0)
	global_store_dwordx2 v[16:17], v[0:1], off
	s_cbranch_execz .LBB193_38
	s_branch .LBB193_51
.LBB193_37:
	s_mov_b64 s[6:7], 0
.LBB193_38:
	v_cmp_gt_u32_e32 vcc, s33, v8
	s_and_saveexec_b64 s[0:1], vcc
	s_cbranch_execz .LBB193_40
; %bb.39:
	global_store_short v[10:11], v15, off
.LBB193_40:
	s_or_b64 exec, exec, s[0:1]
	v_add_u32_e32 v15, 0x100, v8
	v_cmp_gt_u32_e64 s[0:1], s33, v15
	s_and_saveexec_b64 s[2:3], s[0:1]
	s_cbranch_execz .LBB193_42
; %bb.41:
	global_store_short v[10:11], v14, off offset:512
.LBB193_42:
	s_or_b64 exec, exec, s[2:3]
	v_add_u32_e32 v14, 0x200, v8
	v_cmp_gt_u32_e64 s[2:3], s33, v14
	s_and_saveexec_b64 s[4:5], s[2:3]
	s_cbranch_execz .LBB193_44
; %bb.43:
	global_store_short v[10:11], v13, off offset:1024
.LBB193_44:
	;; [unrolled: 8-line block ×3, first 2 shown]
	s_or_b64 exec, exec, s[4:5]
	s_lshl_b64 s[4:5], s[28:29], 3
	s_add_u32 s4, s42, s4
	s_addc_u32 s5, s43, s5
	v_mov_b32_e32 v9, s5
	v_add_co_u32_e64 v8, s[4:5], s4, v12
	v_addc_co_u32_e64 v9, s[4:5], 0, v9, s[4:5]
	s_and_saveexec_b64 s[4:5], vcc
	s_cbranch_execnz .LBB193_57
; %bb.47:
	s_or_b64 exec, exec, s[4:5]
	s_and_saveexec_b64 s[4:5], s[0:1]
	s_cbranch_execnz .LBB193_58
.LBB193_48:
	s_or_b64 exec, exec, s[4:5]
	s_and_saveexec_b64 s[0:1], s[2:3]
	s_cbranch_execz .LBB193_50
.LBB193_49:
	s_waitcnt lgkmcnt(1)
	v_add_co_u32_e32 v4, vcc, 0x1000, v8
	v_addc_co_u32_e32 v5, vcc, 0, v9, vcc
	s_waitcnt lgkmcnt(0)
	global_store_dwordx2 v[4:5], v[0:1], off
.LBB193_50:
	s_or_b64 exec, exec, s[0:1]
.LBB193_51:
	s_and_saveexec_b64 s[0:1], s[6:7]
	s_cbranch_execnz .LBB193_53
; %bb.52:
	s_endpgm
.LBB193_53:
	s_lshl_b64 s[0:1], s[28:29], 3
	s_add_u32 s0, s42, s0
	s_addc_u32 s1, s43, s1
	s_waitcnt lgkmcnt(0)
	v_mov_b32_e32 v0, s1
	v_add_co_u32_e32 v1, vcc, s0, v12
	v_addc_co_u32_e32 v4, vcc, 0, v0, vcc
	v_add_co_u32_e32 v0, vcc, 0x1000, v1
	v_addc_co_u32_e32 v1, vcc, 0, v4, vcc
	global_store_dwordx2 v[0:1], v[2:3], off offset:2048
	s_endpgm
.LBB193_54:
	global_load_dwordx2 v[2:3], v[4:5], off
	s_or_b64 exec, exec, s[8:9]
                                        ; implicit-def: $vgpr20_vgpr21
	s_and_saveexec_b64 s[8:9], s[0:1]
	s_cbranch_execz .LBB193_13
.LBB193_55:
	global_load_dwordx2 v[20:21], v[4:5], off offset:512
	s_or_b64 exec, exec, s[8:9]
                                        ; implicit-def: $vgpr22_vgpr23
	s_and_saveexec_b64 s[0:1], s[2:3]
	s_cbranch_execz .LBB193_14
.LBB193_56:
	global_load_dwordx2 v[22:23], v[4:5], off offset:1024
	s_or_b64 exec, exec, s[0:1]
                                        ; implicit-def: $vgpr24_vgpr25
	s_and_saveexec_b64 s[0:1], s[6:7]
	s_cbranch_execnz .LBB193_15
	s_branch .LBB193_16
.LBB193_57:
	s_waitcnt lgkmcnt(1)
	global_store_dwordx2 v[8:9], v[4:5], off
	s_or_b64 exec, exec, s[4:5]
	s_and_saveexec_b64 s[4:5], s[0:1]
	s_cbranch_execz .LBB193_48
.LBB193_58:
	s_waitcnt lgkmcnt(1)
	global_store_dwordx2 v[8:9], v[6:7], off offset:2048
	s_or_b64 exec, exec, s[4:5]
	s_and_saveexec_b64 s[0:1], s[2:3]
	s_cbranch_execnz .LBB193_49
	s_branch .LBB193_50
	.section	.rodata,"a",@progbits
	.p2align	6, 0x0
	.amdhsa_kernel _ZN7rocprim17ROCPRIM_304000_NS6detail28radix_sort_block_sort_kernelINS1_36wrapped_radix_sort_block_sort_configINS0_13kernel_configILj256ELj4ELj4294967295EEE6__halfN2at4cuda3cub6detail10OpaqueTypeILi8EEEEELb0EPKS6_PS6_PKSC_PSC_NS0_19identity_decomposerEEEvT1_T2_T3_T4_jT5_jj
		.amdhsa_group_segment_fixed_size 8192
		.amdhsa_private_segment_fixed_size 0
		.amdhsa_kernarg_size 304
		.amdhsa_user_sgpr_count 6
		.amdhsa_user_sgpr_private_segment_buffer 1
		.amdhsa_user_sgpr_dispatch_ptr 0
		.amdhsa_user_sgpr_queue_ptr 0
		.amdhsa_user_sgpr_kernarg_segment_ptr 1
		.amdhsa_user_sgpr_dispatch_id 0
		.amdhsa_user_sgpr_flat_scratch_init 0
		.amdhsa_user_sgpr_kernarg_preload_length 0
		.amdhsa_user_sgpr_kernarg_preload_offset 0
		.amdhsa_user_sgpr_private_segment_size 0
		.amdhsa_uses_dynamic_stack 0
		.amdhsa_system_sgpr_private_segment_wavefront_offset 0
		.amdhsa_system_sgpr_workgroup_id_x 1
		.amdhsa_system_sgpr_workgroup_id_y 0
		.amdhsa_system_sgpr_workgroup_id_z 0
		.amdhsa_system_sgpr_workgroup_info 0
		.amdhsa_system_vgpr_workitem_id 2
		.amdhsa_next_free_vgpr 53
		.amdhsa_next_free_sgpr 48
		.amdhsa_accum_offset 56
		.amdhsa_reserve_vcc 1
		.amdhsa_reserve_flat_scratch 0
		.amdhsa_float_round_mode_32 0
		.amdhsa_float_round_mode_16_64 0
		.amdhsa_float_denorm_mode_32 3
		.amdhsa_float_denorm_mode_16_64 3
		.amdhsa_dx10_clamp 1
		.amdhsa_ieee_mode 1
		.amdhsa_fp16_overflow 0
		.amdhsa_tg_split 0
		.amdhsa_exception_fp_ieee_invalid_op 0
		.amdhsa_exception_fp_denorm_src 0
		.amdhsa_exception_fp_ieee_div_zero 0
		.amdhsa_exception_fp_ieee_overflow 0
		.amdhsa_exception_fp_ieee_underflow 0
		.amdhsa_exception_fp_ieee_inexact 0
		.amdhsa_exception_int_div_zero 0
	.end_amdhsa_kernel
	.section	.text._ZN7rocprim17ROCPRIM_304000_NS6detail28radix_sort_block_sort_kernelINS1_36wrapped_radix_sort_block_sort_configINS0_13kernel_configILj256ELj4ELj4294967295EEE6__halfN2at4cuda3cub6detail10OpaqueTypeILi8EEEEELb0EPKS6_PS6_PKSC_PSC_NS0_19identity_decomposerEEEvT1_T2_T3_T4_jT5_jj,"axG",@progbits,_ZN7rocprim17ROCPRIM_304000_NS6detail28radix_sort_block_sort_kernelINS1_36wrapped_radix_sort_block_sort_configINS0_13kernel_configILj256ELj4ELj4294967295EEE6__halfN2at4cuda3cub6detail10OpaqueTypeILi8EEEEELb0EPKS6_PS6_PKSC_PSC_NS0_19identity_decomposerEEEvT1_T2_T3_T4_jT5_jj,comdat
.Lfunc_end193:
	.size	_ZN7rocprim17ROCPRIM_304000_NS6detail28radix_sort_block_sort_kernelINS1_36wrapped_radix_sort_block_sort_configINS0_13kernel_configILj256ELj4ELj4294967295EEE6__halfN2at4cuda3cub6detail10OpaqueTypeILi8EEEEELb0EPKS6_PS6_PKSC_PSC_NS0_19identity_decomposerEEEvT1_T2_T3_T4_jT5_jj, .Lfunc_end193-_ZN7rocprim17ROCPRIM_304000_NS6detail28radix_sort_block_sort_kernelINS1_36wrapped_radix_sort_block_sort_configINS0_13kernel_configILj256ELj4ELj4294967295EEE6__halfN2at4cuda3cub6detail10OpaqueTypeILi8EEEEELb0EPKS6_PS6_PKSC_PSC_NS0_19identity_decomposerEEEvT1_T2_T3_T4_jT5_jj
                                        ; -- End function
	.section	.AMDGPU.csdata,"",@progbits
; Kernel info:
; codeLenInByte = 4044
; NumSgprs: 52
; NumVgprs: 53
; NumAgprs: 0
; TotalNumVgprs: 53
; ScratchSize: 0
; MemoryBound: 0
; FloatMode: 240
; IeeeMode: 1
; LDSByteSize: 8192 bytes/workgroup (compile time only)
; SGPRBlocks: 6
; VGPRBlocks: 6
; NumSGPRsForWavesPerEU: 52
; NumVGPRsForWavesPerEU: 53
; AccumOffset: 56
; Occupancy: 8
; WaveLimiterHint : 1
; COMPUTE_PGM_RSRC2:SCRATCH_EN: 0
; COMPUTE_PGM_RSRC2:USER_SGPR: 6
; COMPUTE_PGM_RSRC2:TRAP_HANDLER: 0
; COMPUTE_PGM_RSRC2:TGID_X_EN: 1
; COMPUTE_PGM_RSRC2:TGID_Y_EN: 0
; COMPUTE_PGM_RSRC2:TGID_Z_EN: 0
; COMPUTE_PGM_RSRC2:TIDIG_COMP_CNT: 2
; COMPUTE_PGM_RSRC3_GFX90A:ACCUM_OFFSET: 13
; COMPUTE_PGM_RSRC3_GFX90A:TG_SPLIT: 0
	.section	.text._ZN7rocprim17ROCPRIM_304000_NS6detail45device_block_merge_mergepath_partition_kernelINS1_37wrapped_merge_sort_block_merge_configINS0_14default_configE6__halfN2at4cuda3cub6detail10OpaqueTypeILi8EEEEEPS5_jNS1_19radix_merge_compareILb0ELb0ES5_NS0_19identity_decomposerEEEEEvT0_T1_jPSI_T2_SI_,"axG",@progbits,_ZN7rocprim17ROCPRIM_304000_NS6detail45device_block_merge_mergepath_partition_kernelINS1_37wrapped_merge_sort_block_merge_configINS0_14default_configE6__halfN2at4cuda3cub6detail10OpaqueTypeILi8EEEEEPS5_jNS1_19radix_merge_compareILb0ELb0ES5_NS0_19identity_decomposerEEEEEvT0_T1_jPSI_T2_SI_,comdat
	.protected	_ZN7rocprim17ROCPRIM_304000_NS6detail45device_block_merge_mergepath_partition_kernelINS1_37wrapped_merge_sort_block_merge_configINS0_14default_configE6__halfN2at4cuda3cub6detail10OpaqueTypeILi8EEEEEPS5_jNS1_19radix_merge_compareILb0ELb0ES5_NS0_19identity_decomposerEEEEEvT0_T1_jPSI_T2_SI_ ; -- Begin function _ZN7rocprim17ROCPRIM_304000_NS6detail45device_block_merge_mergepath_partition_kernelINS1_37wrapped_merge_sort_block_merge_configINS0_14default_configE6__halfN2at4cuda3cub6detail10OpaqueTypeILi8EEEEEPS5_jNS1_19radix_merge_compareILb0ELb0ES5_NS0_19identity_decomposerEEEEEvT0_T1_jPSI_T2_SI_
	.globl	_ZN7rocprim17ROCPRIM_304000_NS6detail45device_block_merge_mergepath_partition_kernelINS1_37wrapped_merge_sort_block_merge_configINS0_14default_configE6__halfN2at4cuda3cub6detail10OpaqueTypeILi8EEEEEPS5_jNS1_19radix_merge_compareILb0ELb0ES5_NS0_19identity_decomposerEEEEEvT0_T1_jPSI_T2_SI_
	.p2align	8
	.type	_ZN7rocprim17ROCPRIM_304000_NS6detail45device_block_merge_mergepath_partition_kernelINS1_37wrapped_merge_sort_block_merge_configINS0_14default_configE6__halfN2at4cuda3cub6detail10OpaqueTypeILi8EEEEEPS5_jNS1_19radix_merge_compareILb0ELb0ES5_NS0_19identity_decomposerEEEEEvT0_T1_jPSI_T2_SI_,@function
_ZN7rocprim17ROCPRIM_304000_NS6detail45device_block_merge_mergepath_partition_kernelINS1_37wrapped_merge_sort_block_merge_configINS0_14default_configE6__halfN2at4cuda3cub6detail10OpaqueTypeILi8EEEEEPS5_jNS1_19radix_merge_compareILb0ELb0ES5_NS0_19identity_decomposerEEEEEvT0_T1_jPSI_T2_SI_: ; @_ZN7rocprim17ROCPRIM_304000_NS6detail45device_block_merge_mergepath_partition_kernelINS1_37wrapped_merge_sort_block_merge_configINS0_14default_configE6__halfN2at4cuda3cub6detail10OpaqueTypeILi8EEEEEPS5_jNS1_19radix_merge_compareILb0ELb0ES5_NS0_19identity_decomposerEEEEEvT0_T1_jPSI_T2_SI_
; %bb.0:
	s_load_dwordx2 s[0:1], s[4:5], 0x8
	v_lshl_or_b32 v0, s6, 7, v0
	s_waitcnt lgkmcnt(0)
	v_cmp_gt_u32_e32 vcc, s1, v0
	s_and_saveexec_b64 s[2:3], vcc
	s_cbranch_execz .LBB194_6
; %bb.1:
	s_load_dword s1, s[4:5], 0x1c
	s_waitcnt lgkmcnt(0)
	s_lshr_b32 s2, s1, 9
	s_and_b32 s2, s2, 0x7ffffe
	s_add_i32 s3, s2, -1
	s_sub_i32 s2, 0, s2
	v_and_b32_e32 v1, s2, v0
	v_and_b32_e32 v2, s3, v0
	v_lshlrev_b32_e32 v1, 10, v1
	v_lshlrev_b32_e32 v3, 10, v2
	v_min_u32_e32 v2, s0, v1
	v_add_u32_e32 v1, s1, v1
	v_min_u32_e32 v4, s0, v1
	v_add_u32_e32 v1, s1, v4
	v_min_u32_e32 v1, s0, v1
	v_sub_u32_e32 v5, v1, v2
	v_min_u32_e32 v6, v5, v3
	v_sub_u32_e32 v3, v4, v2
	v_sub_u32_e32 v1, v1, v4
	v_sub_u32_e64 v1, v6, v1 clamp
	v_min_u32_e32 v7, v6, v3
	v_cmp_lt_u32_e32 vcc, v1, v7
	s_and_saveexec_b64 s[0:1], vcc
	s_cbranch_execz .LBB194_5
; %bb.2:
	s_load_dwordx2 s[2:3], s[4:5], 0x0
	v_mov_b32_e32 v5, 0
	v_mov_b32_e32 v3, v5
	v_lshlrev_b64 v[8:9], 1, v[2:3]
	v_lshlrev_b64 v[10:11], 1, v[4:5]
	s_waitcnt lgkmcnt(0)
	v_mov_b32_e32 v12, s3
	v_add_co_u32_e32 v3, vcc, s2, v8
	v_addc_co_u32_e32 v8, vcc, v12, v9, vcc
	v_add_co_u32_e32 v9, vcc, s2, v10
	v_addc_co_u32_e32 v10, vcc, v12, v11, vcc
	s_mov_b64 s[2:3], 0
	s_movk_i32 s6, 0x8000
	v_mov_b32_e32 v11, 0xffff8000
.LBB194_3:                              ; =>This Inner Loop Header: Depth=1
	v_add_u32_e32 v4, v7, v1
	v_and_b32_e32 v12, -2, v4
	v_lshrrev_b32_e32 v14, 1, v4
	v_add_co_u32_e32 v12, vcc, v3, v12
	v_xad_u32 v4, v14, -1, v6
	v_addc_co_u32_e32 v13, vcc, 0, v8, vcc
	global_load_ushort v15, v[12:13], off
	v_lshlrev_b64 v[12:13], 1, v[4:5]
	v_add_co_u32_e32 v12, vcc, v9, v12
	v_addc_co_u32_e32 v13, vcc, v10, v13, vcc
	global_load_ushort v4, v[12:13], off
	v_add_u32_e32 v12, 1, v14
	s_waitcnt vmcnt(1)
	v_cmp_ne_u16_e32 vcc, s6, v15
	v_cndmask_b32_e32 v13, 0, v15, vcc
	v_cmp_lt_i16_e32 vcc, -1, v13
	v_cndmask_b32_e32 v15, -1, v11, vcc
	v_xor_b32_e32 v13, v15, v13
	s_waitcnt vmcnt(0)
	v_cmp_ne_u16_e32 vcc, s6, v4
	v_cndmask_b32_e32 v4, 0, v4, vcc
	v_cmp_lt_i16_e32 vcc, -1, v4
	v_cndmask_b32_e32 v15, -1, v11, vcc
	v_xor_b32_e32 v4, v15, v4
	v_cmp_gt_u16_e32 vcc, v13, v4
	v_cndmask_b32_e32 v7, v7, v14, vcc
	v_cndmask_b32_e32 v1, v12, v1, vcc
	v_cmp_ge_u32_e32 vcc, v1, v7
	s_or_b64 s[2:3], vcc, s[2:3]
	s_andn2_b64 exec, exec, s[2:3]
	s_cbranch_execnz .LBB194_3
; %bb.4:
	s_or_b64 exec, exec, s[2:3]
.LBB194_5:
	s_or_b64 exec, exec, s[0:1]
	s_load_dwordx2 s[0:1], s[4:5], 0x10
	v_add_u32_e32 v2, v1, v2
	v_mov_b32_e32 v1, 0
	v_lshlrev_b64 v[0:1], 2, v[0:1]
	s_waitcnt lgkmcnt(0)
	v_mov_b32_e32 v3, s1
	v_add_co_u32_e32 v0, vcc, s0, v0
	v_addc_co_u32_e32 v1, vcc, v3, v1, vcc
	global_store_dword v[0:1], v2, off
.LBB194_6:
	s_endpgm
	.section	.rodata,"a",@progbits
	.p2align	6, 0x0
	.amdhsa_kernel _ZN7rocprim17ROCPRIM_304000_NS6detail45device_block_merge_mergepath_partition_kernelINS1_37wrapped_merge_sort_block_merge_configINS0_14default_configE6__halfN2at4cuda3cub6detail10OpaqueTypeILi8EEEEEPS5_jNS1_19radix_merge_compareILb0ELb0ES5_NS0_19identity_decomposerEEEEEvT0_T1_jPSI_T2_SI_
		.amdhsa_group_segment_fixed_size 0
		.amdhsa_private_segment_fixed_size 0
		.amdhsa_kernarg_size 32
		.amdhsa_user_sgpr_count 6
		.amdhsa_user_sgpr_private_segment_buffer 1
		.amdhsa_user_sgpr_dispatch_ptr 0
		.amdhsa_user_sgpr_queue_ptr 0
		.amdhsa_user_sgpr_kernarg_segment_ptr 1
		.amdhsa_user_sgpr_dispatch_id 0
		.amdhsa_user_sgpr_flat_scratch_init 0
		.amdhsa_user_sgpr_kernarg_preload_length 0
		.amdhsa_user_sgpr_kernarg_preload_offset 0
		.amdhsa_user_sgpr_private_segment_size 0
		.amdhsa_uses_dynamic_stack 0
		.amdhsa_system_sgpr_private_segment_wavefront_offset 0
		.amdhsa_system_sgpr_workgroup_id_x 1
		.amdhsa_system_sgpr_workgroup_id_y 0
		.amdhsa_system_sgpr_workgroup_id_z 0
		.amdhsa_system_sgpr_workgroup_info 0
		.amdhsa_system_vgpr_workitem_id 0
		.amdhsa_next_free_vgpr 16
		.amdhsa_next_free_sgpr 7
		.amdhsa_accum_offset 16
		.amdhsa_reserve_vcc 1
		.amdhsa_reserve_flat_scratch 0
		.amdhsa_float_round_mode_32 0
		.amdhsa_float_round_mode_16_64 0
		.amdhsa_float_denorm_mode_32 3
		.amdhsa_float_denorm_mode_16_64 3
		.amdhsa_dx10_clamp 1
		.amdhsa_ieee_mode 1
		.amdhsa_fp16_overflow 0
		.amdhsa_tg_split 0
		.amdhsa_exception_fp_ieee_invalid_op 0
		.amdhsa_exception_fp_denorm_src 0
		.amdhsa_exception_fp_ieee_div_zero 0
		.amdhsa_exception_fp_ieee_overflow 0
		.amdhsa_exception_fp_ieee_underflow 0
		.amdhsa_exception_fp_ieee_inexact 0
		.amdhsa_exception_int_div_zero 0
	.end_amdhsa_kernel
	.section	.text._ZN7rocprim17ROCPRIM_304000_NS6detail45device_block_merge_mergepath_partition_kernelINS1_37wrapped_merge_sort_block_merge_configINS0_14default_configE6__halfN2at4cuda3cub6detail10OpaqueTypeILi8EEEEEPS5_jNS1_19radix_merge_compareILb0ELb0ES5_NS0_19identity_decomposerEEEEEvT0_T1_jPSI_T2_SI_,"axG",@progbits,_ZN7rocprim17ROCPRIM_304000_NS6detail45device_block_merge_mergepath_partition_kernelINS1_37wrapped_merge_sort_block_merge_configINS0_14default_configE6__halfN2at4cuda3cub6detail10OpaqueTypeILi8EEEEEPS5_jNS1_19radix_merge_compareILb0ELb0ES5_NS0_19identity_decomposerEEEEEvT0_T1_jPSI_T2_SI_,comdat
.Lfunc_end194:
	.size	_ZN7rocprim17ROCPRIM_304000_NS6detail45device_block_merge_mergepath_partition_kernelINS1_37wrapped_merge_sort_block_merge_configINS0_14default_configE6__halfN2at4cuda3cub6detail10OpaqueTypeILi8EEEEEPS5_jNS1_19radix_merge_compareILb0ELb0ES5_NS0_19identity_decomposerEEEEEvT0_T1_jPSI_T2_SI_, .Lfunc_end194-_ZN7rocprim17ROCPRIM_304000_NS6detail45device_block_merge_mergepath_partition_kernelINS1_37wrapped_merge_sort_block_merge_configINS0_14default_configE6__halfN2at4cuda3cub6detail10OpaqueTypeILi8EEEEEPS5_jNS1_19radix_merge_compareILb0ELb0ES5_NS0_19identity_decomposerEEEEEvT0_T1_jPSI_T2_SI_
                                        ; -- End function
	.section	.AMDGPU.csdata,"",@progbits
; Kernel info:
; codeLenInByte = 412
; NumSgprs: 11
; NumVgprs: 16
; NumAgprs: 0
; TotalNumVgprs: 16
; ScratchSize: 0
; MemoryBound: 0
; FloatMode: 240
; IeeeMode: 1
; LDSByteSize: 0 bytes/workgroup (compile time only)
; SGPRBlocks: 1
; VGPRBlocks: 1
; NumSGPRsForWavesPerEU: 11
; NumVGPRsForWavesPerEU: 16
; AccumOffset: 16
; Occupancy: 8
; WaveLimiterHint : 0
; COMPUTE_PGM_RSRC2:SCRATCH_EN: 0
; COMPUTE_PGM_RSRC2:USER_SGPR: 6
; COMPUTE_PGM_RSRC2:TRAP_HANDLER: 0
; COMPUTE_PGM_RSRC2:TGID_X_EN: 1
; COMPUTE_PGM_RSRC2:TGID_Y_EN: 0
; COMPUTE_PGM_RSRC2:TGID_Z_EN: 0
; COMPUTE_PGM_RSRC2:TIDIG_COMP_CNT: 0
; COMPUTE_PGM_RSRC3_GFX90A:ACCUM_OFFSET: 3
; COMPUTE_PGM_RSRC3_GFX90A:TG_SPLIT: 0
	.section	.text._ZN7rocprim17ROCPRIM_304000_NS6detail35device_block_merge_mergepath_kernelINS1_37wrapped_merge_sort_block_merge_configINS0_14default_configE6__halfN2at4cuda3cub6detail10OpaqueTypeILi8EEEEEPS5_SD_PSB_SE_jNS1_19radix_merge_compareILb0ELb0ES5_NS0_19identity_decomposerEEEEEvT0_T1_T2_T3_T4_SM_jT5_PKSM_NS1_7vsmem_tE,"axG",@progbits,_ZN7rocprim17ROCPRIM_304000_NS6detail35device_block_merge_mergepath_kernelINS1_37wrapped_merge_sort_block_merge_configINS0_14default_configE6__halfN2at4cuda3cub6detail10OpaqueTypeILi8EEEEEPS5_SD_PSB_SE_jNS1_19radix_merge_compareILb0ELb0ES5_NS0_19identity_decomposerEEEEEvT0_T1_T2_T3_T4_SM_jT5_PKSM_NS1_7vsmem_tE,comdat
	.protected	_ZN7rocprim17ROCPRIM_304000_NS6detail35device_block_merge_mergepath_kernelINS1_37wrapped_merge_sort_block_merge_configINS0_14default_configE6__halfN2at4cuda3cub6detail10OpaqueTypeILi8EEEEEPS5_SD_PSB_SE_jNS1_19radix_merge_compareILb0ELb0ES5_NS0_19identity_decomposerEEEEEvT0_T1_T2_T3_T4_SM_jT5_PKSM_NS1_7vsmem_tE ; -- Begin function _ZN7rocprim17ROCPRIM_304000_NS6detail35device_block_merge_mergepath_kernelINS1_37wrapped_merge_sort_block_merge_configINS0_14default_configE6__halfN2at4cuda3cub6detail10OpaqueTypeILi8EEEEEPS5_SD_PSB_SE_jNS1_19radix_merge_compareILb0ELb0ES5_NS0_19identity_decomposerEEEEEvT0_T1_T2_T3_T4_SM_jT5_PKSM_NS1_7vsmem_tE
	.globl	_ZN7rocprim17ROCPRIM_304000_NS6detail35device_block_merge_mergepath_kernelINS1_37wrapped_merge_sort_block_merge_configINS0_14default_configE6__halfN2at4cuda3cub6detail10OpaqueTypeILi8EEEEEPS5_SD_PSB_SE_jNS1_19radix_merge_compareILb0ELb0ES5_NS0_19identity_decomposerEEEEEvT0_T1_T2_T3_T4_SM_jT5_PKSM_NS1_7vsmem_tE
	.p2align	8
	.type	_ZN7rocprim17ROCPRIM_304000_NS6detail35device_block_merge_mergepath_kernelINS1_37wrapped_merge_sort_block_merge_configINS0_14default_configE6__halfN2at4cuda3cub6detail10OpaqueTypeILi8EEEEEPS5_SD_PSB_SE_jNS1_19radix_merge_compareILb0ELb0ES5_NS0_19identity_decomposerEEEEEvT0_T1_T2_T3_T4_SM_jT5_PKSM_NS1_7vsmem_tE,@function
_ZN7rocprim17ROCPRIM_304000_NS6detail35device_block_merge_mergepath_kernelINS1_37wrapped_merge_sort_block_merge_configINS0_14default_configE6__halfN2at4cuda3cub6detail10OpaqueTypeILi8EEEEEPS5_SD_PSB_SE_jNS1_19radix_merge_compareILb0ELb0ES5_NS0_19identity_decomposerEEEEEvT0_T1_T2_T3_T4_SM_jT5_PKSM_NS1_7vsmem_tE: ; @_ZN7rocprim17ROCPRIM_304000_NS6detail35device_block_merge_mergepath_kernelINS1_37wrapped_merge_sort_block_merge_configINS0_14default_configE6__halfN2at4cuda3cub6detail10OpaqueTypeILi8EEEEEPS5_SD_PSB_SE_jNS1_19radix_merge_compareILb0ELb0ES5_NS0_19identity_decomposerEEEEEvT0_T1_T2_T3_T4_SM_jT5_PKSM_NS1_7vsmem_tE
; %bb.0:
	s_load_dwordx2 s[26:27], s[4:5], 0x40
	s_load_dwordx4 s[16:19], s[4:5], 0x20
	s_add_u32 s2, s4, 64
	s_addc_u32 s3, s5, 0
	s_waitcnt lgkmcnt(0)
	s_mul_i32 s0, s27, s8
	s_add_i32 s0, s0, s7
	s_mul_i32 s0, s0, s26
	s_add_i32 s0, s0, s6
	s_cmp_ge_u32 s0, s18
	s_cbranch_scc1 .LBB195_91
; %bb.1:
	s_load_dwordx8 s[8:15], s[4:5], 0x0
	s_load_dwordx2 s[18:19], s[4:5], 0x30
	s_lshr_b32 s29, s16, 10
	s_cmp_lg_u32 s0, s29
	s_mov_b32 s1, 0
	s_cselect_b64 s[20:21], -1, 0
	s_lshl_b64 s[4:5], s[0:1], 2
	s_waitcnt lgkmcnt(0)
	s_add_u32 s4, s18, s4
	s_addc_u32 s5, s19, s5
	s_load_dwordx2 s[22:23], s[4:5], 0x0
	s_lshr_b32 s4, s17, 9
	s_and_b32 s4, s4, 0x7ffffe
	s_sub_i32 s4, 0, s4
	s_and_b32 s5, s0, s4
	s_lshl_b32 s7, s5, 10
	s_lshl_b32 s18, s0, 10
	;; [unrolled: 1-line block ×3, first 2 shown]
	s_sub_i32 s19, s18, s7
	s_add_i32 s5, s5, s17
	s_add_i32 s19, s5, s19
	s_waitcnt lgkmcnt(0)
	s_sub_i32 s24, s19, s22
	s_sub_i32 s19, s19, s23
	;; [unrolled: 1-line block ×3, first 2 shown]
	s_min_u32 s24, s16, s24
	s_addk_i32 s19, 0x400
	s_or_b32 s4, s0, s4
	s_min_u32 s7, s16, s5
	s_add_i32 s5, s5, s17
	s_cmp_eq_u32 s4, -1
	s_cselect_b32 s4, s5, s19
	s_cselect_b32 s5, s7, s23
	s_min_u32 s4, s4, s16
	s_mov_b32 s23, s1
	s_sub_i32 s17, s5, s22
	s_sub_i32 s19, s4, s24
	s_lshl_b64 s[4:5], s[22:23], 1
	s_add_u32 s27, s8, s4
	s_mov_b32 s25, s1
	s_addc_u32 s28, s9, s5
	s_lshl_b64 s[4:5], s[24:25], 1
	s_add_u32 s7, s8, s4
	s_addc_u32 s8, s9, s5
	s_cmp_lt_u32 s6, s26
	v_mov_b32_e32 v7, 0
	s_cselect_b32 s1, 12, 18
	global_load_dword v1, v7, s[2:3] offset:14
	s_add_u32 s2, s2, s1
	s_addc_u32 s3, s3, 0
	global_load_ushort v2, v7, s[2:3]
	v_cmp_gt_u32_e32 vcc, s17, v0
	s_cmp_eq_u32 s0, s29
	s_waitcnt vmcnt(1)
	v_lshrrev_b32_e32 v3, 16, v1
	v_and_b32_e32 v1, 0xffff, v1
	v_mul_lo_u32 v1, v1, v3
	s_waitcnt vmcnt(0)
	v_mul_lo_u32 v10, v1, v2
	v_add_u32_e32 v4, v10, v0
	v_lshlrev_b32_e32 v1, 1, v0
	v_add_u32_e32 v2, v4, v10
	s_cbranch_scc1 .LBB195_3
; %bb.2:
	v_mov_b32_e32 v3, s28
	v_add_co_u32_e64 v5, s[0:1], s27, v1
	v_subrev_u32_e32 v6, s17, v0
	v_addc_co_u32_e64 v3, s[0:1], 0, v3, s[0:1]
	v_lshlrev_b64 v[8:9], 1, v[6:7]
	v_add_co_u32_e64 v8, s[0:1], s7, v8
	v_mov_b32_e32 v6, s8
	v_cndmask_b32_e32 v8, v8, v5, vcc
	v_mov_b32_e32 v5, v7
	v_addc_co_u32_e64 v6, s[0:1], v6, v9, s[0:1]
	v_lshlrev_b64 v[12:13], 1, v[4:5]
	v_cndmask_b32_e32 v9, v6, v3, vcc
	v_mov_b32_e32 v3, s28
	v_add_co_u32_e32 v5, vcc, s27, v12
	v_subrev_u32_e32 v6, s17, v4
	v_addc_co_u32_e32 v3, vcc, v3, v13, vcc
	v_lshlrev_b64 v[12:13], 1, v[6:7]
	global_load_ushort v8, v[8:9], off
	v_mov_b32_e32 v6, s8
	v_add_co_u32_e32 v9, vcc, s7, v12
	v_addc_co_u32_e32 v6, vcc, v6, v13, vcc
	v_cmp_gt_u32_e32 vcc, s17, v4
	v_cndmask_b32_e32 v13, v6, v3, vcc
	v_cndmask_b32_e32 v12, v9, v5, vcc
	v_mov_b32_e32 v3, v7
	global_load_ushort v9, v[12:13], off
	v_lshlrev_b64 v[12:13], 1, v[2:3]
	v_mov_b32_e32 v3, s28
	v_add_co_u32_e32 v5, vcc, s27, v12
	v_subrev_u32_e32 v6, s17, v2
	v_addc_co_u32_e32 v3, vcc, v3, v13, vcc
	v_lshlrev_b64 v[12:13], 1, v[6:7]
	v_mov_b32_e32 v6, s8
	v_add_co_u32_e32 v11, vcc, s7, v12
	v_addc_co_u32_e32 v6, vcc, v6, v13, vcc
	v_cmp_gt_u32_e32 vcc, s17, v2
	v_cndmask_b32_e32 v13, v6, v3, vcc
	v_cndmask_b32_e32 v12, v11, v5, vcc
	global_load_ushort v11, v[12:13], off
	v_add_u32_e32 v6, v2, v10
	v_lshlrev_b64 v[12:13], 1, v[6:7]
	v_mov_b32_e32 v3, s28
	v_add_co_u32_e32 v5, vcc, s27, v12
	v_addc_co_u32_e32 v3, vcc, v3, v13, vcc
	v_cmp_gt_u32_e32 vcc, s17, v6
	v_subrev_u32_e32 v6, s17, v6
	v_lshlrev_b64 v[6:7], 1, v[6:7]
	v_mov_b32_e32 v12, s8
	v_add_co_u32_e64 v6, s[0:1], s7, v6
	v_addc_co_u32_e64 v7, s[0:1], v12, v7, s[0:1]
	v_cndmask_b32_e32 v7, v7, v3, vcc
	v_cndmask_b32_e32 v6, v6, v5, vcc
	s_add_i32 s6, s19, s17
	s_mov_b64 s[2:3], -1
	s_cbranch_execz .LBB195_4
	s_branch .LBB195_13
.LBB195_3:
	s_mov_b64 s[2:3], 0
                                        ; implicit-def: $vgpr6_vgpr7
                                        ; implicit-def: $vgpr11
                                        ; implicit-def: $vgpr9
                                        ; implicit-def: $vgpr8
                                        ; implicit-def: $sgpr6
.LBB195_4:
	s_add_i32 s6, s19, s17
	v_cmp_gt_u32_e32 vcc, s6, v0
                                        ; implicit-def: $vgpr8
	s_and_saveexec_b64 s[0:1], vcc
	s_cbranch_execz .LBB195_6
; %bb.5:
	v_mov_b32_e32 v7, 0
	v_mov_b32_e32 v3, s28
	v_add_co_u32_e32 v5, vcc, s27, v1
	v_subrev_u32_e32 v6, s17, v0
	v_addc_co_u32_e32 v3, vcc, 0, v3, vcc
	v_lshlrev_b64 v[6:7], 1, v[6:7]
	s_waitcnt vmcnt(2)
	v_mov_b32_e32 v8, s8
	v_add_co_u32_e32 v6, vcc, s7, v6
	v_addc_co_u32_e32 v7, vcc, v8, v7, vcc
	v_cmp_gt_u32_e32 vcc, s17, v0
	v_cndmask_b32_e32 v7, v7, v3, vcc
	v_cndmask_b32_e32 v6, v6, v5, vcc
	global_load_ushort v8, v[6:7], off
.LBB195_6:
	s_or_b64 exec, exec, s[0:1]
	v_cmp_gt_u32_e32 vcc, s6, v4
                                        ; implicit-def: $vgpr9
	s_and_saveexec_b64 s[4:5], vcc
	s_cbranch_execz .LBB195_8
; %bb.7:
	v_mov_b32_e32 v5, 0
	v_lshlrev_b64 v[6:7], 1, v[4:5]
	v_mov_b32_e32 v3, s28
	v_add_co_u32_e32 v6, vcc, s27, v6
	v_addc_co_u32_e32 v3, vcc, v3, v7, vcc
	v_cmp_gt_u32_e32 vcc, s17, v4
	v_subrev_u32_e32 v4, s17, v4
	v_lshlrev_b64 v[4:5], 1, v[4:5]
	v_mov_b32_e32 v7, s8
	v_add_co_u32_e64 v4, s[0:1], s7, v4
	v_addc_co_u32_e64 v5, s[0:1], v7, v5, s[0:1]
	v_cndmask_b32_e32 v5, v5, v3, vcc
	v_cndmask_b32_e32 v4, v4, v6, vcc
	global_load_ushort v9, v[4:5], off
.LBB195_8:
	s_or_b64 exec, exec, s[4:5]
	v_cmp_gt_u32_e32 vcc, s6, v2
                                        ; implicit-def: $vgpr11
	s_and_saveexec_b64 s[0:1], vcc
	s_cbranch_execz .LBB195_10
; %bb.9:
	v_mov_b32_e32 v3, 0
	v_lshlrev_b64 v[4:5], 1, v[2:3]
	v_mov_b32_e32 v6, s28
	v_add_co_u32_e32 v7, vcc, s27, v4
	v_addc_co_u32_e32 v6, vcc, v6, v5, vcc
	v_subrev_u32_e32 v4, s17, v2
	v_mov_b32_e32 v5, v3
	v_lshlrev_b64 v[4:5], 1, v[4:5]
	v_mov_b32_e32 v3, s8
	v_add_co_u32_e32 v4, vcc, s7, v4
	v_addc_co_u32_e32 v3, vcc, v3, v5, vcc
	v_cmp_gt_u32_e32 vcc, s17, v2
	v_cndmask_b32_e32 v5, v3, v6, vcc
	v_cndmask_b32_e32 v4, v4, v7, vcc
	global_load_ushort v11, v[4:5], off
.LBB195_10:
	s_or_b64 exec, exec, s[0:1]
	v_add_u32_e32 v2, v2, v10
	v_cmp_gt_u32_e32 vcc, s6, v2
                                        ; implicit-def: $vgpr6_vgpr7
	s_and_saveexec_b64 s[4:5], vcc
	s_cbranch_execz .LBB195_12
; %bb.11:
	v_mov_b32_e32 v3, 0
	v_lshlrev_b64 v[4:5], 1, v[2:3]
	v_mov_b32_e32 v6, s28
	v_add_co_u32_e32 v4, vcc, s27, v4
	v_addc_co_u32_e32 v5, vcc, v6, v5, vcc
	v_cmp_gt_u32_e32 vcc, s17, v2
	v_subrev_u32_e32 v2, s17, v2
	v_lshlrev_b64 v[2:3], 1, v[2:3]
	v_mov_b32_e32 v6, s8
	v_add_co_u32_e64 v2, s[0:1], s7, v2
	v_addc_co_u32_e64 v3, s[0:1], v6, v3, s[0:1]
	v_cndmask_b32_e32 v7, v3, v5, vcc
	v_cndmask_b32_e32 v6, v2, v4, vcc
	s_or_b64 s[2:3], s[2:3], exec
.LBB195_12:
	s_or_b64 exec, exec, s[4:5]
.LBB195_13:
	v_mov_b32_e32 v10, s6
                                        ; implicit-def: $vgpr12
	s_and_saveexec_b64 s[0:1], s[2:3]
	s_cbranch_execz .LBB195_15
; %bb.14:
	global_load_ushort v12, v[6:7], off
	v_mov_b32_e32 v10, s6
.LBB195_15:
	s_or_b64 exec, exec, s[0:1]
	v_lshlrev_b32_e32 v6, 2, v0
	v_min_u32_e32 v2, v10, v6
	v_sub_u32_e64 v4, v2, s19 clamp
	v_min_u32_e32 v3, s17, v2
	v_cmp_lt_u32_e32 vcc, v4, v3
	s_waitcnt vmcnt(0)
	ds_write_b16 v1, v8
	ds_write_b16 v1, v9 offset:512
	ds_write_b16 v1, v11 offset:1024
	;; [unrolled: 1-line block ×3, first 2 shown]
	s_waitcnt lgkmcnt(0)
	s_barrier
	s_and_saveexec_b64 s[0:1], vcc
	s_cbranch_execz .LBB195_19
; %bb.16:
	v_lshlrev_b32_e32 v5, 1, v2
	v_lshl_add_u32 v5, s17, 1, v5
	s_mov_b64 s[2:3], 0
	s_movk_i32 s4, 0x8000
	v_mov_b32_e32 v7, 0xffff8000
.LBB195_17:                             ; =>This Inner Loop Header: Depth=1
	v_add_u32_e32 v13, v3, v4
	v_lshrrev_b32_e32 v14, 1, v13
	v_and_b32_e32 v13, -2, v13
	ds_read_u16 v13, v13
	v_not_b32_e32 v15, v14
	v_lshl_add_u32 v15, v15, 1, v5
	ds_read_u16 v15, v15
	v_add_u32_e32 v16, 1, v14
	s_waitcnt lgkmcnt(1)
	v_cmp_ne_u16_e32 vcc, s4, v13
	v_cndmask_b32_e32 v13, 0, v13, vcc
	v_cmp_lt_i16_e32 vcc, -1, v13
	v_cndmask_b32_e32 v17, -1, v7, vcc
	s_waitcnt lgkmcnt(0)
	v_cmp_ne_u16_e32 vcc, s4, v15
	v_cndmask_b32_e32 v15, 0, v15, vcc
	v_cmp_lt_i16_e32 vcc, -1, v15
	v_xor_b32_e32 v13, v17, v13
	v_cndmask_b32_e32 v17, -1, v7, vcc
	v_xor_b32_e32 v15, v17, v15
	v_cmp_gt_u16_e32 vcc, v13, v15
	v_cndmask_b32_e32 v3, v3, v14, vcc
	v_cndmask_b32_e32 v4, v16, v4, vcc
	v_cmp_ge_u32_e32 vcc, v4, v3
	s_or_b64 s[2:3], vcc, s[2:3]
	s_andn2_b64 exec, exec, s[2:3]
	s_cbranch_execnz .LBB195_17
; %bb.18:
	s_or_b64 exec, exec, s[2:3]
.LBB195_19:
	s_or_b64 exec, exec, s[0:1]
	v_sub_u32_e32 v2, v2, v4
	v_add_u32_e32 v5, s17, v2
	v_cmp_ge_u32_e32 vcc, s17, v4
	v_cmp_le_u32_e64 s[0:1], v5, v10
	s_or_b64 s[0:1], vcc, s[0:1]
                                        ; implicit-def: $vgpr14
                                        ; implicit-def: $vgpr15
                                        ; implicit-def: $vgpr13
                                        ; implicit-def: $vgpr7
	s_and_saveexec_b64 s[2:3], s[0:1]
	s_cbranch_execz .LBB195_39
; %bb.20:
	v_cmp_le_u32_e32 vcc, s17, v4
	v_cmp_gt_u32_e64 s[0:1], s17, v4
                                        ; implicit-def: $vgpr2
	s_and_saveexec_b64 s[4:5], s[0:1]
	s_cbranch_execz .LBB195_22
; %bb.21:
	v_lshlrev_b32_e32 v2, 1, v4
	ds_read_u16 v2, v2
.LBB195_22:
	s_or_b64 exec, exec, s[4:5]
	v_cmp_ge_u32_e64 s[4:5], v5, v10
	v_cmp_lt_u32_e64 s[0:1], v5, v10
                                        ; implicit-def: $vgpr3
	s_and_saveexec_b64 s[6:7], s[0:1]
	s_cbranch_execz .LBB195_24
; %bb.23:
	v_lshlrev_b32_e32 v3, 1, v5
	ds_read_u16 v3, v3
.LBB195_24:
	s_or_b64 exec, exec, s[6:7]
	s_or_b64 s[6:7], vcc, s[4:5]
	s_mov_b64 s[0:1], -1
	s_xor_b64 s[8:9], s[6:7], -1
	s_and_saveexec_b64 s[6:7], s[8:9]
	s_cbranch_execz .LBB195_26
; %bb.25:
	s_movk_i32 s8, 0x8000
	s_waitcnt lgkmcnt(0)
	v_cmp_ne_u16_e32 vcc, s8, v2
	v_cndmask_b32_e32 v7, 0, v2, vcc
	v_cmp_ne_u16_e32 vcc, s8, v3
	v_cndmask_b32_e32 v8, 0, v3, vcc
	v_mov_b32_e32 v9, 0xffff8000
	v_cmp_lt_i16_e32 vcc, -1, v7
	v_cndmask_b32_e32 v11, -1, v9, vcc
	v_cmp_lt_i16_e32 vcc, -1, v8
	v_cndmask_b32_e32 v9, -1, v9, vcc
	v_xor_b32_e32 v7, v11, v7
	v_xor_b32_e32 v8, v9, v8
	v_cmp_le_u16_e32 vcc, v7, v8
	s_andn2_b64 s[4:5], s[4:5], exec
	s_and_b64 s[8:9], vcc, exec
	s_or_b64 s[4:5], s[4:5], s[8:9]
.LBB195_26:
	s_or_b64 exec, exec, s[6:7]
	v_mov_b32_e32 v8, s17
	v_cndmask_b32_e64 v7, v5, v4, s[4:5]
	v_cndmask_b32_e64 v8, v10, v8, s[4:5]
	v_add_u32_e32 v11, 1, v7
	v_add_u32_e32 v8, -1, v8
	v_min_u32_e32 v8, v11, v8
	v_lshlrev_b32_e32 v8, 1, v8
	ds_read_u16 v8, v8
	v_cndmask_b32_e64 v9, v11, v5, s[4:5]
	v_cndmask_b32_e64 v12, v4, v11, s[4:5]
	v_cmp_lt_u32_e32 vcc, v9, v10
	s_waitcnt lgkmcnt(0)
	v_cndmask_b32_e64 v5, v8, v3, s[4:5]
	v_cndmask_b32_e64 v8, v2, v8, s[4:5]
	s_and_saveexec_b64 s[6:7], vcc
	s_cbranch_execz .LBB195_30
; %bb.27:
	v_cmp_gt_u32_e32 vcc, s17, v12
	s_mov_b64 s[8:9], 0
	s_and_saveexec_b64 s[0:1], vcc
	s_cbranch_execz .LBB195_29
; %bb.28:
	s_movk_i32 s8, 0x8000
	v_cmp_ne_u16_e32 vcc, s8, v8
	v_cndmask_b32_e32 v4, 0, v8, vcc
	v_cmp_ne_u16_e32 vcc, s8, v5
	v_cndmask_b32_e32 v11, 0, v5, vcc
	v_mov_b32_e32 v13, 0xffff8000
	v_cmp_lt_i16_e32 vcc, -1, v4
	v_cndmask_b32_e32 v14, -1, v13, vcc
	v_cmp_lt_i16_e32 vcc, -1, v11
	v_cndmask_b32_e32 v13, -1, v13, vcc
	v_xor_b32_e32 v4, v14, v4
	v_xor_b32_e32 v11, v13, v11
	v_cmp_le_u16_e32 vcc, v4, v11
	s_and_b64 s[8:9], vcc, exec
.LBB195_29:
	s_or_b64 exec, exec, s[0:1]
	s_orn2_b64 s[0:1], s[8:9], exec
.LBB195_30:
	s_or_b64 exec, exec, s[6:7]
	v_mov_b32_e32 v4, s17
	v_cndmask_b32_e64 v13, v9, v12, s[0:1]
	v_cndmask_b32_e64 v4, v10, v4, s[0:1]
	v_add_u32_e32 v14, 1, v13
	v_add_u32_e32 v4, -1, v4
	v_min_u32_e32 v4, v14, v4
	v_lshlrev_b32_e32 v4, 1, v4
	ds_read_u16 v15, v4
	v_cndmask_b32_e64 v11, v14, v9, s[0:1]
	v_cndmask_b32_e64 v12, v12, v14, s[0:1]
	v_cmp_lt_u32_e32 vcc, v11, v10
	s_mov_b64 s[6:7], -1
	s_waitcnt lgkmcnt(0)
	v_cndmask_b32_e64 v4, v15, v5, s[0:1]
	v_cndmask_b32_e64 v9, v8, v15, s[0:1]
	s_mov_b64 s[8:9], -1
	s_and_saveexec_b64 s[26:27], vcc
	s_cbranch_execz .LBB195_34
; %bb.31:
	v_cmp_gt_u32_e32 vcc, s17, v12
	s_mov_b64 s[28:29], 0
	s_and_saveexec_b64 s[8:9], vcc
	s_cbranch_execz .LBB195_33
; %bb.32:
	s_movk_i32 s28, 0x8000
	v_cmp_ne_u16_e32 vcc, s28, v9
	v_cndmask_b32_e32 v14, 0, v9, vcc
	v_cmp_ne_u16_e32 vcc, s28, v4
	v_cndmask_b32_e32 v15, 0, v4, vcc
	v_mov_b32_e32 v16, 0xffff8000
	v_cmp_lt_i16_e32 vcc, -1, v14
	v_cndmask_b32_e32 v17, -1, v16, vcc
	v_cmp_lt_i16_e32 vcc, -1, v15
	v_cndmask_b32_e32 v16, -1, v16, vcc
	v_xor_b32_e32 v14, v17, v14
	v_xor_b32_e32 v15, v16, v15
	v_cmp_le_u16_e32 vcc, v14, v15
	s_and_b64 s[28:29], vcc, exec
.LBB195_33:
	s_or_b64 exec, exec, s[8:9]
	s_orn2_b64 s[8:9], s[28:29], exec
.LBB195_34:
	s_or_b64 exec, exec, s[26:27]
	v_mov_b32_e32 v14, s17
	v_cndmask_b32_e64 v15, v11, v12, s[8:9]
	v_cndmask_b32_e64 v14, v10, v14, s[8:9]
	v_add_u32_e32 v18, 1, v15
	v_add_u32_e32 v14, -1, v14
	v_min_u32_e32 v14, v18, v14
	v_lshlrev_b32_e32 v14, 1, v14
	ds_read_u16 v17, v14
	v_cndmask_b32_e64 v14, v18, v11, s[8:9]
	v_cndmask_b32_e64 v12, v12, v18, s[8:9]
	v_cmp_lt_u32_e32 vcc, v14, v10
	s_waitcnt lgkmcnt(0)
	v_cndmask_b32_e64 v16, v17, v4, s[8:9]
	v_cndmask_b32_e64 v17, v9, v17, s[8:9]
	s_and_saveexec_b64 s[26:27], vcc
	s_cbranch_execz .LBB195_38
; %bb.35:
	v_cmp_gt_u32_e32 vcc, s17, v12
	s_mov_b64 s[28:29], 0
	s_and_saveexec_b64 s[6:7], vcc
	s_cbranch_execz .LBB195_37
; %bb.36:
	s_movk_i32 s28, 0x8000
	v_cmp_ne_u16_e32 vcc, s28, v17
	v_cndmask_b32_e32 v11, 0, v17, vcc
	v_cmp_ne_u16_e32 vcc, s28, v16
	v_cndmask_b32_e32 v18, 0, v16, vcc
	v_mov_b32_e32 v19, 0xffff8000
	v_cmp_lt_i16_e32 vcc, -1, v11
	v_cndmask_b32_e32 v20, -1, v19, vcc
	v_cmp_lt_i16_e32 vcc, -1, v18
	v_cndmask_b32_e32 v19, -1, v19, vcc
	v_xor_b32_e32 v11, v20, v11
	v_xor_b32_e32 v18, v19, v18
	v_cmp_le_u16_e32 vcc, v11, v18
	s_and_b64 s[28:29], vcc, exec
.LBB195_37:
	s_or_b64 exec, exec, s[6:7]
	s_orn2_b64 s[6:7], s[28:29], exec
.LBB195_38:
	s_or_b64 exec, exec, s[26:27]
	v_cndmask_b32_e64 v11, v4, v9, s[8:9]
	v_cndmask_b32_e64 v9, v5, v8, s[0:1]
	;; [unrolled: 1-line block ×5, first 2 shown]
.LBB195_39:
	s_or_b64 exec, exec, s[2:3]
	s_lshl_b64 s[0:1], s[22:23], 3
	s_add_u32 s26, s12, s0
	s_addc_u32 s27, s13, s1
	s_lshl_b64 s[0:1], s[24:25], 3
	s_add_u32 s28, s12, s0
	v_cndmask_b32_e64 v2, 0, 1, s[20:21]
	s_addc_u32 s29, s13, s1
	v_cmp_gt_u32_e64 s[4:5], s17, v0
	v_cmp_ne_u32_e64 s[0:1], 1, v2
	s_andn2_b64 vcc, exec, s[20:21]
	v_cmp_le_u32_e64 s[2:3], s17, v0
	s_barrier
	s_cbranch_vccnz .LBB195_41
; %bb.40:
	v_subrev_u32_e32 v2, s17, v0
	v_mov_b32_e32 v3, 0
	v_lshlrev_b64 v[4:5], 3, v[2:3]
	v_mov_b32_e32 v2, s29
	v_add_co_u32_e32 v4, vcc, s28, v4
	v_addc_co_u32_e32 v2, vcc, v2, v5, vcc
	v_lshlrev_b32_e32 v22, 3, v0
	v_mov_b32_e32 v5, s27
	v_add_co_u32_e32 v23, vcc, s26, v22
	v_addc_co_u32_e32 v24, vcc, 0, v5, vcc
	v_cndmask_b32_e64 v5, v2, v24, s[4:5]
	v_cndmask_b32_e64 v4, v4, v23, s[4:5]
	v_or_b32_e32 v18, 0x100, v0
	s_movk_i32 s4, 0x800
	v_add_co_u32_e32 v19, vcc, s4, v23
	v_subrev_u32_e32 v2, s17, v18
	v_addc_co_u32_e32 v20, vcc, 0, v24, vcc
	v_lshlrev_b64 v[16:17], 3, v[2:3]
	v_mov_b32_e32 v2, s29
	v_add_co_u32_e32 v16, vcc, s28, v16
	v_addc_co_u32_e32 v2, vcc, v2, v17, vcc
	v_cmp_gt_u32_e32 vcc, s17, v18
	v_cndmask_b32_e32 v17, v2, v20, vcc
	v_or_b32_e32 v20, 0x200, v0
	s_movk_i32 s4, 0x1000
	v_cndmask_b32_e32 v16, v16, v19, vcc
	v_add_co_u32_e32 v21, vcc, s4, v23
	v_subrev_u32_e32 v2, s17, v20
	global_load_dwordx2 v[18:19], v[16:17], off
	v_addc_co_u32_e32 v25, vcc, 0, v24, vcc
	v_lshlrev_b64 v[16:17], 3, v[2:3]
	v_mov_b32_e32 v2, s29
	v_add_co_u32_e32 v16, vcc, s28, v16
	v_addc_co_u32_e32 v2, vcc, v2, v17, vcc
	v_cmp_gt_u32_e32 vcc, s17, v20
	global_load_dwordx2 v[4:5], v[4:5], off
	v_cndmask_b32_e32 v17, v2, v25, vcc
	v_cndmask_b32_e32 v16, v16, v21, vcc
	global_load_dwordx2 v[20:21], v[16:17], off
	v_or_b32_e32 v17, 0x300, v0
	s_movk_i32 s4, 0x1800
	v_add_co_u32_e32 v23, vcc, s4, v23
	v_subrev_u32_e32 v2, s17, v17
	v_addc_co_u32_e32 v24, vcc, 0, v24, vcc
	v_lshlrev_b64 v[2:3], 3, v[2:3]
	v_mov_b32_e32 v25, s29
	v_add_co_u32_e32 v2, vcc, s28, v2
	v_addc_co_u32_e32 v3, vcc, v25, v3, vcc
	v_cmp_gt_u32_e32 vcc, s17, v17
	v_or_b32_e32 v16, 0x1800, v22
	v_cndmask_b32_e32 v3, v3, v24, vcc
	v_cndmask_b32_e32 v2, v2, v23, vcc
	s_mov_b64 s[4:5], -1
	s_waitcnt vmcnt(1)
	ds_write2st64_b64 v22, v[4:5], v[18:19] offset1:4
	s_waitcnt vmcnt(0)
	ds_write_b64 v22, v[20:21] offset:4096
	s_cbranch_execz .LBB195_42
	s_branch .LBB195_63
.LBB195_41:
	s_mov_b64 s[4:5], 0
                                        ; implicit-def: $vgpr16
                                        ; implicit-def: $vgpr2_vgpr3
.LBB195_42:
	s_mov_b64 s[6:7], 0
                                        ; implicit-def: $vgpr2_vgpr3
	s_and_saveexec_b64 s[8:9], s[2:3]
	s_xor_b64 s[2:3], exec, s[8:9]
	s_cbranch_execz .LBB195_67
; %bb.43:
	v_subrev_u32_e32 v4, s17, v0
	v_cmp_gt_u32_e32 vcc, s19, v4
                                        ; implicit-def: $vgpr2_vgpr3
	s_and_saveexec_b64 s[8:9], vcc
	s_xor_b64 s[8:9], exec, s[8:9]
; %bb.44:
	v_mov_b32_e32 v5, 0
	v_lshlrev_b64 v[2:3], 3, v[4:5]
	v_mov_b32_e32 v4, s29
	v_add_co_u32_e32 v2, vcc, s28, v2
	s_mov_b64 s[6:7], exec
	v_addc_co_u32_e32 v3, vcc, v4, v3, vcc
; %bb.45:
	s_or_b64 exec, exec, s[8:9]
	s_and_b64 s[6:7], s[6:7], exec
	s_andn2_saveexec_b64 s[2:3], s[2:3]
	s_cbranch_execnz .LBB195_68
.LBB195_46:
	s_or_b64 exec, exec, s[2:3]
	v_mad_u32_u24 v16, v0, 6, v1
	s_and_saveexec_b64 s[2:3], s[6:7]
	s_cbranch_execz .LBB195_48
.LBB195_47:
	global_load_dwordx2 v[2:3], v[2:3], off
	s_waitcnt vmcnt(0)
	ds_write_b64 v16, v[2:3]
.LBB195_48:
	s_or_b64 exec, exec, s[2:3]
	v_or_b32_e32 v2, 0x100, v0
	v_cmp_le_u32_e32 vcc, s17, v2
	s_mov_b64 s[6:7], -1
	v_pk_mov_b32 v[4:5], s[22:23], s[22:23] op_sel:[0,1]
	s_and_saveexec_b64 s[2:3], vcc
; %bb.49:
	v_subrev_u32_e32 v2, s17, v2
	v_cmp_gt_u32_e32 vcc, s19, v2
	v_pk_mov_b32 v[4:5], s[24:25], s[24:25] op_sel:[0,1]
	s_orn2_b64 s[6:7], vcc, exec
; %bb.50:
	s_or_b64 exec, exec, s[2:3]
	s_and_saveexec_b64 s[2:3], s[6:7]
	s_cbranch_execz .LBB195_52
; %bb.51:
	v_lshlrev_b64 v[4:5], 3, v[4:5]
	v_mov_b32_e32 v3, s13
	v_add_co_u32_e32 v4, vcc, s12, v4
	v_addc_co_u32_e32 v5, vcc, v3, v5, vcc
	v_mov_b32_e32 v3, 0
	v_lshlrev_b64 v[2:3], 3, v[2:3]
	v_add_co_u32_e32 v2, vcc, v4, v2
	v_addc_co_u32_e32 v3, vcc, v5, v3, vcc
	global_load_dwordx2 v[2:3], v[2:3], off
	s_waitcnt vmcnt(0)
	ds_write_b64 v16, v[2:3] offset:2048
.LBB195_52:
	s_or_b64 exec, exec, s[2:3]
	v_or_b32_e32 v2, 0x200, v0
	v_cmp_le_u32_e32 vcc, s17, v2
	s_mov_b64 s[6:7], -1
	v_pk_mov_b32 v[4:5], s[22:23], s[22:23] op_sel:[0,1]
	s_and_saveexec_b64 s[2:3], vcc
; %bb.53:
	v_subrev_u32_e32 v2, s17, v2
	v_cmp_gt_u32_e32 vcc, s19, v2
	v_pk_mov_b32 v[4:5], s[24:25], s[24:25] op_sel:[0,1]
	s_orn2_b64 s[6:7], vcc, exec
; %bb.54:
	s_or_b64 exec, exec, s[2:3]
	s_and_saveexec_b64 s[2:3], s[6:7]
	s_cbranch_execz .LBB195_56
; %bb.55:
	v_lshlrev_b64 v[4:5], 3, v[4:5]
	v_mov_b32_e32 v3, s13
	v_add_co_u32_e32 v4, vcc, s12, v4
	v_addc_co_u32_e32 v5, vcc, v3, v5, vcc
	v_mov_b32_e32 v3, 0
	v_lshlrev_b64 v[2:3], 3, v[2:3]
	v_add_co_u32_e32 v2, vcc, v4, v2
	v_addc_co_u32_e32 v3, vcc, v5, v3, vcc
	global_load_dwordx2 v[2:3], v[2:3], off
	s_waitcnt vmcnt(0)
	ds_write_b64 v16, v[2:3] offset:4096
.LBB195_56:
	s_or_b64 exec, exec, s[2:3]
	v_or_b32_e32 v4, 0x300, v0
	v_cmp_le_u32_e32 vcc, s17, v4
                                        ; implicit-def: $vgpr16
                                        ; implicit-def: $vgpr2_vgpr3
	s_and_saveexec_b64 s[2:3], vcc
	s_xor_b64 s[2:3], exec, s[2:3]
	s_cbranch_execz .LBB195_60
; %bb.57:
	v_subrev_u32_e32 v4, s17, v4
	v_cmp_gt_u32_e32 vcc, s19, v4
	s_mov_b64 s[8:9], s[4:5]
                                        ; implicit-def: $vgpr16
                                        ; implicit-def: $vgpr2_vgpr3
	s_and_saveexec_b64 s[6:7], vcc
; %bb.58:
	v_mul_u32_u24_e32 v2, 6, v0
	s_movk_i32 s8, 0x1800
	v_mov_b32_e32 v5, 0
	v_add3_u32 v16, v1, v2, s8
	v_lshlrev_b64 v[2:3], 3, v[4:5]
	v_mov_b32_e32 v4, s29
	v_add_co_u32_e32 v2, vcc, s28, v2
	v_addc_co_u32_e32 v3, vcc, v4, v3, vcc
	s_or_b64 s[8:9], s[4:5], exec
; %bb.59:
	s_or_b64 exec, exec, s[6:7]
	s_andn2_b64 s[4:5], s[4:5], exec
	s_and_b64 s[6:7], s[8:9], exec
	s_or_b64 s[4:5], s[4:5], s[6:7]
                                        ; implicit-def: $vgpr4
.LBB195_60:
	s_andn2_saveexec_b64 s[2:3], s[2:3]
; %bb.61:
	v_lshlrev_b32_e32 v2, 3, v4
	v_mov_b32_e32 v3, s27
	v_add_co_u32_e32 v2, vcc, s26, v2
	v_mul_u32_u24_e32 v4, 6, v0
	s_movk_i32 s6, 0x1800
	v_addc_co_u32_e32 v3, vcc, 0, v3, vcc
	v_add3_u32 v16, v1, v4, s6
	s_or_b64 s[4:5], s[4:5], exec
; %bb.62:
	s_or_b64 exec, exec, s[2:3]
.LBB195_63:
	s_and_saveexec_b64 s[2:3], s[4:5]
	s_cbranch_execz .LBB195_65
; %bb.64:
	global_load_dwordx2 v[2:3], v[2:3], off
	s_waitcnt vmcnt(0)
	ds_write_b64 v16, v[2:3]
.LBB195_65:
	s_or_b64 exec, exec, s[2:3]
	s_and_b64 vcc, exec, s[0:1]
	v_add_u32_e32 v2, s18, v6
	s_waitcnt lgkmcnt(0)
	s_barrier
	s_cbranch_vccnz .LBB195_69
; %bb.66:
	v_lshlrev_b32_e32 v16, 3, v7
	v_lshlrev_b32_e32 v18, 3, v13
	;; [unrolled: 1-line block ×3, first 2 shown]
	ds_read_b64 v[16:17], v16
	ds_read_b64 v[18:19], v18
	;; [unrolled: 1-line block ×3, first 2 shown]
	v_mov_b32_e32 v3, 0
	v_lshlrev_b64 v[4:5], 3, v[2:3]
	v_mov_b32_e32 v22, s15
	v_add_co_u32_e32 v4, vcc, s14, v4
	v_addc_co_u32_e32 v5, vcc, v22, v5, vcc
	s_mov_b64 s[0:1], -1
	s_waitcnt lgkmcnt(1)
	global_store_dwordx4 v[4:5], v[16:19], off
	s_waitcnt lgkmcnt(0)
	global_store_dwordx2 v[4:5], v[20:21], off offset:16
	s_cbranch_execz .LBB195_70
	s_branch .LBB195_79
.LBB195_67:
	s_andn2_saveexec_b64 s[2:3], s[2:3]
	s_cbranch_execz .LBB195_46
.LBB195_68:
	v_lshlrev_b32_e32 v2, 3, v0
	v_mov_b32_e32 v3, s27
	v_add_co_u32_e32 v2, vcc, s26, v2
	v_addc_co_u32_e32 v3, vcc, 0, v3, vcc
	s_or_b64 s[6:7], s[6:7], exec
	s_or_b64 exec, exec, s[2:3]
	v_mad_u32_u24 v16, v0, 6, v1
	s_and_saveexec_b64 s[2:3], s[6:7]
	s_cbranch_execnz .LBB195_47
	s_branch .LBB195_48
.LBB195_69:
	s_mov_b64 s[0:1], 0
.LBB195_70:
	v_cmp_lt_u32_e32 vcc, v6, v10
	s_and_saveexec_b64 s[2:3], vcc
	s_cbranch_execz .LBB195_72
; %bb.71:
	v_lshlrev_b32_e32 v7, 3, v7
	ds_read_b64 v[16:17], v7
	v_mov_b32_e32 v3, 0
	v_lshlrev_b64 v[4:5], 3, v[2:3]
	v_mov_b32_e32 v3, s15
	v_add_co_u32_e32 v4, vcc, s14, v4
	v_addc_co_u32_e32 v5, vcc, v3, v5, vcc
	s_waitcnt lgkmcnt(0)
	global_store_dwordx2 v[4:5], v[16:17], off
.LBB195_72:
	s_or_b64 exec, exec, s[2:3]
	v_or_b32_e32 v3, 1, v6
	v_cmp_lt_u32_e32 vcc, v3, v10
	s_and_saveexec_b64 s[2:3], vcc
	s_cbranch_execz .LBB195_74
; %bb.73:
	v_lshlrev_b32_e32 v7, 3, v13
	ds_read_b64 v[16:17], v7
	v_mov_b32_e32 v3, 0
	v_lshlrev_b64 v[4:5], 3, v[2:3]
	v_mov_b32_e32 v3, s15
	v_add_co_u32_e32 v4, vcc, s14, v4
	v_addc_co_u32_e32 v5, vcc, v3, v5, vcc
	s_waitcnt lgkmcnt(0)
	global_store_dwordx2 v[4:5], v[16:17], off offset:8
.LBB195_74:
	s_or_b64 exec, exec, s[2:3]
	v_or_b32_e32 v3, 2, v6
	v_cmp_lt_u32_e32 vcc, v3, v10
	s_and_saveexec_b64 s[2:3], vcc
	s_cbranch_execz .LBB195_76
; %bb.75:
	v_lshlrev_b32_e32 v7, 3, v15
	ds_read_b64 v[16:17], v7
	v_mov_b32_e32 v3, 0
	v_lshlrev_b64 v[4:5], 3, v[2:3]
	v_mov_b32_e32 v3, s15
	v_add_co_u32_e32 v4, vcc, s14, v4
	v_addc_co_u32_e32 v5, vcc, v3, v5, vcc
	s_waitcnt lgkmcnt(0)
	global_store_dwordx2 v[4:5], v[16:17], off offset:16
.LBB195_76:
	s_or_b64 exec, exec, s[2:3]
	v_or_b32_e32 v3, 3, v6
	v_cmp_lt_u32_e32 vcc, v3, v10
	s_and_saveexec_b64 s[2:3], vcc
; %bb.77:
	v_mov_b32_e32 v3, 0
	s_or_b64 s[0:1], s[0:1], exec
; %bb.78:
	s_or_b64 exec, exec, s[2:3]
.LBB195_79:
	s_and_saveexec_b64 s[2:3], s[0:1]
	s_cbranch_execz .LBB195_81
; %bb.80:
	v_lshlrev_b32_e32 v4, 3, v14
	ds_read_b64 v[4:5], v4
	v_lshlrev_b64 v[2:3], 3, v[2:3]
	v_mov_b32_e32 v7, s15
	v_add_co_u32_e32 v2, vcc, s14, v2
	v_addc_co_u32_e32 v3, vcc, v7, v3, vcc
	s_waitcnt lgkmcnt(0)
	global_store_dwordx2 v[2:3], v[4:5], off offset:24
.LBB195_81:
	s_or_b64 exec, exec, s[2:3]
	v_lshrrev_b32_e32 v2, 3, v0
	v_and_b32_e32 v2, 30, v2
	s_mov_b32 s2, 0x5040100
	v_add_lshl_u32 v2, v2, v6, 1
	v_perm_b32 v3, v12, v11, s2
	v_perm_b32 v4, v9, v8, s2
	s_barrier
	s_barrier
	ds_write2_b32 v2, v4, v3 offset1:1
	v_lshrrev_b32_e32 v2, 4, v0
	v_and_b32_e32 v2, 12, v2
	v_or_b32_e32 v6, 0x100, v0
	v_add_u32_e32 v7, v1, v2
	v_lshrrev_b32_e32 v2, 4, v6
	v_and_b32_e32 v2, 28, v2
	v_or_b32_e32 v5, 0x200, v0
	s_mov_b32 s19, 0
	v_add_u32_e32 v8, v1, v2
	v_lshrrev_b32_e32 v2, 4, v5
	s_lshl_b64 s[0:1], s[18:19], 1
	v_and_b32_e32 v2, 44, v2
	v_or_b32_e32 v4, 0x300, v0
	s_add_u32 s0, s10, s0
	v_add_u32_e32 v9, v1, v2
	v_lshrrev_b32_e32 v2, 4, v4
	s_addc_u32 s1, s11, s1
	v_and_b32_e32 v2, 60, v2
	v_add_u32_e32 v10, v1, v2
	v_mov_b32_e32 v3, s1
	v_add_co_u32_e32 v2, vcc, s0, v1
	v_addc_co_u32_e32 v3, vcc, 0, v3, vcc
	s_and_b64 vcc, exec, s[20:21]
	s_waitcnt lgkmcnt(0)
	s_cbranch_vccz .LBB195_83
; %bb.82:
	s_barrier
	ds_read_u16 v11, v7
	ds_read_u16 v12, v8 offset:512
	ds_read_u16 v13, v9 offset:1024
	;; [unrolled: 1-line block ×3, first 2 shown]
	s_waitcnt lgkmcnt(3)
	global_store_short v[2:3], v11, off
	s_waitcnt lgkmcnt(2)
	global_store_short v[2:3], v12, off offset:512
	s_waitcnt lgkmcnt(1)
	global_store_short v[2:3], v13, off offset:1024
	s_mov_b64 s[0:1], -1
	s_cbranch_execz .LBB195_84
	s_branch .LBB195_89
.LBB195_83:
	s_mov_b64 s[0:1], 0
                                        ; implicit-def: $vgpr1
.LBB195_84:
	s_barrier
	s_waitcnt lgkmcnt(0)
	ds_read_u16 v11, v8 offset:512
	ds_read_u16 v8, v9 offset:1024
	;; [unrolled: 1-line block ×3, first 2 shown]
	s_sub_i32 s2, s16, s18
	v_cmp_gt_u32_e32 vcc, s2, v0
	s_and_saveexec_b64 s[0:1], vcc
	s_cbranch_execz .LBB195_92
; %bb.85:
	ds_read_u16 v0, v7
	s_waitcnt lgkmcnt(0)
	global_store_short v[2:3], v0, off
	s_or_b64 exec, exec, s[0:1]
	v_cmp_gt_u32_e32 vcc, s2, v6
	s_and_saveexec_b64 s[0:1], vcc
	s_cbranch_execnz .LBB195_93
.LBB195_86:
	s_or_b64 exec, exec, s[0:1]
	v_cmp_gt_u32_e32 vcc, s2, v5
	s_and_saveexec_b64 s[0:1], vcc
	s_cbranch_execz .LBB195_88
.LBB195_87:
	s_waitcnt lgkmcnt(1)
	global_store_short v[2:3], v8, off offset:1024
.LBB195_88:
	s_or_b64 exec, exec, s[0:1]
	v_cmp_gt_u32_e64 s[0:1], s2, v4
.LBB195_89:
	s_and_saveexec_b64 s[2:3], s[0:1]
	s_cbranch_execz .LBB195_91
; %bb.90:
	s_waitcnt lgkmcnt(0)
	global_store_short v[2:3], v1, off offset:1536
.LBB195_91:
	s_endpgm
.LBB195_92:
	s_or_b64 exec, exec, s[0:1]
	v_cmp_gt_u32_e32 vcc, s2, v6
	s_and_saveexec_b64 s[0:1], vcc
	s_cbranch_execz .LBB195_86
.LBB195_93:
	s_waitcnt lgkmcnt(2)
	global_store_short v[2:3], v11, off offset:512
	s_or_b64 exec, exec, s[0:1]
	v_cmp_gt_u32_e32 vcc, s2, v5
	s_and_saveexec_b64 s[0:1], vcc
	s_cbranch_execnz .LBB195_87
	s_branch .LBB195_88
	.section	.rodata,"a",@progbits
	.p2align	6, 0x0
	.amdhsa_kernel _ZN7rocprim17ROCPRIM_304000_NS6detail35device_block_merge_mergepath_kernelINS1_37wrapped_merge_sort_block_merge_configINS0_14default_configE6__halfN2at4cuda3cub6detail10OpaqueTypeILi8EEEEEPS5_SD_PSB_SE_jNS1_19radix_merge_compareILb0ELb0ES5_NS0_19identity_decomposerEEEEEvT0_T1_T2_T3_T4_SM_jT5_PKSM_NS1_7vsmem_tE
		.amdhsa_group_segment_fixed_size 8208
		.amdhsa_private_segment_fixed_size 0
		.amdhsa_kernarg_size 320
		.amdhsa_user_sgpr_count 6
		.amdhsa_user_sgpr_private_segment_buffer 1
		.amdhsa_user_sgpr_dispatch_ptr 0
		.amdhsa_user_sgpr_queue_ptr 0
		.amdhsa_user_sgpr_kernarg_segment_ptr 1
		.amdhsa_user_sgpr_dispatch_id 0
		.amdhsa_user_sgpr_flat_scratch_init 0
		.amdhsa_user_sgpr_kernarg_preload_length 0
		.amdhsa_user_sgpr_kernarg_preload_offset 0
		.amdhsa_user_sgpr_private_segment_size 0
		.amdhsa_uses_dynamic_stack 0
		.amdhsa_system_sgpr_private_segment_wavefront_offset 0
		.amdhsa_system_sgpr_workgroup_id_x 1
		.amdhsa_system_sgpr_workgroup_id_y 1
		.amdhsa_system_sgpr_workgroup_id_z 1
		.amdhsa_system_sgpr_workgroup_info 0
		.amdhsa_system_vgpr_workitem_id 0
		.amdhsa_next_free_vgpr 26
		.amdhsa_next_free_sgpr 30
		.amdhsa_accum_offset 28
		.amdhsa_reserve_vcc 1
		.amdhsa_reserve_flat_scratch 0
		.amdhsa_float_round_mode_32 0
		.amdhsa_float_round_mode_16_64 0
		.amdhsa_float_denorm_mode_32 3
		.amdhsa_float_denorm_mode_16_64 3
		.amdhsa_dx10_clamp 1
		.amdhsa_ieee_mode 1
		.amdhsa_fp16_overflow 0
		.amdhsa_tg_split 0
		.amdhsa_exception_fp_ieee_invalid_op 0
		.amdhsa_exception_fp_denorm_src 0
		.amdhsa_exception_fp_ieee_div_zero 0
		.amdhsa_exception_fp_ieee_overflow 0
		.amdhsa_exception_fp_ieee_underflow 0
		.amdhsa_exception_fp_ieee_inexact 0
		.amdhsa_exception_int_div_zero 0
	.end_amdhsa_kernel
	.section	.text._ZN7rocprim17ROCPRIM_304000_NS6detail35device_block_merge_mergepath_kernelINS1_37wrapped_merge_sort_block_merge_configINS0_14default_configE6__halfN2at4cuda3cub6detail10OpaqueTypeILi8EEEEEPS5_SD_PSB_SE_jNS1_19radix_merge_compareILb0ELb0ES5_NS0_19identity_decomposerEEEEEvT0_T1_T2_T3_T4_SM_jT5_PKSM_NS1_7vsmem_tE,"axG",@progbits,_ZN7rocprim17ROCPRIM_304000_NS6detail35device_block_merge_mergepath_kernelINS1_37wrapped_merge_sort_block_merge_configINS0_14default_configE6__halfN2at4cuda3cub6detail10OpaqueTypeILi8EEEEEPS5_SD_PSB_SE_jNS1_19radix_merge_compareILb0ELb0ES5_NS0_19identity_decomposerEEEEEvT0_T1_T2_T3_T4_SM_jT5_PKSM_NS1_7vsmem_tE,comdat
.Lfunc_end195:
	.size	_ZN7rocprim17ROCPRIM_304000_NS6detail35device_block_merge_mergepath_kernelINS1_37wrapped_merge_sort_block_merge_configINS0_14default_configE6__halfN2at4cuda3cub6detail10OpaqueTypeILi8EEEEEPS5_SD_PSB_SE_jNS1_19radix_merge_compareILb0ELb0ES5_NS0_19identity_decomposerEEEEEvT0_T1_T2_T3_T4_SM_jT5_PKSM_NS1_7vsmem_tE, .Lfunc_end195-_ZN7rocprim17ROCPRIM_304000_NS6detail35device_block_merge_mergepath_kernelINS1_37wrapped_merge_sort_block_merge_configINS0_14default_configE6__halfN2at4cuda3cub6detail10OpaqueTypeILi8EEEEEPS5_SD_PSB_SE_jNS1_19radix_merge_compareILb0ELb0ES5_NS0_19identity_decomposerEEEEEvT0_T1_T2_T3_T4_SM_jT5_PKSM_NS1_7vsmem_tE
                                        ; -- End function
	.section	.AMDGPU.csdata,"",@progbits
; Kernel info:
; codeLenInByte = 3860
; NumSgprs: 34
; NumVgprs: 26
; NumAgprs: 0
; TotalNumVgprs: 26
; ScratchSize: 0
; MemoryBound: 1
; FloatMode: 240
; IeeeMode: 1
; LDSByteSize: 8208 bytes/workgroup (compile time only)
; SGPRBlocks: 4
; VGPRBlocks: 3
; NumSGPRsForWavesPerEU: 34
; NumVGPRsForWavesPerEU: 26
; AccumOffset: 28
; Occupancy: 7
; WaveLimiterHint : 1
; COMPUTE_PGM_RSRC2:SCRATCH_EN: 0
; COMPUTE_PGM_RSRC2:USER_SGPR: 6
; COMPUTE_PGM_RSRC2:TRAP_HANDLER: 0
; COMPUTE_PGM_RSRC2:TGID_X_EN: 1
; COMPUTE_PGM_RSRC2:TGID_Y_EN: 1
; COMPUTE_PGM_RSRC2:TGID_Z_EN: 1
; COMPUTE_PGM_RSRC2:TIDIG_COMP_CNT: 0
; COMPUTE_PGM_RSRC3_GFX90A:ACCUM_OFFSET: 6
; COMPUTE_PGM_RSRC3_GFX90A:TG_SPLIT: 0
	.section	.text._ZN7rocprim17ROCPRIM_304000_NS6detail33device_block_merge_oddeven_kernelINS1_37wrapped_merge_sort_block_merge_configINS0_14default_configE6__halfN2at4cuda3cub6detail10OpaqueTypeILi8EEEEEPS5_SD_PSB_SE_jNS1_19radix_merge_compareILb0ELb0ES5_NS0_19identity_decomposerEEEEEvT0_T1_T2_T3_T4_SM_T5_,"axG",@progbits,_ZN7rocprim17ROCPRIM_304000_NS6detail33device_block_merge_oddeven_kernelINS1_37wrapped_merge_sort_block_merge_configINS0_14default_configE6__halfN2at4cuda3cub6detail10OpaqueTypeILi8EEEEEPS5_SD_PSB_SE_jNS1_19radix_merge_compareILb0ELb0ES5_NS0_19identity_decomposerEEEEEvT0_T1_T2_T3_T4_SM_T5_,comdat
	.protected	_ZN7rocprim17ROCPRIM_304000_NS6detail33device_block_merge_oddeven_kernelINS1_37wrapped_merge_sort_block_merge_configINS0_14default_configE6__halfN2at4cuda3cub6detail10OpaqueTypeILi8EEEEEPS5_SD_PSB_SE_jNS1_19radix_merge_compareILb0ELb0ES5_NS0_19identity_decomposerEEEEEvT0_T1_T2_T3_T4_SM_T5_ ; -- Begin function _ZN7rocprim17ROCPRIM_304000_NS6detail33device_block_merge_oddeven_kernelINS1_37wrapped_merge_sort_block_merge_configINS0_14default_configE6__halfN2at4cuda3cub6detail10OpaqueTypeILi8EEEEEPS5_SD_PSB_SE_jNS1_19radix_merge_compareILb0ELb0ES5_NS0_19identity_decomposerEEEEEvT0_T1_T2_T3_T4_SM_T5_
	.globl	_ZN7rocprim17ROCPRIM_304000_NS6detail33device_block_merge_oddeven_kernelINS1_37wrapped_merge_sort_block_merge_configINS0_14default_configE6__halfN2at4cuda3cub6detail10OpaqueTypeILi8EEEEEPS5_SD_PSB_SE_jNS1_19radix_merge_compareILb0ELb0ES5_NS0_19identity_decomposerEEEEEvT0_T1_T2_T3_T4_SM_T5_
	.p2align	8
	.type	_ZN7rocprim17ROCPRIM_304000_NS6detail33device_block_merge_oddeven_kernelINS1_37wrapped_merge_sort_block_merge_configINS0_14default_configE6__halfN2at4cuda3cub6detail10OpaqueTypeILi8EEEEEPS5_SD_PSB_SE_jNS1_19radix_merge_compareILb0ELb0ES5_NS0_19identity_decomposerEEEEEvT0_T1_T2_T3_T4_SM_T5_,@function
_ZN7rocprim17ROCPRIM_304000_NS6detail33device_block_merge_oddeven_kernelINS1_37wrapped_merge_sort_block_merge_configINS0_14default_configE6__halfN2at4cuda3cub6detail10OpaqueTypeILi8EEEEEPS5_SD_PSB_SE_jNS1_19radix_merge_compareILb0ELb0ES5_NS0_19identity_decomposerEEEEEvT0_T1_T2_T3_T4_SM_T5_: ; @_ZN7rocprim17ROCPRIM_304000_NS6detail33device_block_merge_oddeven_kernelINS1_37wrapped_merge_sort_block_merge_configINS0_14default_configE6__halfN2at4cuda3cub6detail10OpaqueTypeILi8EEEEEPS5_SD_PSB_SE_jNS1_19radix_merge_compareILb0ELb0ES5_NS0_19identity_decomposerEEEEEvT0_T1_T2_T3_T4_SM_T5_
; %bb.0:
	s_load_dwordx2 s[16:17], s[4:5], 0x20
	s_waitcnt lgkmcnt(0)
	s_lshr_b32 s2, s16, 8
	s_cmp_lg_u32 s6, s2
	s_cselect_b64 s[0:1], -1, 0
	s_cmp_eq_u32 s6, s2
	s_cselect_b64 s[18:19], -1, 0
	s_lshl_b32 s20, s6, 8
	s_sub_i32 s2, s16, s20
	v_cmp_gt_u32_e64 s[2:3], s2, v0
	s_or_b64 s[0:1], s[0:1], s[2:3]
	s_and_saveexec_b64 s[8:9], s[0:1]
	s_cbranch_execz .LBB196_26
; %bb.1:
	s_load_dwordx8 s[8:15], s[4:5], 0x0
	s_mov_b32 s21, 0
	s_lshl_b64 s[0:1], s[20:21], 1
	v_lshlrev_b32_e32 v4, 3, v0
	v_lshlrev_b32_e32 v1, 1, v0
	s_waitcnt lgkmcnt(0)
	s_add_u32 s0, s8, s0
	s_addc_u32 s1, s9, s1
	s_lshl_b64 s[4:5], s[20:21], 3
	s_add_u32 s4, s12, s4
	s_addc_u32 s5, s13, s5
	global_load_dwordx2 v[2:3], v4, s[4:5]
	global_load_ushort v6, v1, s[0:1]
	s_lshr_b32 s0, s17, 8
	s_sub_i32 s1, 0, s0
	s_and_b32 s1, s6, s1
	s_and_b32 s0, s1, s0
	s_lshl_b32 s22, s1, 8
	s_sub_i32 s6, 0, s17
	s_cmp_eq_u32 s0, 0
	s_cselect_b64 s[0:1], -1, 0
	s_and_b64 s[4:5], s[0:1], exec
	s_cselect_b32 s21, s17, s6
	s_add_i32 s21, s21, s22
	s_cmp_lt_u32 s21, s16
	v_add_u32_e32 v4, s20, v0
	s_cbranch_scc1 .LBB196_6
; %bb.2:
	s_and_b64 vcc, exec, s[18:19]
	s_cbranch_vccz .LBB196_7
; %bb.3:
	v_cmp_gt_u32_e32 vcc, s16, v4
	s_mov_b64 s[6:7], 0
	s_mov_b64 s[4:5], 0
                                        ; implicit-def: $vgpr0_vgpr1
	s_and_saveexec_b64 s[12:13], vcc
	s_cbranch_execz .LBB196_5
; %bb.4:
	v_mov_b32_e32 v5, 0
	v_lshlrev_b64 v[0:1], 3, v[4:5]
	v_mov_b32_e32 v7, s15
	v_add_co_u32_e32 v0, vcc, s14, v0
	v_addc_co_u32_e32 v1, vcc, v7, v1, vcc
	v_lshlrev_b64 v[8:9], 1, v[4:5]
	v_mov_b32_e32 v5, s11
	v_add_co_u32_e32 v8, vcc, s10, v8
	s_mov_b64 s[4:5], exec
	v_addc_co_u32_e32 v9, vcc, v5, v9, vcc
	s_waitcnt vmcnt(0)
	global_store_short v[8:9], v6, off
.LBB196_5:
	s_or_b64 exec, exec, s[12:13]
	s_and_b64 vcc, exec, s[6:7]
	s_cbranch_vccnz .LBB196_8
	s_branch .LBB196_9
.LBB196_6:
	s_mov_b64 s[4:5], 0
                                        ; implicit-def: $vgpr0_vgpr1
	s_cbranch_execnz .LBB196_10
	s_branch .LBB196_24
.LBB196_7:
	s_mov_b64 s[4:5], 0
                                        ; implicit-def: $vgpr0_vgpr1
	s_cbranch_execz .LBB196_9
.LBB196_8:
	v_mov_b32_e32 v5, 0
	v_lshlrev_b64 v[0:1], 1, v[4:5]
	v_mov_b32_e32 v7, s11
	v_add_co_u32_e32 v0, vcc, s10, v0
	v_addc_co_u32_e32 v1, vcc, v7, v1, vcc
	s_waitcnt vmcnt(0)
	global_store_short v[0:1], v6, off
	v_lshlrev_b64 v[0:1], 3, v[4:5]
	v_mov_b32_e32 v5, s15
	v_add_co_u32_e32 v0, vcc, s14, v0
	v_addc_co_u32_e32 v1, vcc, v5, v1, vcc
	s_or_b64 s[4:5], s[4:5], exec
.LBB196_9:
	s_branch .LBB196_24
.LBB196_10:
	s_min_u32 s12, s21, s16
	s_add_i32 s6, s12, s17
	s_min_u32 s13, s6, s16
	s_min_u32 s6, s22, s12
	s_add_i32 s22, s22, s12
	v_subrev_u32_e32 v0, s22, v4
	v_add_u32_e32 v4, s6, v0
	s_and_b64 vcc, exec, s[18:19]
	s_cbranch_vccz .LBB196_18
; %bb.11:
                                        ; implicit-def: $vgpr0_vgpr1
	s_and_saveexec_b64 s[6:7], s[2:3]
	s_cbranch_execz .LBB196_17
; %bb.12:
	s_cmp_ge_u32 s21, s13
	v_mov_b32_e32 v0, s12
	s_cbranch_scc1 .LBB196_16
; %bb.13:
	s_movk_i32 s16, 0x8000
	s_waitcnt vmcnt(0)
	v_cmp_ne_u16_e32 vcc, s16, v6
	v_cndmask_b32_e32 v0, 0, v6, vcc
	v_mov_b32_e32 v1, 0xffff8000
	v_cmp_lt_i16_e32 vcc, -1, v0
	v_cndmask_b32_e32 v5, -1, v1, vcc
	v_xor_b32_e32 v5, v5, v0
	s_mov_b64 s[2:3], 0
	v_mov_b32_e32 v7, s13
	v_mov_b32_e32 v0, s12
.LBB196_14:                             ; =>This Inner Loop Header: Depth=1
	v_add_u32_e32 v8, v0, v7
	v_and_b32_e32 v9, -2, v8
	global_load_ushort v9, v9, s[8:9]
	v_lshrrev_b32_e32 v8, 1, v8
	v_add_u32_e32 v10, 1, v8
	s_waitcnt vmcnt(0)
	v_cmp_ne_u16_e32 vcc, s16, v9
	v_cndmask_b32_e32 v9, 0, v9, vcc
	v_cmp_lt_i16_e32 vcc, -1, v9
	v_cndmask_b32_e32 v11, -1, v1, vcc
	v_xor_b32_e32 v9, v11, v9
	v_cmp_gt_u16_e32 vcc, v5, v9
	v_cndmask_b32_e64 v11, 0, 1, vcc
	v_cmp_le_u16_e32 vcc, v9, v5
	v_cndmask_b32_e64 v9, 0, 1, vcc
	v_cndmask_b32_e64 v9, v9, v11, s[0:1]
	v_and_b32_e32 v9, 1, v9
	v_cmp_eq_u32_e32 vcc, 1, v9
	v_cndmask_b32_e32 v7, v8, v7, vcc
	v_cndmask_b32_e32 v0, v0, v10, vcc
	v_cmp_ge_u32_e32 vcc, v0, v7
	s_or_b64 s[2:3], vcc, s[2:3]
	s_andn2_b64 exec, exec, s[2:3]
	s_cbranch_execnz .LBB196_14
; %bb.15:
	s_or_b64 exec, exec, s[2:3]
.LBB196_16:
	v_add_u32_e32 v0, v0, v4
	v_mov_b32_e32 v1, 0
	v_lshlrev_b64 v[8:9], 1, v[0:1]
	v_mov_b32_e32 v5, s11
	v_add_co_u32_e32 v8, vcc, s10, v8
	v_addc_co_u32_e32 v9, vcc, v5, v9, vcc
	v_lshlrev_b64 v[0:1], 3, v[0:1]
	v_mov_b32_e32 v5, s15
	v_add_co_u32_e32 v0, vcc, s14, v0
	s_waitcnt vmcnt(0)
	global_store_short v[8:9], v6, off
	v_addc_co_u32_e32 v1, vcc, v5, v1, vcc
	s_or_b64 s[4:5], s[4:5], exec
.LBB196_17:
	s_or_b64 exec, exec, s[6:7]
	s_branch .LBB196_24
.LBB196_18:
                                        ; implicit-def: $vgpr0_vgpr1
	s_cbranch_execz .LBB196_24
; %bb.19:
	s_cmp_ge_u32 s21, s13
	v_mov_b32_e32 v0, s12
	s_cbranch_scc1 .LBB196_23
; %bb.20:
	s_movk_i32 s4, 0x8000
	s_waitcnt vmcnt(0)
	v_cmp_ne_u16_e32 vcc, s4, v6
	v_cndmask_b32_e32 v0, 0, v6, vcc
	v_mov_b32_e32 v1, 0xffff8000
	v_cmp_lt_i16_e32 vcc, -1, v0
	v_cndmask_b32_e32 v5, -1, v1, vcc
	v_xor_b32_e32 v5, v5, v0
	s_mov_b64 s[2:3], 0
	v_mov_b32_e32 v7, s13
	v_mov_b32_e32 v0, s12
.LBB196_21:                             ; =>This Inner Loop Header: Depth=1
	v_add_u32_e32 v8, v0, v7
	v_and_b32_e32 v9, -2, v8
	global_load_ushort v9, v9, s[8:9]
	v_lshrrev_b32_e32 v8, 1, v8
	v_add_u32_e32 v10, 1, v8
	s_waitcnt vmcnt(0)
	v_cmp_ne_u16_e32 vcc, s4, v9
	v_cndmask_b32_e32 v9, 0, v9, vcc
	v_cmp_lt_i16_e32 vcc, -1, v9
	v_cndmask_b32_e32 v11, -1, v1, vcc
	v_xor_b32_e32 v9, v11, v9
	v_cmp_gt_u16_e32 vcc, v5, v9
	v_cndmask_b32_e64 v11, 0, 1, vcc
	v_cmp_le_u16_e32 vcc, v9, v5
	v_cndmask_b32_e64 v9, 0, 1, vcc
	v_cndmask_b32_e64 v9, v9, v11, s[0:1]
	v_and_b32_e32 v9, 1, v9
	v_cmp_eq_u32_e32 vcc, 1, v9
	v_cndmask_b32_e32 v7, v8, v7, vcc
	v_cndmask_b32_e32 v0, v0, v10, vcc
	v_cmp_ge_u32_e32 vcc, v0, v7
	s_or_b64 s[2:3], vcc, s[2:3]
	s_andn2_b64 exec, exec, s[2:3]
	s_cbranch_execnz .LBB196_21
; %bb.22:
	s_or_b64 exec, exec, s[2:3]
.LBB196_23:
	v_add_u32_e32 v0, v0, v4
	v_mov_b32_e32 v1, 0
	v_lshlrev_b64 v[4:5], 1, v[0:1]
	v_mov_b32_e32 v7, s11
	v_add_co_u32_e32 v4, vcc, s10, v4
	v_addc_co_u32_e32 v5, vcc, v7, v5, vcc
	v_lshlrev_b64 v[0:1], 3, v[0:1]
	s_waitcnt vmcnt(0)
	global_store_short v[4:5], v6, off
	v_mov_b32_e32 v4, s15
	v_add_co_u32_e32 v0, vcc, s14, v0
	v_addc_co_u32_e32 v1, vcc, v4, v1, vcc
	s_mov_b64 s[4:5], -1
.LBB196_24:
	s_and_b64 exec, exec, s[4:5]
	s_cbranch_execz .LBB196_26
; %bb.25:
	s_waitcnt vmcnt(1)
	global_store_dwordx2 v[0:1], v[2:3], off
.LBB196_26:
	s_endpgm
	.section	.rodata,"a",@progbits
	.p2align	6, 0x0
	.amdhsa_kernel _ZN7rocprim17ROCPRIM_304000_NS6detail33device_block_merge_oddeven_kernelINS1_37wrapped_merge_sort_block_merge_configINS0_14default_configE6__halfN2at4cuda3cub6detail10OpaqueTypeILi8EEEEEPS5_SD_PSB_SE_jNS1_19radix_merge_compareILb0ELb0ES5_NS0_19identity_decomposerEEEEEvT0_T1_T2_T3_T4_SM_T5_
		.amdhsa_group_segment_fixed_size 0
		.amdhsa_private_segment_fixed_size 0
		.amdhsa_kernarg_size 44
		.amdhsa_user_sgpr_count 6
		.amdhsa_user_sgpr_private_segment_buffer 1
		.amdhsa_user_sgpr_dispatch_ptr 0
		.amdhsa_user_sgpr_queue_ptr 0
		.amdhsa_user_sgpr_kernarg_segment_ptr 1
		.amdhsa_user_sgpr_dispatch_id 0
		.amdhsa_user_sgpr_flat_scratch_init 0
		.amdhsa_user_sgpr_kernarg_preload_length 0
		.amdhsa_user_sgpr_kernarg_preload_offset 0
		.amdhsa_user_sgpr_private_segment_size 0
		.amdhsa_uses_dynamic_stack 0
		.amdhsa_system_sgpr_private_segment_wavefront_offset 0
		.amdhsa_system_sgpr_workgroup_id_x 1
		.amdhsa_system_sgpr_workgroup_id_y 0
		.amdhsa_system_sgpr_workgroup_id_z 0
		.amdhsa_system_sgpr_workgroup_info 0
		.amdhsa_system_vgpr_workitem_id 0
		.amdhsa_next_free_vgpr 12
		.amdhsa_next_free_sgpr 23
		.amdhsa_accum_offset 12
		.amdhsa_reserve_vcc 1
		.amdhsa_reserve_flat_scratch 0
		.amdhsa_float_round_mode_32 0
		.amdhsa_float_round_mode_16_64 0
		.amdhsa_float_denorm_mode_32 3
		.amdhsa_float_denorm_mode_16_64 3
		.amdhsa_dx10_clamp 1
		.amdhsa_ieee_mode 1
		.amdhsa_fp16_overflow 0
		.amdhsa_tg_split 0
		.amdhsa_exception_fp_ieee_invalid_op 0
		.amdhsa_exception_fp_denorm_src 0
		.amdhsa_exception_fp_ieee_div_zero 0
		.amdhsa_exception_fp_ieee_overflow 0
		.amdhsa_exception_fp_ieee_underflow 0
		.amdhsa_exception_fp_ieee_inexact 0
		.amdhsa_exception_int_div_zero 0
	.end_amdhsa_kernel
	.section	.text._ZN7rocprim17ROCPRIM_304000_NS6detail33device_block_merge_oddeven_kernelINS1_37wrapped_merge_sort_block_merge_configINS0_14default_configE6__halfN2at4cuda3cub6detail10OpaqueTypeILi8EEEEEPS5_SD_PSB_SE_jNS1_19radix_merge_compareILb0ELb0ES5_NS0_19identity_decomposerEEEEEvT0_T1_T2_T3_T4_SM_T5_,"axG",@progbits,_ZN7rocprim17ROCPRIM_304000_NS6detail33device_block_merge_oddeven_kernelINS1_37wrapped_merge_sort_block_merge_configINS0_14default_configE6__halfN2at4cuda3cub6detail10OpaqueTypeILi8EEEEEPS5_SD_PSB_SE_jNS1_19radix_merge_compareILb0ELb0ES5_NS0_19identity_decomposerEEEEEvT0_T1_T2_T3_T4_SM_T5_,comdat
.Lfunc_end196:
	.size	_ZN7rocprim17ROCPRIM_304000_NS6detail33device_block_merge_oddeven_kernelINS1_37wrapped_merge_sort_block_merge_configINS0_14default_configE6__halfN2at4cuda3cub6detail10OpaqueTypeILi8EEEEEPS5_SD_PSB_SE_jNS1_19radix_merge_compareILb0ELb0ES5_NS0_19identity_decomposerEEEEEvT0_T1_T2_T3_T4_SM_T5_, .Lfunc_end196-_ZN7rocprim17ROCPRIM_304000_NS6detail33device_block_merge_oddeven_kernelINS1_37wrapped_merge_sort_block_merge_configINS0_14default_configE6__halfN2at4cuda3cub6detail10OpaqueTypeILi8EEEEEPS5_SD_PSB_SE_jNS1_19radix_merge_compareILb0ELb0ES5_NS0_19identity_decomposerEEEEEvT0_T1_T2_T3_T4_SM_T5_
                                        ; -- End function
	.section	.AMDGPU.csdata,"",@progbits
; Kernel info:
; codeLenInByte = 928
; NumSgprs: 27
; NumVgprs: 12
; NumAgprs: 0
; TotalNumVgprs: 12
; ScratchSize: 0
; MemoryBound: 0
; FloatMode: 240
; IeeeMode: 1
; LDSByteSize: 0 bytes/workgroup (compile time only)
; SGPRBlocks: 3
; VGPRBlocks: 1
; NumSGPRsForWavesPerEU: 27
; NumVGPRsForWavesPerEU: 12
; AccumOffset: 12
; Occupancy: 8
; WaveLimiterHint : 0
; COMPUTE_PGM_RSRC2:SCRATCH_EN: 0
; COMPUTE_PGM_RSRC2:USER_SGPR: 6
; COMPUTE_PGM_RSRC2:TRAP_HANDLER: 0
; COMPUTE_PGM_RSRC2:TGID_X_EN: 1
; COMPUTE_PGM_RSRC2:TGID_Y_EN: 0
; COMPUTE_PGM_RSRC2:TGID_Z_EN: 0
; COMPUTE_PGM_RSRC2:TIDIG_COMP_CNT: 0
; COMPUTE_PGM_RSRC3_GFX90A:ACCUM_OFFSET: 2
; COMPUTE_PGM_RSRC3_GFX90A:TG_SPLIT: 0
	.section	.text._ZN7rocprim17ROCPRIM_304000_NS6detail26onesweep_histograms_kernelINS1_34wrapped_radix_sort_onesweep_configINS0_14default_configE6__halfN2at4cuda3cub6detail10OpaqueTypeILi8EEEEELb0EPKS5_mNS0_19identity_decomposerEEEvT1_PT2_SH_SH_T3_jj,"axG",@progbits,_ZN7rocprim17ROCPRIM_304000_NS6detail26onesweep_histograms_kernelINS1_34wrapped_radix_sort_onesweep_configINS0_14default_configE6__halfN2at4cuda3cub6detail10OpaqueTypeILi8EEEEELb0EPKS5_mNS0_19identity_decomposerEEEvT1_PT2_SH_SH_T3_jj,comdat
	.protected	_ZN7rocprim17ROCPRIM_304000_NS6detail26onesweep_histograms_kernelINS1_34wrapped_radix_sort_onesweep_configINS0_14default_configE6__halfN2at4cuda3cub6detail10OpaqueTypeILi8EEEEELb0EPKS5_mNS0_19identity_decomposerEEEvT1_PT2_SH_SH_T3_jj ; -- Begin function _ZN7rocprim17ROCPRIM_304000_NS6detail26onesweep_histograms_kernelINS1_34wrapped_radix_sort_onesweep_configINS0_14default_configE6__halfN2at4cuda3cub6detail10OpaqueTypeILi8EEEEELb0EPKS5_mNS0_19identity_decomposerEEEvT1_PT2_SH_SH_T3_jj
	.globl	_ZN7rocprim17ROCPRIM_304000_NS6detail26onesweep_histograms_kernelINS1_34wrapped_radix_sort_onesweep_configINS0_14default_configE6__halfN2at4cuda3cub6detail10OpaqueTypeILi8EEEEELb0EPKS5_mNS0_19identity_decomposerEEEvT1_PT2_SH_SH_T3_jj
	.p2align	8
	.type	_ZN7rocprim17ROCPRIM_304000_NS6detail26onesweep_histograms_kernelINS1_34wrapped_radix_sort_onesweep_configINS0_14default_configE6__halfN2at4cuda3cub6detail10OpaqueTypeILi8EEEEELb0EPKS5_mNS0_19identity_decomposerEEEvT1_PT2_SH_SH_T3_jj,@function
_ZN7rocprim17ROCPRIM_304000_NS6detail26onesweep_histograms_kernelINS1_34wrapped_radix_sort_onesweep_configINS0_14default_configE6__halfN2at4cuda3cub6detail10OpaqueTypeILi8EEEEELb0EPKS5_mNS0_19identity_decomposerEEEvT1_PT2_SH_SH_T3_jj: ; @_ZN7rocprim17ROCPRIM_304000_NS6detail26onesweep_histograms_kernelINS1_34wrapped_radix_sort_onesweep_configINS0_14default_configE6__halfN2at4cuda3cub6detail10OpaqueTypeILi8EEEEELb0EPKS5_mNS0_19identity_decomposerEEEvT1_PT2_SH_SH_T3_jj
; %bb.0:
	s_load_dwordx8 s[24:31], s[4:5], 0x0
	s_load_dwordx2 s[34:35], s[4:5], 0x24
	s_mov_b32 s7, 0
	s_mul_i32 s1, s6, 0x1800
	s_mul_hi_u32 s0, s6, 0x1800
	s_waitcnt lgkmcnt(0)
	v_pk_mov_b32 v[2:3], s[30:31], s[30:31] op_sel:[0,1]
	v_cmp_ge_u64_e32 vcc, s[6:7], v[2:3]
	s_add_u32 s24, s24, s1
	s_addc_u32 s25, s25, s0
	s_mov_b64 s[0:1], -1
	v_lshlrev_b32_e32 v1, 1, v0
	s_cbranch_vccz .LBB197_86
; %bb.1:
	s_mul_i32 s0, s30, 0xfffff400
	s_add_i32 s28, s0, s28
	v_mov_b32_e32 v3, s25
	v_add_co_u32_e32 v2, vcc, s24, v1
	v_addc_co_u32_e32 v3, vcc, 0, v3, vcc
	v_cmp_gt_u32_e64 s[22:23], s28, v0
                                        ; implicit-def: $vgpr15
	s_and_saveexec_b64 s[0:1], s[22:23]
	s_cbranch_execz .LBB197_3
; %bb.2:
	global_load_ushort v15, v[2:3], off
.LBB197_3:
	s_or_b64 exec, exec, s[0:1]
	v_or_b32_e32 v4, 0x100, v0
	v_cmp_gt_u32_e64 s[20:21], s28, v4
                                        ; implicit-def: $vgpr14
	s_and_saveexec_b64 s[0:1], s[20:21]
	s_cbranch_execz .LBB197_5
; %bb.4:
	global_load_ushort v14, v[2:3], off offset:512
.LBB197_5:
	s_or_b64 exec, exec, s[0:1]
	v_or_b32_e32 v4, 0x200, v0
	v_cmp_gt_u32_e64 s[18:19], s28, v4
                                        ; implicit-def: $vgpr13
	s_and_saveexec_b64 s[0:1], s[18:19]
	s_cbranch_execz .LBB197_7
; %bb.6:
	global_load_ushort v13, v[2:3], off offset:1024
.LBB197_7:
	s_or_b64 exec, exec, s[0:1]
	v_or_b32_e32 v4, 0x300, v0
	v_cmp_gt_u32_e64 s[16:17], s28, v4
                                        ; implicit-def: $vgpr12
	s_and_saveexec_b64 s[0:1], s[16:17]
	s_cbranch_execz .LBB197_9
; %bb.8:
	global_load_ushort v12, v[2:3], off offset:1536
.LBB197_9:
	s_or_b64 exec, exec, s[0:1]
	v_or_b32_e32 v4, 0x400, v0
	v_cmp_gt_u32_e64 s[14:15], s28, v4
                                        ; implicit-def: $vgpr11
	s_and_saveexec_b64 s[0:1], s[14:15]
	s_cbranch_execz .LBB197_11
; %bb.10:
	global_load_ushort v11, v[2:3], off offset:2048
.LBB197_11:
	s_or_b64 exec, exec, s[0:1]
	v_or_b32_e32 v4, 0x500, v0
	v_cmp_gt_u32_e64 s[12:13], s28, v4
                                        ; implicit-def: $vgpr10
	s_and_saveexec_b64 s[0:1], s[12:13]
	s_cbranch_execz .LBB197_13
; %bb.12:
	global_load_ushort v10, v[2:3], off offset:2560
.LBB197_13:
	s_or_b64 exec, exec, s[0:1]
	v_or_b32_e32 v4, 0x600, v0
	v_cmp_gt_u32_e64 s[10:11], s28, v4
                                        ; implicit-def: $vgpr9
	s_and_saveexec_b64 s[0:1], s[10:11]
	s_cbranch_execz .LBB197_15
; %bb.14:
	global_load_ushort v9, v[2:3], off offset:3072
.LBB197_15:
	s_or_b64 exec, exec, s[0:1]
	v_or_b32_e32 v4, 0x700, v0
	v_cmp_gt_u32_e64 s[8:9], s28, v4
                                        ; implicit-def: $vgpr8
	s_and_saveexec_b64 s[0:1], s[8:9]
	s_cbranch_execz .LBB197_17
; %bb.16:
	global_load_ushort v8, v[2:3], off offset:3584
.LBB197_17:
	s_or_b64 exec, exec, s[0:1]
	v_or_b32_e32 v4, 0x800, v0
	v_cmp_gt_u32_e64 s[6:7], s28, v4
                                        ; implicit-def: $vgpr7
	s_and_saveexec_b64 s[0:1], s[6:7]
	s_cbranch_execz .LBB197_19
; %bb.18:
	v_add_co_u32_e32 v4, vcc, 0x1000, v2
	v_addc_co_u32_e32 v5, vcc, 0, v3, vcc
	global_load_ushort v7, v[4:5], off
.LBB197_19:
	s_or_b64 exec, exec, s[0:1]
	v_or_b32_e32 v4, 0x900, v0
	v_cmp_gt_u32_e64 s[4:5], s28, v4
                                        ; implicit-def: $vgpr6
	s_and_saveexec_b64 s[0:1], s[4:5]
	s_cbranch_execz .LBB197_21
; %bb.20:
	v_add_co_u32_e32 v4, vcc, 0x1000, v2
	v_addc_co_u32_e32 v5, vcc, 0, v3, vcc
	global_load_ushort v6, v[4:5], off offset:512
.LBB197_21:
	s_or_b64 exec, exec, s[0:1]
	v_or_b32_e32 v4, 0xa00, v0
	v_cmp_gt_u32_e64 s[2:3], s28, v4
                                        ; implicit-def: $vgpr5
	s_and_saveexec_b64 s[0:1], s[2:3]
	s_cbranch_execz .LBB197_23
; %bb.22:
	v_add_co_u32_e32 v4, vcc, 0x1000, v2
	v_addc_co_u32_e32 v5, vcc, 0, v3, vcc
	global_load_ushort v5, v[4:5], off offset:1024
.LBB197_23:
	s_or_b64 exec, exec, s[0:1]
	v_or_b32_e32 v4, 0xb00, v0
	v_cmp_gt_u32_e64 s[0:1], s28, v4
                                        ; implicit-def: $vgpr4
	s_and_saveexec_b64 s[28:29], s[0:1]
	s_cbranch_execz .LBB197_25
; %bb.24:
	v_add_co_u32_e32 v2, vcc, 0x1000, v2
	v_addc_co_u32_e32 v3, vcc, 0, v3, vcc
	global_load_ushort v4, v[2:3], off offset:1536
.LBB197_25:
	s_or_b64 exec, exec, s[28:29]
	v_lshlrev_b32_e32 v2, 2, v0
	s_mov_b32 s33, 0
	s_mov_b64 s[28:29], 0
	v_mov_b32_e32 v3, 0
	s_branch .LBB197_27
.LBB197_26:                             ;   in Loop: Header=BB197_27 Depth=1
	s_or_b64 exec, exec, s[36:37]
	s_add_i32 s33, s33, 2
	v_cmp_eq_u32_e64 s[30:31], 8, s33
	s_or_b64 s[28:29], s[30:31], s[28:29]
	v_add_u32_e32 v2, 0x800, v2
	s_andn2_b64 exec, exec, s[28:29]
	s_cbranch_execz .LBB197_31
.LBB197_27:                             ; =>This Inner Loop Header: Depth=1
	s_or_b32 s30, s33, 1
	v_cmp_le_u32_e64 s[30:31], s30, 7
	v_cmp_le_u32_e64 s[38:39], s33, 7
	s_and_saveexec_b64 s[36:37], s[38:39]
	s_cbranch_execz .LBB197_29
; %bb.28:                               ;   in Loop: Header=BB197_27 Depth=1
	ds_write_b32 v2, v3
.LBB197_29:                             ;   in Loop: Header=BB197_27 Depth=1
	s_or_b64 exec, exec, s[36:37]
	s_and_saveexec_b64 s[36:37], s[30:31]
	s_cbranch_execz .LBB197_26
; %bb.30:                               ;   in Loop: Header=BB197_27 Depth=1
	ds_write_b32 v2, v3 offset:1024
	s_branch .LBB197_26
.LBB197_31:
	s_or_b64 exec, exec, s[28:29]
	s_cmp_gt_u32 s35, s34
	s_cselect_b64 s[28:29], -1, 0
	s_cmp_le_u32 s35, s34
	s_waitcnt lgkmcnt(0)
	s_barrier
	s_cbranch_scc1 .LBB197_80
; %bb.32:
	v_mov_b32_e32 v3, 0xffff8000
	s_waitcnt vmcnt(0)
	v_cmp_lt_i16_e32 vcc, -1, v15
	v_cndmask_b32_e32 v16, -1, v3, vcc
	v_and_b32_e32 v2, 3, v0
	v_xor_b32_e32 v15, v16, v15
	s_movk_i32 s30, 0x7fff
	v_cmp_ne_u16_e32 vcc, s30, v15
	v_lshlrev_b32_e32 v2, 2, v2
	s_sub_i32 s33, s35, s34
	v_cndmask_b32_e32 v3, v3, v15, vcc
	v_mov_b32_e32 v15, 1
	s_mov_b32 s36, s33
	v_mov_b32_e32 v16, v2
	s_mov_b32 s37, s34
	s_branch .LBB197_34
.LBB197_33:                             ;   in Loop: Header=BB197_34 Depth=1
	s_or_b64 exec, exec, s[30:31]
	s_add_i32 s37, s37, 8
	s_add_i32 s36, s36, -8
	s_cmp_ge_u32 s37, s35
	v_add_u32_e32 v16, 0x1000, v16
	s_cbranch_scc1 .LBB197_36
.LBB197_34:                             ; =>This Inner Loop Header: Depth=1
	s_and_saveexec_b64 s[30:31], s[22:23]
	s_cbranch_execz .LBB197_33
; %bb.35:                               ;   in Loop: Header=BB197_34 Depth=1
	s_min_u32 s38, s36, 8
	v_lshrrev_b32_sdwa v17, s37, v3 dst_sel:DWORD dst_unused:UNUSED_PAD src0_sel:DWORD src1_sel:WORD_0
	v_bfe_u32 v17, v17, 0, s38
	v_lshl_add_u32 v17, v17, 4, v16
	ds_add_u32 v17, v15
	s_branch .LBB197_33
.LBB197_36:
	v_mov_b32_e32 v3, 0xffff8000
	v_cmp_lt_i16_e32 vcc, -1, v14
	v_cndmask_b32_e32 v15, -1, v3, vcc
	v_xor_b32_e32 v14, v15, v14
	s_movk_i32 s22, 0x7fff
	v_cmp_ne_u16_e32 vcc, s22, v14
	v_cndmask_b32_e32 v3, v3, v14, vcc
	v_mov_b32_e32 v14, 1
	s_mov_b32 s30, s33
	v_mov_b32_e32 v15, v2
	s_mov_b32 s31, s34
	s_branch .LBB197_38
.LBB197_37:                             ;   in Loop: Header=BB197_38 Depth=1
	s_or_b64 exec, exec, s[22:23]
	s_add_i32 s31, s31, 8
	s_add_i32 s30, s30, -8
	s_cmp_lt_u32 s31, s35
	v_add_u32_e32 v15, 0x1000, v15
	s_cbranch_scc0 .LBB197_40
.LBB197_38:                             ; =>This Inner Loop Header: Depth=1
	s_and_saveexec_b64 s[22:23], s[20:21]
	s_cbranch_execz .LBB197_37
; %bb.39:                               ;   in Loop: Header=BB197_38 Depth=1
	s_min_u32 s36, s30, 8
	v_lshrrev_b32_sdwa v16, s31, v3 dst_sel:DWORD dst_unused:UNUSED_PAD src0_sel:DWORD src1_sel:WORD_0
	v_bfe_u32 v16, v16, 0, s36
	v_lshl_add_u32 v16, v16, 4, v15
	ds_add_u32 v16, v14
	s_branch .LBB197_37
.LBB197_40:
	v_mov_b32_e32 v3, 0xffff8000
	v_cmp_lt_i16_e32 vcc, -1, v13
	v_cndmask_b32_e32 v14, -1, v3, vcc
	v_xor_b32_e32 v13, v14, v13
	s_movk_i32 s20, 0x7fff
	v_cmp_ne_u16_e32 vcc, s20, v13
	v_cndmask_b32_e32 v3, v3, v13, vcc
	v_mov_b32_e32 v13, 1
	s_mov_b32 s22, s33
	v_mov_b32_e32 v14, v2
	s_mov_b32 s23, s34
	s_branch .LBB197_42
.LBB197_41:                             ;   in Loop: Header=BB197_42 Depth=1
	s_or_b64 exec, exec, s[20:21]
	s_add_i32 s23, s23, 8
	s_add_i32 s22, s22, -8
	s_cmp_lt_u32 s23, s35
	v_add_u32_e32 v14, 0x1000, v14
	s_cbranch_scc0 .LBB197_44
.LBB197_42:                             ; =>This Inner Loop Header: Depth=1
	s_and_saveexec_b64 s[20:21], s[18:19]
	s_cbranch_execz .LBB197_41
; %bb.43:                               ;   in Loop: Header=BB197_42 Depth=1
	s_min_u32 s30, s22, 8
	v_lshrrev_b32_sdwa v15, s23, v3 dst_sel:DWORD dst_unused:UNUSED_PAD src0_sel:DWORD src1_sel:WORD_0
	v_bfe_u32 v15, v15, 0, s30
	v_lshl_add_u32 v15, v15, 4, v14
	ds_add_u32 v15, v13
	s_branch .LBB197_41
.LBB197_44:
	;; [unrolled: 30-line block ×10, first 2 shown]
	v_mov_b32_e32 v3, 0xffff8000
	v_cmp_lt_i16_e32 vcc, -1, v4
	v_cndmask_b32_e32 v5, -1, v3, vcc
	v_xor_b32_e32 v4, v5, v4
	s_movk_i32 s2, 0x7fff
	v_cmp_ne_u16_e32 vcc, s2, v4
	v_cndmask_b32_e32 v3, v3, v4, vcc
	v_mov_b32_e32 v4, 1
	s_mov_b32 s4, s34
	s_branch .LBB197_78
.LBB197_77:                             ;   in Loop: Header=BB197_78 Depth=1
	s_or_b64 exec, exec, s[2:3]
	s_add_i32 s4, s4, 8
	s_add_i32 s33, s33, -8
	s_cmp_lt_u32 s4, s35
	v_add_u32_e32 v2, 0x1000, v2
	s_cbranch_scc0 .LBB197_80
.LBB197_78:                             ; =>This Inner Loop Header: Depth=1
	s_and_saveexec_b64 s[2:3], s[0:1]
	s_cbranch_execz .LBB197_77
; %bb.79:                               ;   in Loop: Header=BB197_78 Depth=1
	s_min_u32 s5, s33, 8
	v_lshrrev_b32_sdwa v5, s4, v3 dst_sel:DWORD dst_unused:UNUSED_PAD src0_sel:DWORD src1_sel:WORD_0
	v_bfe_u32 v5, v5, 0, s5
	v_lshl_add_u32 v5, v5, 4, v2
	ds_add_u32 v5, v4
	s_branch .LBB197_77
.LBB197_80:
	s_and_b64 vcc, exec, s[28:29]
	s_waitcnt lgkmcnt(0)
	s_barrier
	s_cbranch_vccz .LBB197_85
; %bb.81:
	s_movk_i32 s0, 0x100
	v_cmp_gt_u32_e32 vcc, s0, v0
	s_waitcnt vmcnt(0)
	v_lshlrev_b32_e32 v4, 4, v0
	v_mov_b32_e32 v3, 0
	v_mov_b32_e32 v2, v0
	s_mov_b32 s4, s34
	s_branch .LBB197_83
.LBB197_82:                             ;   in Loop: Header=BB197_83 Depth=1
	s_or_b64 exec, exec, s[2:3]
	s_add_i32 s4, s4, 8
	v_add_u32_e32 v2, 0x100, v2
	s_cmp_lt_u32 s4, s35
	v_add_u32_e32 v4, 0x1000, v4
	s_cbranch_scc0 .LBB197_85
.LBB197_83:                             ; =>This Inner Loop Header: Depth=1
	s_and_saveexec_b64 s[2:3], vcc
	s_cbranch_execz .LBB197_82
; %bb.84:                               ;   in Loop: Header=BB197_83 Depth=1
	ds_read2_b32 v[6:7], v4 offset1:1
	ds_read2_b32 v[8:9], v4 offset0:2 offset1:3
	v_lshlrev_b64 v[10:11], 3, v[2:3]
	v_mov_b32_e32 v5, s27
	s_waitcnt lgkmcnt(1)
	v_add_u32_e32 v6, v7, v6
	s_waitcnt lgkmcnt(0)
	v_add3_u32 v6, v6, v8, v9
	v_add_co_u32_e64 v8, s[0:1], s26, v10
	v_addc_co_u32_e64 v9, s[0:1], v5, v11, s[0:1]
	v_mov_b32_e32 v7, v3
	global_atomic_add_x2 v[8:9], v[6:7], off
	s_branch .LBB197_82
.LBB197_85:
	s_mov_b64 s[0:1], 0
.LBB197_86:
	s_and_b64 vcc, exec, s[0:1]
	s_cbranch_vccz .LBB197_134
; %bb.87:
	v_mov_b32_e32 v2, s25
	v_add_co_u32_e32 v3, vcc, s24, v1
	s_waitcnt vmcnt(0)
	v_addc_co_u32_e32 v4, vcc, 0, v2, vcc
	global_load_ushort v14, v1, s[24:25] offset:512
	global_load_ushort v13, v1, s[24:25] offset:1024
	;; [unrolled: 1-line block ×7, first 2 shown]
	v_add_co_u32_e32 v2, vcc, 0x1000, v3
	v_addc_co_u32_e32 v3, vcc, 0, v4, vcc
	global_load_ushort v9, v[2:3], off
	global_load_ushort v7, v[2:3], off offset:512
	global_load_ushort v5, v[2:3], off offset:1024
	global_load_ushort v15, v1, s[24:25]
	global_load_ushort v4, v[2:3], off offset:1536
	s_cmp_eq_u32 s34, 0
	s_cselect_b64 s[0:1], -1, 0
	s_cmp_eq_u32 s35, 16
	s_cselect_b64 s[2:3], -1, 0
	s_and_b64 s[2:3], s[0:1], s[2:3]
	s_mov_b32 s6, 0
	s_mov_b64 s[0:1], -1
	s_and_b64 vcc, exec, s[2:3]
	v_lshlrev_b32_e32 v1, 2, v0
	s_cbranch_vccnz .LBB197_125
; %bb.88:
	v_lshlrev_b32_e32 v2, 2, v0
	s_mov_b64 s[0:1], 0
	v_mov_b32_e32 v3, 0
	s_branch .LBB197_90
.LBB197_89:                             ;   in Loop: Header=BB197_90 Depth=1
	s_or_b64 exec, exec, s[4:5]
	s_add_i32 s6, s6, 2
	v_cmp_eq_u32_e64 s[2:3], 8, s6
	s_or_b64 s[0:1], s[2:3], s[0:1]
	v_add_u32_e32 v2, 0x800, v2
	s_andn2_b64 exec, exec, s[0:1]
	s_cbranch_execz .LBB197_94
.LBB197_90:                             ; =>This Inner Loop Header: Depth=1
	s_or_b32 s2, s6, 1
	v_cmp_le_u32_e64 s[2:3], s2, 7
	v_cmp_le_u32_e64 s[8:9], s6, 7
	s_and_saveexec_b64 s[4:5], s[8:9]
	s_cbranch_execz .LBB197_92
; %bb.91:                               ;   in Loop: Header=BB197_90 Depth=1
	ds_write_b32 v2, v3
.LBB197_92:                             ;   in Loop: Header=BB197_90 Depth=1
	s_or_b64 exec, exec, s[4:5]
	s_and_saveexec_b64 s[4:5], s[2:3]
	s_cbranch_execz .LBB197_89
; %bb.93:                               ;   in Loop: Header=BB197_90 Depth=1
	ds_write_b32 v2, v3 offset:1024
	s_branch .LBB197_89
.LBB197_94:
	s_or_b64 exec, exec, s[0:1]
	s_cmp_gt_u32 s35, s34
	s_cselect_b64 s[0:1], -1, 0
	s_cmp_le_u32 s35, s34
	s_waitcnt lgkmcnt(0)
	s_barrier
	s_cbranch_scc1 .LBB197_119
; %bb.95:
	v_mov_b32_e32 v3, 0xffff8000
	s_waitcnt vmcnt(1)
	v_cmp_lt_i16_e32 vcc, -1, v15
	v_cndmask_b32_e32 v16, -1, v3, vcc
	v_and_b32_e32 v2, 3, v0
	v_xor_b32_e32 v16, v16, v15
	s_movk_i32 s2, 0x7fff
	v_cmp_ne_u16_e32 vcc, s2, v16
	v_lshlrev_b32_e32 v2, 2, v2
	s_sub_i32 s2, s35, s34
	v_cndmask_b32_e32 v3, v3, v16, vcc
	v_mov_b32_e32 v16, 1
	s_mov_b32 s3, s2
	v_mov_b32_e32 v17, v2
	s_mov_b32 s4, s34
.LBB197_96:                             ; =>This Inner Loop Header: Depth=1
	s_min_u32 s5, s3, 8
	v_lshrrev_b32_sdwa v18, s4, v3 dst_sel:DWORD dst_unused:UNUSED_PAD src0_sel:DWORD src1_sel:WORD_0
	v_bfe_u32 v18, v18, 0, s5
	v_lshl_add_u32 v18, v18, 4, v17
	ds_add_u32 v18, v16
	s_add_i32 s4, s4, 8
	s_add_i32 s3, s3, -8
	s_cmp_ge_u32 s4, s35
	v_add_u32_e32 v17, 0x1000, v17
	s_cbranch_scc0 .LBB197_96
; %bb.97:
	v_mov_b32_e32 v3, 0xffff8000
	v_cmp_lt_i16_e32 vcc, -1, v14
	v_cndmask_b32_e32 v16, -1, v3, vcc
	v_xor_b32_e32 v16, v16, v14
	s_movk_i32 s3, 0x7fff
	v_cmp_ne_u16_e32 vcc, s3, v16
	v_cndmask_b32_e32 v3, v3, v16, vcc
	v_mov_b32_e32 v16, 1
	s_mov_b32 s3, s2
	v_mov_b32_e32 v17, v2
	s_mov_b32 s4, s34
.LBB197_98:                             ; =>This Inner Loop Header: Depth=1
	s_min_u32 s5, s3, 8
	v_lshrrev_b32_sdwa v18, s4, v3 dst_sel:DWORD dst_unused:UNUSED_PAD src0_sel:DWORD src1_sel:WORD_0
	v_bfe_u32 v18, v18, 0, s5
	v_lshl_add_u32 v18, v18, 4, v17
	ds_add_u32 v18, v16
	s_add_i32 s4, s4, 8
	s_add_i32 s3, s3, -8
	s_cmp_lt_u32 s4, s35
	v_add_u32_e32 v17, 0x1000, v17
	s_cbranch_scc1 .LBB197_98
; %bb.99:
	v_mov_b32_e32 v3, 0xffff8000
	v_cmp_lt_i16_e32 vcc, -1, v13
	v_cndmask_b32_e32 v16, -1, v3, vcc
	v_xor_b32_e32 v16, v16, v13
	s_movk_i32 s3, 0x7fff
	v_cmp_ne_u16_e32 vcc, s3, v16
	v_cndmask_b32_e32 v3, v3, v16, vcc
	v_mov_b32_e32 v16, 1
	s_mov_b32 s3, s2
	v_mov_b32_e32 v17, v2
	s_mov_b32 s4, s34
.LBB197_100:                            ; =>This Inner Loop Header: Depth=1
	s_min_u32 s5, s3, 8
	v_lshrrev_b32_sdwa v18, s4, v3 dst_sel:DWORD dst_unused:UNUSED_PAD src0_sel:DWORD src1_sel:WORD_0
	v_bfe_u32 v18, v18, 0, s5
	v_lshl_add_u32 v18, v18, 4, v17
	ds_add_u32 v18, v16
	s_add_i32 s4, s4, 8
	s_add_i32 s3, s3, -8
	s_cmp_lt_u32 s4, s35
	v_add_u32_e32 v17, 0x1000, v17
	s_cbranch_scc1 .LBB197_100
; %bb.101:
	v_mov_b32_e32 v3, 0xffff8000
	v_cmp_lt_i16_e32 vcc, -1, v12
	v_cndmask_b32_e32 v16, -1, v3, vcc
	v_xor_b32_e32 v16, v16, v12
	s_movk_i32 s3, 0x7fff
	v_cmp_ne_u16_e32 vcc, s3, v16
	v_cndmask_b32_e32 v3, v3, v16, vcc
	v_mov_b32_e32 v16, 1
	s_mov_b32 s3, s2
	v_mov_b32_e32 v17, v2
	s_mov_b32 s4, s34
.LBB197_102:                            ; =>This Inner Loop Header: Depth=1
	s_min_u32 s5, s3, 8
	v_lshrrev_b32_sdwa v18, s4, v3 dst_sel:DWORD dst_unused:UNUSED_PAD src0_sel:DWORD src1_sel:WORD_0
	v_bfe_u32 v18, v18, 0, s5
	v_lshl_add_u32 v18, v18, 4, v17
	ds_add_u32 v18, v16
	s_add_i32 s4, s4, 8
	s_add_i32 s3, s3, -8
	s_cmp_lt_u32 s4, s35
	v_add_u32_e32 v17, 0x1000, v17
	s_cbranch_scc1 .LBB197_102
	;; [unrolled: 23-line block ×9, first 2 shown]
; %bb.117:
	v_mov_b32_e32 v3, 0xffff8000
	s_waitcnt vmcnt(0)
	v_cmp_lt_i16_e32 vcc, -1, v4
	v_cndmask_b32_e32 v16, -1, v3, vcc
	v_xor_b32_e32 v16, v16, v4
	s_movk_i32 s3, 0x7fff
	v_cmp_ne_u16_e32 vcc, s3, v16
	v_cndmask_b32_e32 v3, v3, v16, vcc
	v_mov_b32_e32 v16, 1
	s_mov_b32 s3, s34
.LBB197_118:                            ; =>This Inner Loop Header: Depth=1
	s_min_u32 s4, s2, 8
	v_lshrrev_b32_sdwa v17, s3, v3 dst_sel:DWORD dst_unused:UNUSED_PAD src0_sel:DWORD src1_sel:WORD_0
	v_bfe_u32 v17, v17, 0, s4
	v_lshl_add_u32 v17, v17, 4, v2
	ds_add_u32 v17, v16
	s_add_i32 s3, s3, 8
	s_add_i32 s2, s2, -8
	s_cmp_lt_u32 s3, s35
	v_add_u32_e32 v2, 0x1000, v2
	s_cbranch_scc1 .LBB197_118
.LBB197_119:
	s_and_b64 vcc, exec, s[0:1]
	s_waitcnt lgkmcnt(0)
	s_barrier
	s_cbranch_vccz .LBB197_124
; %bb.120:
	s_movk_i32 s0, 0x100
	v_cmp_gt_u32_e32 vcc, s0, v0
	v_lshlrev_b32_e32 v16, 4, v0
	v_mov_b32_e32 v3, 0
	v_mov_b32_e32 v2, v0
	s_branch .LBB197_122
.LBB197_121:                            ;   in Loop: Header=BB197_122 Depth=1
	s_or_b64 exec, exec, s[2:3]
	s_add_i32 s34, s34, 8
	v_add_u32_e32 v2, 0x100, v2
	s_cmp_ge_u32 s34, s35
	v_add_u32_e32 v16, 0x1000, v16
	s_cbranch_scc1 .LBB197_124
.LBB197_122:                            ; =>This Inner Loop Header: Depth=1
	s_and_saveexec_b64 s[2:3], vcc
	s_cbranch_execz .LBB197_121
; %bb.123:                              ;   in Loop: Header=BB197_122 Depth=1
	ds_read2_b32 v[18:19], v16 offset1:1
	ds_read2_b32 v[20:21], v16 offset0:2 offset1:3
	v_lshlrev_b64 v[22:23], 3, v[2:3]
	v_mov_b32_e32 v17, s27
	s_waitcnt lgkmcnt(1)
	v_add_u32_e32 v18, v19, v18
	s_waitcnt lgkmcnt(0)
	v_add3_u32 v18, v18, v20, v21
	v_add_co_u32_e64 v20, s[0:1], s26, v22
	v_addc_co_u32_e64 v21, s[0:1], v17, v23, s[0:1]
	v_mov_b32_e32 v19, v3
	global_atomic_add_x2 v[20:21], v[18:19], off
	s_branch .LBB197_121
.LBB197_124:
	s_mov_b64 s[0:1], 0
.LBB197_125:
	s_and_b64 vcc, exec, s[0:1]
	s_cbranch_vccz .LBB197_134
; %bb.126:
	s_mov_b32 s6, 0
	s_mov_b64 s[0:1], 0
	v_mov_b32_e32 v2, 0
	v_mov_b32_e32 v3, v1
	s_branch .LBB197_128
.LBB197_127:                            ;   in Loop: Header=BB197_128 Depth=1
	s_or_b64 exec, exec, s[4:5]
	s_add_i32 s6, s6, 2
	v_cmp_eq_u32_e64 s[2:3], 8, s6
	s_or_b64 s[0:1], s[2:3], s[0:1]
	v_add_u32_e32 v3, 0x800, v3
	s_andn2_b64 exec, exec, s[0:1]
	s_cbranch_execz .LBB197_132
.LBB197_128:                            ; =>This Inner Loop Header: Depth=1
	s_or_b32 s2, s6, 1
	v_cmp_le_u32_e64 s[2:3], s2, 7
	v_cmp_le_u32_e64 s[8:9], s6, 7
	s_and_saveexec_b64 s[4:5], s[8:9]
	s_cbranch_execz .LBB197_130
; %bb.129:                              ;   in Loop: Header=BB197_128 Depth=1
	ds_write_b32 v3, v2
.LBB197_130:                            ;   in Loop: Header=BB197_128 Depth=1
	s_or_b64 exec, exec, s[4:5]
	s_and_saveexec_b64 s[4:5], s[2:3]
	s_cbranch_execz .LBB197_127
; %bb.131:                              ;   in Loop: Header=BB197_128 Depth=1
	ds_write_b32 v3, v2 offset:1024
	s_branch .LBB197_127
.LBB197_132:
	s_or_b64 exec, exec, s[0:1]
	v_mov_b32_e32 v2, 0xffff8000
	s_waitcnt vmcnt(1)
	v_cmp_lt_i16_e32 vcc, -1, v15
	v_cndmask_b32_e32 v3, -1, v2, vcc
	v_cmp_lt_i16_e32 vcc, -1, v14
	v_xor_b32_e32 v3, v3, v15
	v_cndmask_b32_e32 v15, -1, v2, vcc
	v_cmp_lt_i16_e32 vcc, -1, v13
	v_xor_b32_e32 v14, v15, v14
	;; [unrolled: 3-line block ×10, first 2 shown]
	v_cndmask_b32_e32 v15, -1, v2, vcc
	s_waitcnt vmcnt(0)
	v_cmp_lt_i16_e32 vcc, -1, v4
	s_movk_i32 s0, 0x7fff
	v_xor_b32_e32 v5, v15, v5
	v_cndmask_b32_e32 v15, -1, v2, vcc
	v_cmp_ne_u16_e32 vcc, s0, v3
	v_cndmask_b32_e32 v3, v2, v3, vcc
	v_and_b32_e32 v3, 0xffff, v3
	v_xor_b32_e32 v4, v15, v4
	v_and_b32_e32 v15, 3, v0
	v_lshlrev_b32_e32 v16, 2, v3
	s_movk_i32 s1, 0x3fc
	v_and_or_b32 v16, v16, s1, v15
	v_bfe_u32 v3, v3, 8, 8
	v_lshlrev_b32_e32 v16, 2, v16
	v_mov_b32_e32 v17, 1
	v_lshl_or_b32 v3, v3, 2, v15
	s_waitcnt lgkmcnt(0)
	s_barrier
	ds_add_u32 v16, v17
	v_lshlrev_b32_e32 v3, 2, v3
	v_cmp_ne_u16_e32 vcc, s0, v14
	ds_add_u32 v3, v17 offset:4096
	v_cndmask_b32_e32 v3, v2, v14, vcc
	v_and_b32_e32 v3, 0xffff, v3
	v_lshlrev_b32_e32 v14, 2, v3
	v_and_or_b32 v14, v14, s1, v15
	v_bfe_u32 v3, v3, 8, 8
	v_lshlrev_b32_e32 v14, 2, v14
	v_lshl_or_b32 v3, v3, 2, v15
	ds_add_u32 v14, v17
	v_lshlrev_b32_e32 v3, 2, v3
	v_cmp_ne_u16_e32 vcc, s0, v13
	ds_add_u32 v3, v17 offset:4096
	v_cndmask_b32_e32 v3, v2, v13, vcc
	v_and_b32_e32 v3, 0xffff, v3
	v_lshlrev_b32_e32 v13, 2, v3
	v_and_or_b32 v13, v13, s1, v15
	v_bfe_u32 v3, v3, 8, 8
	v_lshlrev_b32_e32 v13, 2, v13
	v_lshl_or_b32 v3, v3, 2, v15
	;; [unrolled: 11-line block ×9, first 2 shown]
	ds_add_u32 v6, v17
	v_lshlrev_b32_e32 v3, 2, v3
	v_cmp_ne_u16_e32 vcc, s0, v5
	ds_add_u32 v3, v17 offset:4096
	v_cndmask_b32_e32 v3, v2, v5, vcc
	v_and_b32_e32 v3, 0xffff, v3
	v_lshlrev_b32_e32 v5, 2, v3
	v_and_or_b32 v5, v5, s1, v15
	v_bfe_u32 v3, v3, 8, 8
	v_cmp_ne_u16_e32 vcc, s0, v4
	v_lshlrev_b32_e32 v5, 2, v5
	v_lshl_or_b32 v3, v3, 2, v15
	v_cndmask_b32_e32 v2, v2, v4, vcc
	ds_add_u32 v5, v17
	v_lshlrev_b32_e32 v3, 2, v3
	v_and_b32_e32 v2, 0xffff, v2
	ds_add_u32 v3, v17 offset:4096
	v_lshlrev_b32_e32 v3, 2, v2
	v_and_or_b32 v3, v3, s1, v15
	v_bfe_u32 v2, v2, 8, 8
	v_lshlrev_b32_e32 v3, 2, v3
	v_lshl_or_b32 v2, v2, 2, v15
	ds_add_u32 v3, v17
	v_lshlrev_b32_e32 v2, 2, v2
	ds_add_u32 v2, v17 offset:4096
	s_movk_i32 s0, 0x100
	v_cmp_gt_u32_e32 vcc, s0, v0
	s_waitcnt lgkmcnt(0)
	s_barrier
	s_and_saveexec_b64 s[0:1], vcc
	s_cbranch_execz .LBB197_134
; %bb.133:
	v_lshlrev_b32_e32 v6, 2, v1
	ds_read2_b32 v[2:3], v6 offset1:1
	ds_read2_b32 v[4:5], v6 offset0:2 offset1:3
	v_lshlrev_b32_e32 v7, 3, v0
	v_mov_b32_e32 v1, 0
	v_or_b32_e32 v8, 0x1000, v6
	s_waitcnt lgkmcnt(1)
	v_add_u32_e32 v0, v3, v2
	s_waitcnt lgkmcnt(0)
	v_add3_u32 v0, v0, v4, v5
	global_atomic_add_x2 v7, v[0:1], s[26:27]
	v_add_u32_e32 v0, 0x1008, v6
	ds_read2_b32 v[2:3], v8 offset1:1
	ds_read2_b32 v[4:5], v0 offset1:1
	s_waitcnt lgkmcnt(1)
	v_add_u32_e32 v0, v3, v2
	s_waitcnt lgkmcnt(0)
	v_add3_u32 v0, v0, v4, v5
	global_atomic_add_x2 v7, v[0:1], s[26:27] offset:2048
.LBB197_134:
	s_endpgm
	.section	.rodata,"a",@progbits
	.p2align	6, 0x0
	.amdhsa_kernel _ZN7rocprim17ROCPRIM_304000_NS6detail26onesweep_histograms_kernelINS1_34wrapped_radix_sort_onesweep_configINS0_14default_configE6__halfN2at4cuda3cub6detail10OpaqueTypeILi8EEEEELb0EPKS5_mNS0_19identity_decomposerEEEvT1_PT2_SH_SH_T3_jj
		.amdhsa_group_segment_fixed_size 8192
		.amdhsa_private_segment_fixed_size 0
		.amdhsa_kernarg_size 44
		.amdhsa_user_sgpr_count 6
		.amdhsa_user_sgpr_private_segment_buffer 1
		.amdhsa_user_sgpr_dispatch_ptr 0
		.amdhsa_user_sgpr_queue_ptr 0
		.amdhsa_user_sgpr_kernarg_segment_ptr 1
		.amdhsa_user_sgpr_dispatch_id 0
		.amdhsa_user_sgpr_flat_scratch_init 0
		.amdhsa_user_sgpr_kernarg_preload_length 0
		.amdhsa_user_sgpr_kernarg_preload_offset 0
		.amdhsa_user_sgpr_private_segment_size 0
		.amdhsa_uses_dynamic_stack 0
		.amdhsa_system_sgpr_private_segment_wavefront_offset 0
		.amdhsa_system_sgpr_workgroup_id_x 1
		.amdhsa_system_sgpr_workgroup_id_y 0
		.amdhsa_system_sgpr_workgroup_id_z 0
		.amdhsa_system_sgpr_workgroup_info 0
		.amdhsa_system_vgpr_workitem_id 0
		.amdhsa_next_free_vgpr 24
		.amdhsa_next_free_sgpr 40
		.amdhsa_accum_offset 24
		.amdhsa_reserve_vcc 1
		.amdhsa_reserve_flat_scratch 0
		.amdhsa_float_round_mode_32 0
		.amdhsa_float_round_mode_16_64 0
		.amdhsa_float_denorm_mode_32 3
		.amdhsa_float_denorm_mode_16_64 3
		.amdhsa_dx10_clamp 1
		.amdhsa_ieee_mode 1
		.amdhsa_fp16_overflow 0
		.amdhsa_tg_split 0
		.amdhsa_exception_fp_ieee_invalid_op 0
		.amdhsa_exception_fp_denorm_src 0
		.amdhsa_exception_fp_ieee_div_zero 0
		.amdhsa_exception_fp_ieee_overflow 0
		.amdhsa_exception_fp_ieee_underflow 0
		.amdhsa_exception_fp_ieee_inexact 0
		.amdhsa_exception_int_div_zero 0
	.end_amdhsa_kernel
	.section	.text._ZN7rocprim17ROCPRIM_304000_NS6detail26onesweep_histograms_kernelINS1_34wrapped_radix_sort_onesweep_configINS0_14default_configE6__halfN2at4cuda3cub6detail10OpaqueTypeILi8EEEEELb0EPKS5_mNS0_19identity_decomposerEEEvT1_PT2_SH_SH_T3_jj,"axG",@progbits,_ZN7rocprim17ROCPRIM_304000_NS6detail26onesweep_histograms_kernelINS1_34wrapped_radix_sort_onesweep_configINS0_14default_configE6__halfN2at4cuda3cub6detail10OpaqueTypeILi8EEEEELb0EPKS5_mNS0_19identity_decomposerEEEvT1_PT2_SH_SH_T3_jj,comdat
.Lfunc_end197:
	.size	_ZN7rocprim17ROCPRIM_304000_NS6detail26onesweep_histograms_kernelINS1_34wrapped_radix_sort_onesweep_configINS0_14default_configE6__halfN2at4cuda3cub6detail10OpaqueTypeILi8EEEEELb0EPKS5_mNS0_19identity_decomposerEEEvT1_PT2_SH_SH_T3_jj, .Lfunc_end197-_ZN7rocprim17ROCPRIM_304000_NS6detail26onesweep_histograms_kernelINS1_34wrapped_radix_sort_onesweep_configINS0_14default_configE6__halfN2at4cuda3cub6detail10OpaqueTypeILi8EEEEELb0EPKS5_mNS0_19identity_decomposerEEEvT1_PT2_SH_SH_T3_jj
                                        ; -- End function
	.section	.AMDGPU.csdata,"",@progbits
; Kernel info:
; codeLenInByte = 5484
; NumSgprs: 44
; NumVgprs: 24
; NumAgprs: 0
; TotalNumVgprs: 24
; ScratchSize: 0
; MemoryBound: 0
; FloatMode: 240
; IeeeMode: 1
; LDSByteSize: 8192 bytes/workgroup (compile time only)
; SGPRBlocks: 5
; VGPRBlocks: 2
; NumSGPRsForWavesPerEU: 44
; NumVGPRsForWavesPerEU: 24
; AccumOffset: 24
; Occupancy: 8
; WaveLimiterHint : 1
; COMPUTE_PGM_RSRC2:SCRATCH_EN: 0
; COMPUTE_PGM_RSRC2:USER_SGPR: 6
; COMPUTE_PGM_RSRC2:TRAP_HANDLER: 0
; COMPUTE_PGM_RSRC2:TGID_X_EN: 1
; COMPUTE_PGM_RSRC2:TGID_Y_EN: 0
; COMPUTE_PGM_RSRC2:TGID_Z_EN: 0
; COMPUTE_PGM_RSRC2:TIDIG_COMP_CNT: 0
; COMPUTE_PGM_RSRC3_GFX90A:ACCUM_OFFSET: 5
; COMPUTE_PGM_RSRC3_GFX90A:TG_SPLIT: 0
	.section	.text._ZN7rocprim17ROCPRIM_304000_NS6detail25onesweep_iteration_kernelINS1_34wrapped_radix_sort_onesweep_configINS0_14default_configE6__halfN2at4cuda3cub6detail10OpaqueTypeILi8EEEEELb0EPKS5_PS5_PKSB_PSB_mNS0_19identity_decomposerEEEvT1_T2_T3_T4_jPT5_SP_PNS1_23onesweep_lookback_stateET6_jjj,"axG",@progbits,_ZN7rocprim17ROCPRIM_304000_NS6detail25onesweep_iteration_kernelINS1_34wrapped_radix_sort_onesweep_configINS0_14default_configE6__halfN2at4cuda3cub6detail10OpaqueTypeILi8EEEEELb0EPKS5_PS5_PKSB_PSB_mNS0_19identity_decomposerEEEvT1_T2_T3_T4_jPT5_SP_PNS1_23onesweep_lookback_stateET6_jjj,comdat
	.protected	_ZN7rocprim17ROCPRIM_304000_NS6detail25onesweep_iteration_kernelINS1_34wrapped_radix_sort_onesweep_configINS0_14default_configE6__halfN2at4cuda3cub6detail10OpaqueTypeILi8EEEEELb0EPKS5_PS5_PKSB_PSB_mNS0_19identity_decomposerEEEvT1_T2_T3_T4_jPT5_SP_PNS1_23onesweep_lookback_stateET6_jjj ; -- Begin function _ZN7rocprim17ROCPRIM_304000_NS6detail25onesweep_iteration_kernelINS1_34wrapped_radix_sort_onesweep_configINS0_14default_configE6__halfN2at4cuda3cub6detail10OpaqueTypeILi8EEEEELb0EPKS5_PS5_PKSB_PSB_mNS0_19identity_decomposerEEEvT1_T2_T3_T4_jPT5_SP_PNS1_23onesweep_lookback_stateET6_jjj
	.globl	_ZN7rocprim17ROCPRIM_304000_NS6detail25onesweep_iteration_kernelINS1_34wrapped_radix_sort_onesweep_configINS0_14default_configE6__halfN2at4cuda3cub6detail10OpaqueTypeILi8EEEEELb0EPKS5_PS5_PKSB_PSB_mNS0_19identity_decomposerEEEvT1_T2_T3_T4_jPT5_SP_PNS1_23onesweep_lookback_stateET6_jjj
	.p2align	8
	.type	_ZN7rocprim17ROCPRIM_304000_NS6detail25onesweep_iteration_kernelINS1_34wrapped_radix_sort_onesweep_configINS0_14default_configE6__halfN2at4cuda3cub6detail10OpaqueTypeILi8EEEEELb0EPKS5_PS5_PKSB_PSB_mNS0_19identity_decomposerEEEvT1_T2_T3_T4_jPT5_SP_PNS1_23onesweep_lookback_stateET6_jjj,@function
_ZN7rocprim17ROCPRIM_304000_NS6detail25onesweep_iteration_kernelINS1_34wrapped_radix_sort_onesweep_configINS0_14default_configE6__halfN2at4cuda3cub6detail10OpaqueTypeILi8EEEEELb0EPKS5_PS5_PKSB_PSB_mNS0_19identity_decomposerEEEvT1_T2_T3_T4_jPT5_SP_PNS1_23onesweep_lookback_stateET6_jjj: ; @_ZN7rocprim17ROCPRIM_304000_NS6detail25onesweep_iteration_kernelINS1_34wrapped_radix_sort_onesweep_configINS0_14default_configE6__halfN2at4cuda3cub6detail10OpaqueTypeILi8EEEEELb0EPKS5_PS5_PKSB_PSB_mNS0_19identity_decomposerEEEvT1_T2_T3_T4_jPT5_SP_PNS1_23onesweep_lookback_stateET6_jjj
; %bb.0:
	s_load_dwordx4 s[68:71], s[4:5], 0x44
	s_load_dwordx8 s[56:63], s[4:5], 0x0
	s_load_dwordx4 s[64:67], s[4:5], 0x28
	s_load_dwordx2 s[72:73], s[4:5], 0x38
	s_mov_b32 s7, s6
	s_waitcnt lgkmcnt(0)
	s_cmp_ge_u32 s6, s70
	s_mul_i32 s54, s6, 0xc00
	v_mbcnt_lo_u32_b32 v1, -1, 0
	s_cbranch_scc0 .LBB198_129
; %bb.1:
	s_load_dword s2, s[4:5], 0x20
	s_mulk_i32 s70, 0xf400
	s_mov_b32 s55, 0
	s_lshl_b64 s[0:1], s[54:55], 1
	v_and_b32_e32 v2, 0x3ff, v0
	s_waitcnt lgkmcnt(0)
	s_add_i32 s70, s70, s2
	s_add_u32 s0, s56, s0
	v_mbcnt_hi_u32_b32 v13, -1, v1
	s_addc_u32 s1, s57, s1
	v_and_b32_e32 v3, 0xc0, v2
	v_lshlrev_b32_e32 v4, 1, v13
	v_mul_u32_u24_e32 v12, 12, v3
	v_mov_b32_e32 v5, s1
	v_add_co_u32_e32 v4, vcc, s0, v4
	v_addc_co_u32_e32 v5, vcc, 0, v5, vcc
	v_lshlrev_b32_e32 v6, 1, v12
	v_add_co_u32_e32 v4, vcc, v4, v6
	v_addc_co_u32_e32 v5, vcc, 0, v5, vcc
	v_or_b32_e32 v7, v13, v12
	v_cmp_gt_u32_e32 vcc, s70, v7
	v_mov_b32_e32 v10, 0x7fff
	v_mov_b32_e32 v6, 0x7fff
	s_and_saveexec_b64 s[0:1], vcc
	s_cbranch_execz .LBB198_3
; %bb.2:
	global_load_ushort v6, v[4:5], off
.LBB198_3:
	s_or_b64 exec, exec, s[0:1]
	v_add_u32_e32 v8, 64, v7
	v_cmp_gt_u32_e64 s[0:1], s70, v8
	s_and_saveexec_b64 s[2:3], s[0:1]
	s_cbranch_execz .LBB198_5
; %bb.4:
	global_load_ushort v10, v[4:5], off offset:128
.LBB198_5:
	s_or_b64 exec, exec, s[2:3]
	v_add_u32_e32 v8, 0x80, v7
	v_cmp_gt_u32_e64 s[2:3], s70, v8
	v_mov_b32_e32 v24, 0x7fff
	v_mov_b32_e32 v19, 0x7fff
	s_and_saveexec_b64 s[8:9], s[2:3]
	s_cbranch_execz .LBB198_7
; %bb.6:
	global_load_ushort v19, v[4:5], off offset:256
.LBB198_7:
	s_or_b64 exec, exec, s[8:9]
	v_add_u32_e32 v8, 0xc0, v7
	v_cmp_gt_u32_e64 s[50:51], s70, v8
	s_and_saveexec_b64 s[8:9], s[50:51]
	s_cbranch_execz .LBB198_9
; %bb.8:
	global_load_ushort v24, v[4:5], off offset:384
.LBB198_9:
	s_or_b64 exec, exec, s[8:9]
	v_add_u32_e32 v8, 0x100, v7
	v_cmp_gt_u32_e64 s[8:9], s70, v8
	v_mov_b32_e32 v36, 0x7fff
	v_mov_b32_e32 v29, 0x7fff
	s_and_saveexec_b64 s[10:11], s[8:9]
	s_cbranch_execz .LBB198_11
; %bb.10:
	global_load_ushort v29, v[4:5], off offset:512
.LBB198_11:
	;; [unrolled: 18-line block ×5, first 2 shown]
	s_or_b64 exec, exec, s[10:11]
	v_add_u32_e32 v7, 0x2c0, v7
	v_cmp_gt_u32_e64 s[10:11], s70, v7
	s_and_saveexec_b64 s[24:25], s[10:11]
	s_cbranch_execz .LBB198_25
; %bb.24:
	global_load_ushort v16, v[4:5], off offset:1408
.LBB198_25:
	s_or_b64 exec, exec, s[24:25]
	s_load_dword s24, s[4:5], 0x5c
	s_load_dword s33, s[4:5], 0x50
	s_add_u32 s25, s4, 0x50
	s_addc_u32 s26, s5, 0
	v_mov_b32_e32 v4, 0
	s_waitcnt lgkmcnt(0)
	s_lshr_b32 s27, s24, 16
	s_cmp_lt_u32 s6, s33
	s_cselect_b32 s24, 12, 18
	s_add_u32 s24, s25, s24
	s_addc_u32 s25, s26, 0
	global_load_ushort v7, v4, s[24:25]
	v_mov_b32_e32 v15, 0xffff8000
	s_waitcnt vmcnt(1)
	v_cmp_lt_i16_e64 s[24:25], -1, v6
	v_mul_u32_u24_e32 v8, 5, v2
	v_cndmask_b32_e64 v14, -1, v15, s[24:25]
	s_movk_i32 s28, 0x7fff
	v_lshlrev_b32_e32 v9, 2, v8
	v_xor_b32_e32 v8, v14, v6
	v_cmp_ne_u16_e64 s[24:25], s28, v8
	v_cndmask_b32_e64 v6, v15, v8, s[24:25]
	s_lshl_b32 s24, -1, s69
	v_lshrrev_b32_sdwa v6, s68, v6 dst_sel:DWORD dst_unused:UNUSED_PAD src0_sel:DWORD src1_sel:WORD_0
	s_not_b32 s74, s24
	v_and_b32_e32 v14, s74, v6
	v_and_b32_e32 v6, 1, v14
	v_bfe_u32 v5, v0, 10, 10
	v_bfe_u32 v11, v0, 20, 10
	v_add_co_u32_e64 v18, s[24:25], -1, v6
	v_mad_u32_u24 v11, v11, s27, v5
	v_lshlrev_b32_e32 v5, 30, v14
	v_addc_co_u32_e64 v20, s[24:25], 0, -1, s[24:25]
	v_cmp_ne_u32_e64 s[24:25], 0, v6
	v_cmp_gt_i64_e64 s[26:27], 0, v[4:5]
	v_not_b32_e32 v6, v5
	v_lshlrev_b32_e32 v5, 29, v14
	v_xor_b32_e32 v20, s25, v20
	v_xor_b32_e32 v18, s24, v18
	v_ashrrev_i32_e32 v6, 31, v6
	v_cmp_gt_i64_e64 s[24:25], 0, v[4:5]
	v_not_b32_e32 v22, v5
	v_lshlrev_b32_e32 v5, 28, v14
	v_and_b32_e32 v20, exec_hi, v20
	v_and_b32_e32 v18, exec_lo, v18
	v_xor_b32_e32 v23, s27, v6
	v_xor_b32_e32 v6, s26, v6
	v_ashrrev_i32_e32 v22, 31, v22
	v_cmp_gt_i64_e64 s[26:27], 0, v[4:5]
	v_not_b32_e32 v25, v5
	v_lshlrev_b32_e32 v5, 27, v14
	v_and_b32_e32 v20, v20, v23
	v_and_b32_e32 v6, v18, v6
	v_xor_b32_e32 v18, s25, v22
	v_xor_b32_e32 v22, s24, v22
	v_ashrrev_i32_e32 v23, 31, v25
	v_cmp_gt_i64_e64 s[24:25], 0, v[4:5]
	v_not_b32_e32 v25, v5
	v_lshlrev_b32_e32 v5, 26, v14
	v_and_b32_e32 v18, v20, v18
	v_and_b32_e32 v6, v6, v22
	v_xor_b32_e32 v20, s27, v23
	v_xor_b32_e32 v22, s26, v23
	v_ashrrev_i32_e32 v23, 31, v25
	v_not_b32_e32 v25, v5
	v_cmp_gt_i64_e64 s[26:27], 0, v[4:5]
	v_lshlrev_b32_e32 v5, 25, v14
	v_and_b32_e32 v18, v18, v20
	v_and_b32_e32 v6, v6, v22
	v_xor_b32_e32 v20, s25, v23
	v_xor_b32_e32 v22, s24, v23
	v_ashrrev_i32_e32 v23, 31, v25
	v_cmp_gt_i64_e64 s[24:25], 0, v[4:5]
	v_not_b32_e32 v5, v5
	v_and_b32_e32 v18, v18, v20
	v_and_b32_e32 v6, v6, v22
	v_xor_b32_e32 v20, s27, v23
	v_xor_b32_e32 v22, s26, v23
	v_ashrrev_i32_e32 v5, 31, v5
	v_and_b32_e32 v18, v18, v20
	v_and_b32_e32 v20, v6, v22
	v_mul_u32_u24_e32 v17, 5, v14
	v_xor_b32_e32 v22, s25, v5
	v_xor_b32_e32 v5, s24, v5
	ds_write2_b32 v9, v4, v4 offset0:4 offset1:5
	ds_write2_b32 v9, v4, v4 offset0:6 offset1:7
	ds_write_b32 v9, v4 offset:32
	s_waitcnt lgkmcnt(0)
	s_barrier
	s_waitcnt lgkmcnt(0)
	; wave barrier
	s_waitcnt vmcnt(0)
	v_mad_u64_u32 v[6:7], s[26:27], v11, v7, v[2:3]
	v_lshrrev_b32_e32 v23, 6, v6
	v_add_lshl_u32 v11, v23, v17, 2
	v_and_b32_e32 v17, v20, v5
	v_lshlrev_b32_e32 v5, 24, v14
	v_cmp_gt_i64_e64 s[24:25], 0, v[4:5]
	v_not_b32_e32 v5, v5
	v_ashrrev_i32_e32 v5, 31, v5
	v_and_b32_e32 v6, v18, v22
	v_xor_b32_e32 v7, s25, v5
	v_xor_b32_e32 v5, s24, v5
	v_and_b32_e32 v7, v6, v7
	v_and_b32_e32 v6, v17, v5
	v_mbcnt_lo_u32_b32 v5, v6, 0
	v_mbcnt_hi_u32_b32 v14, v7, v5
	v_cmp_eq_u32_e64 s[24:25], 0, v14
	v_cmp_ne_u64_e64 s[26:27], 0, v[6:7]
	s_and_b64 s[26:27], s[26:27], s[24:25]
	s_and_saveexec_b64 s[24:25], s[26:27]
	s_cbranch_execz .LBB198_27
; %bb.26:
	v_bcnt_u32_b32 v5, v6, 0
	v_bcnt_u32_b32 v5, v7, v5
	ds_write_b32 v11, v5 offset:16
.LBB198_27:
	s_or_b64 exec, exec, s[24:25]
	v_cmp_lt_i16_e64 s[24:25], -1, v10
	v_cndmask_b32_e64 v5, -1, v15, s[24:25]
	v_xor_b32_e32 v10, v5, v10
	v_cmp_ne_u16_e64 s[24:25], s28, v10
	v_cndmask_b32_e64 v5, v15, v10, s[24:25]
	v_lshrrev_b32_sdwa v5, s68, v5 dst_sel:DWORD dst_unused:UNUSED_PAD src0_sel:DWORD src1_sel:WORD_0
	v_and_b32_e32 v6, s74, v5
	v_mul_u32_u24_e32 v5, 5, v6
	v_add_lshl_u32 v17, v23, v5, 2
	v_and_b32_e32 v5, 1, v6
	v_add_co_u32_e64 v7, s[24:25], -1, v5
	v_addc_co_u32_e64 v18, s[24:25], 0, -1, s[24:25]
	v_cmp_ne_u32_e64 s[24:25], 0, v5
	v_xor_b32_e32 v5, s25, v18
	v_and_b32_e32 v18, exec_hi, v5
	v_lshlrev_b32_e32 v5, 30, v6
	v_xor_b32_e32 v7, s24, v7
	v_cmp_gt_i64_e64 s[24:25], 0, v[4:5]
	v_not_b32_e32 v5, v5
	v_ashrrev_i32_e32 v5, 31, v5
	v_and_b32_e32 v7, exec_lo, v7
	v_xor_b32_e32 v20, s25, v5
	v_xor_b32_e32 v5, s24, v5
	v_and_b32_e32 v7, v7, v5
	v_lshlrev_b32_e32 v5, 29, v6
	v_cmp_gt_i64_e64 s[24:25], 0, v[4:5]
	v_not_b32_e32 v5, v5
	v_ashrrev_i32_e32 v5, 31, v5
	v_and_b32_e32 v18, v18, v20
	v_xor_b32_e32 v20, s25, v5
	v_xor_b32_e32 v5, s24, v5
	v_and_b32_e32 v7, v7, v5
	v_lshlrev_b32_e32 v5, 28, v6
	v_cmp_gt_i64_e64 s[24:25], 0, v[4:5]
	v_not_b32_e32 v5, v5
	v_ashrrev_i32_e32 v5, 31, v5
	v_and_b32_e32 v18, v18, v20
	;; [unrolled: 8-line block ×5, first 2 shown]
	v_xor_b32_e32 v20, s25, v5
	v_xor_b32_e32 v5, s24, v5
	v_and_b32_e32 v7, v7, v5
	v_lshlrev_b32_e32 v5, 24, v6
	v_cmp_gt_i64_e64 s[24:25], 0, v[4:5]
	v_not_b32_e32 v4, v5
	v_ashrrev_i32_e32 v4, 31, v4
	v_xor_b32_e32 v5, s25, v4
	v_xor_b32_e32 v4, s24, v4
	; wave barrier
	ds_read_b32 v15, v17 offset:16
	v_and_b32_e32 v18, v18, v20
	v_and_b32_e32 v4, v7, v4
	v_and_b32_e32 v5, v18, v5
	v_mbcnt_lo_u32_b32 v6, v4, 0
	v_mbcnt_hi_u32_b32 v18, v5, v6
	v_cmp_eq_u32_e64 s[24:25], 0, v18
	v_cmp_ne_u64_e64 s[26:27], 0, v[4:5]
	s_and_b64 s[26:27], s[26:27], s[24:25]
	; wave barrier
	s_and_saveexec_b64 s[24:25], s[26:27]
	s_cbranch_execz .LBB198_29
; %bb.28:
	v_bcnt_u32_b32 v4, v4, 0
	v_bcnt_u32_b32 v4, v5, v4
	s_waitcnt lgkmcnt(0)
	v_add_u32_e32 v4, v15, v4
	ds_write_b32 v17, v4 offset:16
.LBB198_29:
	s_or_b64 exec, exec, s[24:25]
	v_mov_b32_e32 v27, 0xffff8000
	v_cmp_lt_i16_e64 s[24:25], -1, v19
	v_cndmask_b32_e64 v4, -1, v27, s[24:25]
	v_xor_b32_e32 v19, v4, v19
	v_cmp_ne_u16_e64 s[24:25], s28, v19
	v_cndmask_b32_e64 v4, v27, v19, s[24:25]
	v_lshrrev_b32_sdwa v4, s68, v4 dst_sel:DWORD dst_unused:UNUSED_PAD src0_sel:DWORD src1_sel:WORD_0
	v_and_b32_e32 v6, s74, v4
	v_and_b32_e32 v5, 1, v6
	v_add_co_u32_e64 v7, s[24:25], -1, v5
	v_addc_co_u32_e64 v25, s[24:25], 0, -1, s[24:25]
	v_cmp_ne_u32_e64 s[24:25], 0, v5
	v_mul_u32_u24_e32 v4, 5, v6
	v_xor_b32_e32 v5, s25, v25
	v_add_lshl_u32 v22, v23, v4, 2
	v_mov_b32_e32 v4, 0
	v_and_b32_e32 v25, exec_hi, v5
	v_lshlrev_b32_e32 v5, 30, v6
	v_xor_b32_e32 v7, s24, v7
	v_cmp_gt_i64_e64 s[24:25], 0, v[4:5]
	v_not_b32_e32 v5, v5
	v_ashrrev_i32_e32 v5, 31, v5
	v_and_b32_e32 v7, exec_lo, v7
	v_xor_b32_e32 v28, s25, v5
	v_xor_b32_e32 v5, s24, v5
	v_and_b32_e32 v7, v7, v5
	v_lshlrev_b32_e32 v5, 29, v6
	v_cmp_gt_i64_e64 s[24:25], 0, v[4:5]
	v_not_b32_e32 v5, v5
	v_ashrrev_i32_e32 v5, 31, v5
	v_and_b32_e32 v25, v25, v28
	v_xor_b32_e32 v28, s25, v5
	v_xor_b32_e32 v5, s24, v5
	v_and_b32_e32 v7, v7, v5
	v_lshlrev_b32_e32 v5, 28, v6
	v_cmp_gt_i64_e64 s[24:25], 0, v[4:5]
	v_not_b32_e32 v5, v5
	v_ashrrev_i32_e32 v5, 31, v5
	v_and_b32_e32 v25, v25, v28
	v_xor_b32_e32 v28, s25, v5
	v_xor_b32_e32 v5, s24, v5
	v_and_b32_e32 v7, v7, v5
	v_lshlrev_b32_e32 v5, 27, v6
	v_cmp_gt_i64_e64 s[24:25], 0, v[4:5]
	v_not_b32_e32 v5, v5
	v_ashrrev_i32_e32 v5, 31, v5
	v_and_b32_e32 v25, v25, v28
	v_xor_b32_e32 v28, s25, v5
	v_xor_b32_e32 v5, s24, v5
	v_and_b32_e32 v7, v7, v5
	v_lshlrev_b32_e32 v5, 26, v6
	v_cmp_gt_i64_e64 s[24:25], 0, v[4:5]
	v_not_b32_e32 v5, v5
	v_ashrrev_i32_e32 v5, 31, v5
	v_and_b32_e32 v25, v25, v28
	v_xor_b32_e32 v28, s25, v5
	v_xor_b32_e32 v5, s24, v5
	v_and_b32_e32 v7, v7, v5
	v_lshlrev_b32_e32 v5, 25, v6
	v_cmp_gt_i64_e64 s[24:25], 0, v[4:5]
	v_not_b32_e32 v5, v5
	v_ashrrev_i32_e32 v5, 31, v5
	v_and_b32_e32 v25, v25, v28
	v_xor_b32_e32 v28, s25, v5
	v_xor_b32_e32 v5, s24, v5
	v_and_b32_e32 v25, v25, v28
	v_and_b32_e32 v28, v7, v5
	v_lshlrev_b32_e32 v5, 24, v6
	v_cmp_gt_i64_e64 s[24:25], 0, v[4:5]
	v_not_b32_e32 v5, v5
	v_ashrrev_i32_e32 v5, 31, v5
	v_xor_b32_e32 v6, s25, v5
	v_xor_b32_e32 v5, s24, v5
	; wave barrier
	ds_read_b32 v20, v22 offset:16
	v_and_b32_e32 v7, v25, v6
	v_and_b32_e32 v6, v28, v5
	v_mbcnt_lo_u32_b32 v5, v6, 0
	v_mbcnt_hi_u32_b32 v25, v7, v5
	v_cmp_eq_u32_e64 s[24:25], 0, v25
	v_cmp_ne_u64_e64 s[26:27], 0, v[6:7]
	s_and_b64 s[26:27], s[26:27], s[24:25]
	; wave barrier
	s_and_saveexec_b64 s[24:25], s[26:27]
	s_cbranch_execz .LBB198_31
; %bb.30:
	v_bcnt_u32_b32 v5, v6, 0
	v_bcnt_u32_b32 v5, v7, v5
	s_waitcnt lgkmcnt(0)
	v_add_u32_e32 v5, v20, v5
	ds_write_b32 v22, v5 offset:16
.LBB198_31:
	s_or_b64 exec, exec, s[24:25]
	v_cmp_lt_i16_e64 s[24:25], -1, v24
	v_cndmask_b32_e64 v5, -1, v27, s[24:25]
	v_xor_b32_e32 v24, v5, v24
	v_cmp_ne_u16_e64 s[24:25], s28, v24
	v_cndmask_b32_e64 v5, v27, v24, s[24:25]
	v_lshrrev_b32_sdwa v5, s68, v5 dst_sel:DWORD dst_unused:UNUSED_PAD src0_sel:DWORD src1_sel:WORD_0
	v_and_b32_e32 v6, s74, v5
	v_mul_u32_u24_e32 v5, 5, v6
	v_add_lshl_u32 v28, v23, v5, 2
	v_and_b32_e32 v5, 1, v6
	v_add_co_u32_e64 v7, s[24:25], -1, v5
	v_addc_co_u32_e64 v30, s[24:25], 0, -1, s[24:25]
	v_cmp_ne_u32_e64 s[24:25], 0, v5
	v_xor_b32_e32 v5, s25, v30
	v_and_b32_e32 v30, exec_hi, v5
	v_lshlrev_b32_e32 v5, 30, v6
	v_xor_b32_e32 v7, s24, v7
	v_cmp_gt_i64_e64 s[24:25], 0, v[4:5]
	v_not_b32_e32 v5, v5
	v_ashrrev_i32_e32 v5, 31, v5
	v_and_b32_e32 v7, exec_lo, v7
	v_xor_b32_e32 v32, s25, v5
	v_xor_b32_e32 v5, s24, v5
	v_and_b32_e32 v7, v7, v5
	v_lshlrev_b32_e32 v5, 29, v6
	v_cmp_gt_i64_e64 s[24:25], 0, v[4:5]
	v_not_b32_e32 v5, v5
	v_ashrrev_i32_e32 v5, 31, v5
	v_and_b32_e32 v30, v30, v32
	v_xor_b32_e32 v32, s25, v5
	v_xor_b32_e32 v5, s24, v5
	v_and_b32_e32 v7, v7, v5
	v_lshlrev_b32_e32 v5, 28, v6
	v_cmp_gt_i64_e64 s[24:25], 0, v[4:5]
	v_not_b32_e32 v5, v5
	v_ashrrev_i32_e32 v5, 31, v5
	v_and_b32_e32 v30, v30, v32
	;; [unrolled: 8-line block ×5, first 2 shown]
	v_xor_b32_e32 v32, s25, v5
	v_xor_b32_e32 v5, s24, v5
	v_and_b32_e32 v7, v7, v5
	v_lshlrev_b32_e32 v5, 24, v6
	v_cmp_gt_i64_e64 s[24:25], 0, v[4:5]
	v_not_b32_e32 v4, v5
	v_ashrrev_i32_e32 v4, 31, v4
	v_xor_b32_e32 v5, s25, v4
	v_xor_b32_e32 v4, s24, v4
	; wave barrier
	ds_read_b32 v27, v28 offset:16
	v_and_b32_e32 v30, v30, v32
	v_and_b32_e32 v4, v7, v4
	;; [unrolled: 1-line block ×3, first 2 shown]
	v_mbcnt_lo_u32_b32 v6, v4, 0
	v_mbcnt_hi_u32_b32 v30, v5, v6
	v_cmp_eq_u32_e64 s[24:25], 0, v30
	v_cmp_ne_u64_e64 s[26:27], 0, v[4:5]
	s_and_b64 s[26:27], s[26:27], s[24:25]
	; wave barrier
	s_and_saveexec_b64 s[24:25], s[26:27]
	s_cbranch_execz .LBB198_33
; %bb.32:
	v_bcnt_u32_b32 v4, v4, 0
	v_bcnt_u32_b32 v4, v5, v4
	s_waitcnt lgkmcnt(0)
	v_add_u32_e32 v4, v27, v4
	ds_write_b32 v28, v4 offset:16
.LBB198_33:
	s_or_b64 exec, exec, s[24:25]
	v_mov_b32_e32 v37, 0xffff8000
	v_cmp_lt_i16_e64 s[24:25], -1, v29
	v_cndmask_b32_e64 v4, -1, v37, s[24:25]
	v_xor_b32_e32 v29, v4, v29
	v_cmp_ne_u16_e64 s[24:25], s28, v29
	v_cndmask_b32_e64 v4, v37, v29, s[24:25]
	v_lshrrev_b32_sdwa v4, s68, v4 dst_sel:DWORD dst_unused:UNUSED_PAD src0_sel:DWORD src1_sel:WORD_0
	v_and_b32_e32 v6, s74, v4
	v_and_b32_e32 v5, 1, v6
	v_add_co_u32_e64 v7, s[24:25], -1, v5
	v_addc_co_u32_e64 v35, s[24:25], 0, -1, s[24:25]
	v_cmp_ne_u32_e64 s[24:25], 0, v5
	v_mul_u32_u24_e32 v4, 5, v6
	v_xor_b32_e32 v5, s25, v35
	v_add_lshl_u32 v33, v23, v4, 2
	v_mov_b32_e32 v4, 0
	v_and_b32_e32 v35, exec_hi, v5
	v_lshlrev_b32_e32 v5, 30, v6
	v_xor_b32_e32 v7, s24, v7
	v_cmp_gt_i64_e64 s[24:25], 0, v[4:5]
	v_not_b32_e32 v5, v5
	v_ashrrev_i32_e32 v5, 31, v5
	v_and_b32_e32 v7, exec_lo, v7
	v_xor_b32_e32 v38, s25, v5
	v_xor_b32_e32 v5, s24, v5
	v_and_b32_e32 v7, v7, v5
	v_lshlrev_b32_e32 v5, 29, v6
	v_cmp_gt_i64_e64 s[24:25], 0, v[4:5]
	v_not_b32_e32 v5, v5
	v_ashrrev_i32_e32 v5, 31, v5
	v_and_b32_e32 v35, v35, v38
	v_xor_b32_e32 v38, s25, v5
	v_xor_b32_e32 v5, s24, v5
	v_and_b32_e32 v7, v7, v5
	v_lshlrev_b32_e32 v5, 28, v6
	v_cmp_gt_i64_e64 s[24:25], 0, v[4:5]
	v_not_b32_e32 v5, v5
	v_ashrrev_i32_e32 v5, 31, v5
	v_and_b32_e32 v35, v35, v38
	;; [unrolled: 8-line block ×5, first 2 shown]
	v_xor_b32_e32 v38, s25, v5
	v_xor_b32_e32 v5, s24, v5
	v_and_b32_e32 v35, v35, v38
	v_and_b32_e32 v38, v7, v5
	v_lshlrev_b32_e32 v5, 24, v6
	v_cmp_gt_i64_e64 s[24:25], 0, v[4:5]
	v_not_b32_e32 v5, v5
	v_ashrrev_i32_e32 v5, 31, v5
	v_xor_b32_e32 v6, s25, v5
	v_xor_b32_e32 v5, s24, v5
	; wave barrier
	ds_read_b32 v32, v33 offset:16
	v_and_b32_e32 v7, v35, v6
	v_and_b32_e32 v6, v38, v5
	v_mbcnt_lo_u32_b32 v5, v6, 0
	v_mbcnt_hi_u32_b32 v35, v7, v5
	v_cmp_eq_u32_e64 s[24:25], 0, v35
	v_cmp_ne_u64_e64 s[26:27], 0, v[6:7]
	s_and_b64 s[26:27], s[26:27], s[24:25]
	; wave barrier
	s_and_saveexec_b64 s[24:25], s[26:27]
	s_cbranch_execz .LBB198_35
; %bb.34:
	v_bcnt_u32_b32 v5, v6, 0
	v_bcnt_u32_b32 v5, v7, v5
	s_waitcnt lgkmcnt(0)
	v_add_u32_e32 v5, v32, v5
	ds_write_b32 v33, v5 offset:16
.LBB198_35:
	s_or_b64 exec, exec, s[24:25]
	v_cmp_lt_i16_e64 s[24:25], -1, v36
	v_cndmask_b32_e64 v5, -1, v37, s[24:25]
	v_xor_b32_e32 v46, v5, v36
	v_cmp_ne_u16_e64 s[24:25], s28, v46
	v_cndmask_b32_e64 v5, v37, v46, s[24:25]
	v_lshrrev_b32_sdwa v5, s68, v5 dst_sel:DWORD dst_unused:UNUSED_PAD src0_sel:DWORD src1_sel:WORD_0
	v_and_b32_e32 v6, s74, v5
	v_mul_u32_u24_e32 v5, 5, v6
	v_add_lshl_u32 v37, v23, v5, 2
	v_and_b32_e32 v5, 1, v6
	v_add_co_u32_e64 v7, s[24:25], -1, v5
	v_addc_co_u32_e64 v38, s[24:25], 0, -1, s[24:25]
	v_cmp_ne_u32_e64 s[24:25], 0, v5
	v_xor_b32_e32 v5, s25, v38
	v_and_b32_e32 v38, exec_hi, v5
	v_lshlrev_b32_e32 v5, 30, v6
	v_xor_b32_e32 v7, s24, v7
	v_cmp_gt_i64_e64 s[24:25], 0, v[4:5]
	v_not_b32_e32 v5, v5
	v_ashrrev_i32_e32 v5, 31, v5
	v_and_b32_e32 v7, exec_lo, v7
	v_xor_b32_e32 v40, s25, v5
	v_xor_b32_e32 v5, s24, v5
	v_and_b32_e32 v7, v7, v5
	v_lshlrev_b32_e32 v5, 29, v6
	v_cmp_gt_i64_e64 s[24:25], 0, v[4:5]
	v_not_b32_e32 v5, v5
	v_ashrrev_i32_e32 v5, 31, v5
	v_and_b32_e32 v38, v38, v40
	v_xor_b32_e32 v40, s25, v5
	v_xor_b32_e32 v5, s24, v5
	v_and_b32_e32 v7, v7, v5
	v_lshlrev_b32_e32 v5, 28, v6
	v_cmp_gt_i64_e64 s[24:25], 0, v[4:5]
	v_not_b32_e32 v5, v5
	v_ashrrev_i32_e32 v5, 31, v5
	v_and_b32_e32 v38, v38, v40
	;; [unrolled: 8-line block ×5, first 2 shown]
	v_xor_b32_e32 v40, s25, v5
	v_xor_b32_e32 v5, s24, v5
	v_and_b32_e32 v7, v7, v5
	v_lshlrev_b32_e32 v5, 24, v6
	v_cmp_gt_i64_e64 s[24:25], 0, v[4:5]
	v_not_b32_e32 v4, v5
	v_ashrrev_i32_e32 v4, 31, v4
	v_xor_b32_e32 v5, s25, v4
	v_xor_b32_e32 v4, s24, v4
	; wave barrier
	ds_read_b32 v36, v37 offset:16
	v_and_b32_e32 v38, v38, v40
	v_and_b32_e32 v4, v7, v4
	;; [unrolled: 1-line block ×3, first 2 shown]
	v_mbcnt_lo_u32_b32 v6, v4, 0
	v_mbcnt_hi_u32_b32 v38, v5, v6
	v_cmp_eq_u32_e64 s[24:25], 0, v38
	v_cmp_ne_u64_e64 s[26:27], 0, v[4:5]
	s_and_b64 s[26:27], s[26:27], s[24:25]
	; wave barrier
	s_and_saveexec_b64 s[24:25], s[26:27]
	s_cbranch_execz .LBB198_37
; %bb.36:
	v_bcnt_u32_b32 v4, v4, 0
	v_bcnt_u32_b32 v4, v5, v4
	s_waitcnt lgkmcnt(0)
	v_add_u32_e32 v4, v36, v4
	ds_write_b32 v37, v4 offset:16
.LBB198_37:
	s_or_b64 exec, exec, s[24:25]
	v_mov_b32_e32 v41, 0xffff8000
	v_cmp_lt_i16_e64 s[24:25], -1, v39
	v_cndmask_b32_e64 v4, -1, v41, s[24:25]
	v_xor_b32_e32 v47, v4, v39
	v_cmp_ne_u16_e64 s[24:25], s28, v47
	v_cndmask_b32_e64 v4, v41, v47, s[24:25]
	v_lshrrev_b32_sdwa v4, s68, v4 dst_sel:DWORD dst_unused:UNUSED_PAD src0_sel:DWORD src1_sel:WORD_0
	v_and_b32_e32 v6, s74, v4
	v_and_b32_e32 v5, 1, v6
	v_add_co_u32_e64 v7, s[24:25], -1, v5
	v_addc_co_u32_e64 v42, s[24:25], 0, -1, s[24:25]
	v_cmp_ne_u32_e64 s[24:25], 0, v5
	v_mul_u32_u24_e32 v4, 5, v6
	v_xor_b32_e32 v5, s25, v42
	v_add_lshl_u32 v40, v23, v4, 2
	v_mov_b32_e32 v4, 0
	v_and_b32_e32 v42, exec_hi, v5
	v_lshlrev_b32_e32 v5, 30, v6
	v_xor_b32_e32 v7, s24, v7
	v_cmp_gt_i64_e64 s[24:25], 0, v[4:5]
	v_not_b32_e32 v5, v5
	v_ashrrev_i32_e32 v5, 31, v5
	v_and_b32_e32 v7, exec_lo, v7
	v_xor_b32_e32 v43, s25, v5
	v_xor_b32_e32 v5, s24, v5
	v_and_b32_e32 v7, v7, v5
	v_lshlrev_b32_e32 v5, 29, v6
	v_cmp_gt_i64_e64 s[24:25], 0, v[4:5]
	v_not_b32_e32 v5, v5
	v_ashrrev_i32_e32 v5, 31, v5
	v_and_b32_e32 v42, v42, v43
	v_xor_b32_e32 v43, s25, v5
	v_xor_b32_e32 v5, s24, v5
	v_and_b32_e32 v7, v7, v5
	v_lshlrev_b32_e32 v5, 28, v6
	v_cmp_gt_i64_e64 s[24:25], 0, v[4:5]
	v_not_b32_e32 v5, v5
	v_ashrrev_i32_e32 v5, 31, v5
	v_and_b32_e32 v42, v42, v43
	;; [unrolled: 8-line block ×5, first 2 shown]
	v_xor_b32_e32 v43, s25, v5
	v_xor_b32_e32 v5, s24, v5
	v_and_b32_e32 v42, v42, v43
	v_and_b32_e32 v43, v7, v5
	v_lshlrev_b32_e32 v5, 24, v6
	v_cmp_gt_i64_e64 s[24:25], 0, v[4:5]
	v_not_b32_e32 v5, v5
	v_ashrrev_i32_e32 v5, 31, v5
	v_xor_b32_e32 v6, s25, v5
	v_xor_b32_e32 v5, s24, v5
	; wave barrier
	ds_read_b32 v39, v40 offset:16
	v_and_b32_e32 v7, v42, v6
	v_and_b32_e32 v6, v43, v5
	v_mbcnt_lo_u32_b32 v5, v6, 0
	v_mbcnt_hi_u32_b32 v49, v7, v5
	v_cmp_eq_u32_e64 s[24:25], 0, v49
	v_cmp_ne_u64_e64 s[26:27], 0, v[6:7]
	s_and_b64 s[26:27], s[26:27], s[24:25]
	; wave barrier
	s_and_saveexec_b64 s[24:25], s[26:27]
	s_cbranch_execz .LBB198_39
; %bb.38:
	v_bcnt_u32_b32 v5, v6, 0
	v_bcnt_u32_b32 v5, v7, v5
	s_waitcnt lgkmcnt(0)
	v_add_u32_e32 v5, v39, v5
	ds_write_b32 v40, v5 offset:16
.LBB198_39:
	s_or_b64 exec, exec, s[24:25]
	v_cmp_lt_i16_e64 s[24:25], -1, v34
	v_cndmask_b32_e64 v5, -1, v41, s[24:25]
	v_xor_b32_e32 v48, v5, v34
	v_cmp_ne_u16_e64 s[24:25], s28, v48
	v_cndmask_b32_e64 v5, v41, v48, s[24:25]
	v_lshrrev_b32_sdwa v5, s68, v5 dst_sel:DWORD dst_unused:UNUSED_PAD src0_sel:DWORD src1_sel:WORD_0
	v_and_b32_e32 v6, s74, v5
	v_mul_u32_u24_e32 v5, 5, v6
	v_add_lshl_u32 v41, v23, v5, 2
	v_and_b32_e32 v5, 1, v6
	v_add_co_u32_e64 v7, s[24:25], -1, v5
	v_addc_co_u32_e64 v42, s[24:25], 0, -1, s[24:25]
	v_cmp_ne_u32_e64 s[24:25], 0, v5
	v_xor_b32_e32 v5, s25, v42
	v_and_b32_e32 v42, exec_hi, v5
	v_lshlrev_b32_e32 v5, 30, v6
	v_xor_b32_e32 v7, s24, v7
	v_cmp_gt_i64_e64 s[24:25], 0, v[4:5]
	v_not_b32_e32 v5, v5
	v_ashrrev_i32_e32 v5, 31, v5
	v_and_b32_e32 v7, exec_lo, v7
	v_xor_b32_e32 v43, s25, v5
	v_xor_b32_e32 v5, s24, v5
	v_and_b32_e32 v7, v7, v5
	v_lshlrev_b32_e32 v5, 29, v6
	v_cmp_gt_i64_e64 s[24:25], 0, v[4:5]
	v_not_b32_e32 v5, v5
	v_ashrrev_i32_e32 v5, 31, v5
	v_and_b32_e32 v42, v42, v43
	v_xor_b32_e32 v43, s25, v5
	v_xor_b32_e32 v5, s24, v5
	v_and_b32_e32 v7, v7, v5
	v_lshlrev_b32_e32 v5, 28, v6
	v_cmp_gt_i64_e64 s[24:25], 0, v[4:5]
	v_not_b32_e32 v5, v5
	v_ashrrev_i32_e32 v5, 31, v5
	v_and_b32_e32 v42, v42, v43
	;; [unrolled: 8-line block ×5, first 2 shown]
	v_xor_b32_e32 v43, s25, v5
	v_xor_b32_e32 v5, s24, v5
	v_and_b32_e32 v7, v7, v5
	v_lshlrev_b32_e32 v5, 24, v6
	v_cmp_gt_i64_e64 s[24:25], 0, v[4:5]
	v_not_b32_e32 v4, v5
	v_ashrrev_i32_e32 v4, 31, v4
	v_xor_b32_e32 v5, s25, v4
	v_xor_b32_e32 v4, s24, v4
	; wave barrier
	ds_read_b32 v34, v41 offset:16
	v_and_b32_e32 v42, v42, v43
	v_and_b32_e32 v4, v7, v4
	;; [unrolled: 1-line block ×3, first 2 shown]
	v_mbcnt_lo_u32_b32 v6, v4, 0
	v_mbcnt_hi_u32_b32 v50, v5, v6
	v_cmp_eq_u32_e64 s[24:25], 0, v50
	v_cmp_ne_u64_e64 s[26:27], 0, v[4:5]
	s_and_b64 s[26:27], s[26:27], s[24:25]
	; wave barrier
	s_and_saveexec_b64 s[24:25], s[26:27]
	s_cbranch_execz .LBB198_41
; %bb.40:
	v_bcnt_u32_b32 v4, v4, 0
	v_bcnt_u32_b32 v4, v5, v4
	s_waitcnt lgkmcnt(0)
	v_add_u32_e32 v4, v34, v4
	ds_write_b32 v41, v4 offset:16
.LBB198_41:
	s_or_b64 exec, exec, s[24:25]
	v_mov_b32_e32 v43, 0xffff8000
	v_cmp_lt_i16_e64 s[24:25], -1, v31
	v_cndmask_b32_e64 v4, -1, v43, s[24:25]
	v_xor_b32_e32 v31, v4, v31
	v_cmp_ne_u16_e64 s[24:25], s28, v31
	v_cndmask_b32_e64 v4, v43, v31, s[24:25]
	v_lshrrev_b32_sdwa v4, s68, v4 dst_sel:DWORD dst_unused:UNUSED_PAD src0_sel:DWORD src1_sel:WORD_0
	v_and_b32_e32 v6, s74, v4
	v_and_b32_e32 v5, 1, v6
	v_add_co_u32_e64 v7, s[24:25], -1, v5
	v_addc_co_u32_e64 v44, s[24:25], 0, -1, s[24:25]
	v_cmp_ne_u32_e64 s[24:25], 0, v5
	v_mul_u32_u24_e32 v4, 5, v6
	v_xor_b32_e32 v5, s25, v44
	v_add_lshl_u32 v42, v23, v4, 2
	v_mov_b32_e32 v4, 0
	v_and_b32_e32 v44, exec_hi, v5
	v_lshlrev_b32_e32 v5, 30, v6
	v_xor_b32_e32 v7, s24, v7
	v_cmp_gt_i64_e64 s[24:25], 0, v[4:5]
	v_not_b32_e32 v5, v5
	v_ashrrev_i32_e32 v5, 31, v5
	v_and_b32_e32 v7, exec_lo, v7
	v_xor_b32_e32 v45, s25, v5
	v_xor_b32_e32 v5, s24, v5
	v_and_b32_e32 v7, v7, v5
	v_lshlrev_b32_e32 v5, 29, v6
	v_cmp_gt_i64_e64 s[24:25], 0, v[4:5]
	v_not_b32_e32 v5, v5
	v_ashrrev_i32_e32 v5, 31, v5
	v_and_b32_e32 v44, v44, v45
	v_xor_b32_e32 v45, s25, v5
	v_xor_b32_e32 v5, s24, v5
	v_and_b32_e32 v7, v7, v5
	v_lshlrev_b32_e32 v5, 28, v6
	v_cmp_gt_i64_e64 s[24:25], 0, v[4:5]
	v_not_b32_e32 v5, v5
	v_ashrrev_i32_e32 v5, 31, v5
	v_and_b32_e32 v44, v44, v45
	v_xor_b32_e32 v45, s25, v5
	v_xor_b32_e32 v5, s24, v5
	v_and_b32_e32 v7, v7, v5
	v_lshlrev_b32_e32 v5, 27, v6
	v_cmp_gt_i64_e64 s[24:25], 0, v[4:5]
	v_not_b32_e32 v5, v5
	v_ashrrev_i32_e32 v5, 31, v5
	v_and_b32_e32 v44, v44, v45
	v_xor_b32_e32 v45, s25, v5
	v_xor_b32_e32 v5, s24, v5
	v_and_b32_e32 v7, v7, v5
	v_lshlrev_b32_e32 v5, 26, v6
	v_cmp_gt_i64_e64 s[24:25], 0, v[4:5]
	v_not_b32_e32 v5, v5
	v_ashrrev_i32_e32 v5, 31, v5
	v_and_b32_e32 v44, v44, v45
	v_xor_b32_e32 v45, s25, v5
	v_xor_b32_e32 v5, s24, v5
	v_and_b32_e32 v7, v7, v5
	v_lshlrev_b32_e32 v5, 25, v6
	v_cmp_gt_i64_e64 s[24:25], 0, v[4:5]
	v_not_b32_e32 v5, v5
	v_ashrrev_i32_e32 v5, 31, v5
	v_and_b32_e32 v44, v44, v45
	v_xor_b32_e32 v45, s25, v5
	v_xor_b32_e32 v5, s24, v5
	v_and_b32_e32 v44, v44, v45
	v_and_b32_e32 v45, v7, v5
	v_lshlrev_b32_e32 v5, 24, v6
	v_cmp_gt_i64_e64 s[24:25], 0, v[4:5]
	v_not_b32_e32 v5, v5
	v_ashrrev_i32_e32 v5, 31, v5
	v_xor_b32_e32 v6, s25, v5
	v_xor_b32_e32 v5, s24, v5
	; wave barrier
	ds_read_b32 v51, v42 offset:16
	v_and_b32_e32 v7, v44, v6
	v_and_b32_e32 v6, v45, v5
	v_mbcnt_lo_u32_b32 v5, v6, 0
	v_mbcnt_hi_u32_b32 v52, v7, v5
	v_cmp_eq_u32_e64 s[24:25], 0, v52
	v_cmp_ne_u64_e64 s[26:27], 0, v[6:7]
	s_and_b64 s[26:27], s[26:27], s[24:25]
	; wave barrier
	s_and_saveexec_b64 s[24:25], s[26:27]
	s_cbranch_execz .LBB198_43
; %bb.42:
	v_bcnt_u32_b32 v5, v6, 0
	v_bcnt_u32_b32 v5, v7, v5
	s_waitcnt lgkmcnt(0)
	v_add_u32_e32 v5, v51, v5
	ds_write_b32 v42, v5 offset:16
.LBB198_43:
	s_or_b64 exec, exec, s[24:25]
	v_cmp_lt_i16_e64 s[24:25], -1, v26
	v_cndmask_b32_e64 v5, -1, v43, s[24:25]
	v_xor_b32_e32 v26, v5, v26
	v_cmp_ne_u16_e64 s[24:25], s28, v26
	v_cndmask_b32_e64 v5, v43, v26, s[24:25]
	v_lshrrev_b32_sdwa v5, s68, v5 dst_sel:DWORD dst_unused:UNUSED_PAD src0_sel:DWORD src1_sel:WORD_0
	v_and_b32_e32 v6, s74, v5
	v_mul_u32_u24_e32 v5, 5, v6
	v_add_lshl_u32 v43, v23, v5, 2
	v_and_b32_e32 v5, 1, v6
	v_add_co_u32_e64 v7, s[24:25], -1, v5
	v_addc_co_u32_e64 v44, s[24:25], 0, -1, s[24:25]
	v_cmp_ne_u32_e64 s[24:25], 0, v5
	v_xor_b32_e32 v5, s25, v44
	v_and_b32_e32 v44, exec_hi, v5
	v_lshlrev_b32_e32 v5, 30, v6
	v_xor_b32_e32 v7, s24, v7
	v_cmp_gt_i64_e64 s[24:25], 0, v[4:5]
	v_not_b32_e32 v5, v5
	v_ashrrev_i32_e32 v5, 31, v5
	v_and_b32_e32 v7, exec_lo, v7
	v_xor_b32_e32 v45, s25, v5
	v_xor_b32_e32 v5, s24, v5
	v_and_b32_e32 v7, v7, v5
	v_lshlrev_b32_e32 v5, 29, v6
	v_cmp_gt_i64_e64 s[24:25], 0, v[4:5]
	v_not_b32_e32 v5, v5
	v_ashrrev_i32_e32 v5, 31, v5
	v_and_b32_e32 v44, v44, v45
	v_xor_b32_e32 v45, s25, v5
	v_xor_b32_e32 v5, s24, v5
	v_and_b32_e32 v7, v7, v5
	v_lshlrev_b32_e32 v5, 28, v6
	v_cmp_gt_i64_e64 s[24:25], 0, v[4:5]
	v_not_b32_e32 v5, v5
	v_ashrrev_i32_e32 v5, 31, v5
	v_and_b32_e32 v44, v44, v45
	v_xor_b32_e32 v45, s25, v5
	v_xor_b32_e32 v5, s24, v5
	v_and_b32_e32 v7, v7, v5
	v_lshlrev_b32_e32 v5, 27, v6
	v_cmp_gt_i64_e64 s[24:25], 0, v[4:5]
	v_not_b32_e32 v5, v5
	v_ashrrev_i32_e32 v5, 31, v5
	v_and_b32_e32 v44, v44, v45
	v_xor_b32_e32 v45, s25, v5
	v_xor_b32_e32 v5, s24, v5
	v_and_b32_e32 v7, v7, v5
	v_lshlrev_b32_e32 v5, 26, v6
	v_cmp_gt_i64_e64 s[24:25], 0, v[4:5]
	v_not_b32_e32 v5, v5
	v_ashrrev_i32_e32 v5, 31, v5
	v_and_b32_e32 v44, v44, v45
	v_xor_b32_e32 v45, s25, v5
	v_xor_b32_e32 v5, s24, v5
	v_and_b32_e32 v7, v7, v5
	v_lshlrev_b32_e32 v5, 25, v6
	v_cmp_gt_i64_e64 s[24:25], 0, v[4:5]
	v_not_b32_e32 v5, v5
	v_ashrrev_i32_e32 v5, 31, v5
	v_and_b32_e32 v44, v44, v45
	v_xor_b32_e32 v45, s25, v5
	v_xor_b32_e32 v5, s24, v5
	v_and_b32_e32 v7, v7, v5
	v_lshlrev_b32_e32 v5, 24, v6
	v_cmp_gt_i64_e64 s[24:25], 0, v[4:5]
	v_not_b32_e32 v4, v5
	v_ashrrev_i32_e32 v4, 31, v4
	v_xor_b32_e32 v5, s25, v4
	v_xor_b32_e32 v4, s24, v4
	; wave barrier
	ds_read_b32 v53, v43 offset:16
	v_and_b32_e32 v44, v44, v45
	v_and_b32_e32 v4, v7, v4
	;; [unrolled: 1-line block ×3, first 2 shown]
	v_mbcnt_lo_u32_b32 v6, v4, 0
	v_mbcnt_hi_u32_b32 v54, v5, v6
	v_cmp_eq_u32_e64 s[24:25], 0, v54
	v_cmp_ne_u64_e64 s[26:27], 0, v[4:5]
	s_and_b64 s[26:27], s[26:27], s[24:25]
	; wave barrier
	s_and_saveexec_b64 s[24:25], s[26:27]
	s_cbranch_execz .LBB198_45
; %bb.44:
	v_bcnt_u32_b32 v4, v4, 0
	v_bcnt_u32_b32 v4, v5, v4
	s_waitcnt lgkmcnt(0)
	v_add_u32_e32 v4, v53, v4
	ds_write_b32 v43, v4 offset:16
.LBB198_45:
	s_or_b64 exec, exec, s[24:25]
	v_mov_b32_e32 v45, 0xffff8000
	v_cmp_lt_i16_e64 s[24:25], -1, v21
	v_cndmask_b32_e64 v4, -1, v45, s[24:25]
	v_xor_b32_e32 v21, v4, v21
	v_cmp_ne_u16_e64 s[24:25], s28, v21
	v_cndmask_b32_e64 v4, v45, v21, s[24:25]
	v_lshrrev_b32_sdwa v4, s68, v4 dst_sel:DWORD dst_unused:UNUSED_PAD src0_sel:DWORD src1_sel:WORD_0
	v_and_b32_e32 v6, s74, v4
	v_and_b32_e32 v5, 1, v6
	v_add_co_u32_e64 v7, s[24:25], -1, v5
	v_addc_co_u32_e64 v56, s[24:25], 0, -1, s[24:25]
	v_cmp_ne_u32_e64 s[24:25], 0, v5
	v_mul_u32_u24_e32 v4, 5, v6
	v_xor_b32_e32 v5, s25, v56
	v_add_lshl_u32 v44, v23, v4, 2
	v_mov_b32_e32 v4, 0
	v_and_b32_e32 v56, exec_hi, v5
	v_lshlrev_b32_e32 v5, 30, v6
	v_xor_b32_e32 v7, s24, v7
	v_cmp_gt_i64_e64 s[24:25], 0, v[4:5]
	v_not_b32_e32 v5, v5
	v_ashrrev_i32_e32 v5, 31, v5
	v_and_b32_e32 v7, exec_lo, v7
	v_xor_b32_e32 v57, s25, v5
	v_xor_b32_e32 v5, s24, v5
	v_and_b32_e32 v7, v7, v5
	v_lshlrev_b32_e32 v5, 29, v6
	v_cmp_gt_i64_e64 s[24:25], 0, v[4:5]
	v_not_b32_e32 v5, v5
	v_ashrrev_i32_e32 v5, 31, v5
	v_and_b32_e32 v56, v56, v57
	v_xor_b32_e32 v57, s25, v5
	v_xor_b32_e32 v5, s24, v5
	v_and_b32_e32 v7, v7, v5
	v_lshlrev_b32_e32 v5, 28, v6
	v_cmp_gt_i64_e64 s[24:25], 0, v[4:5]
	v_not_b32_e32 v5, v5
	v_ashrrev_i32_e32 v5, 31, v5
	v_and_b32_e32 v56, v56, v57
	;; [unrolled: 8-line block ×5, first 2 shown]
	v_xor_b32_e32 v57, s25, v5
	v_xor_b32_e32 v5, s24, v5
	v_and_b32_e32 v56, v56, v57
	v_and_b32_e32 v57, v7, v5
	v_lshlrev_b32_e32 v5, 24, v6
	v_cmp_gt_i64_e64 s[24:25], 0, v[4:5]
	v_not_b32_e32 v5, v5
	v_ashrrev_i32_e32 v5, 31, v5
	v_xor_b32_e32 v6, s25, v5
	v_xor_b32_e32 v5, s24, v5
	; wave barrier
	ds_read_b32 v55, v44 offset:16
	v_and_b32_e32 v7, v56, v6
	v_and_b32_e32 v6, v57, v5
	v_mbcnt_lo_u32_b32 v5, v6, 0
	v_mbcnt_hi_u32_b32 v56, v7, v5
	v_cmp_eq_u32_e64 s[24:25], 0, v56
	v_cmp_ne_u64_e64 s[26:27], 0, v[6:7]
	s_and_b64 s[26:27], s[26:27], s[24:25]
	; wave barrier
	s_and_saveexec_b64 s[24:25], s[26:27]
	s_cbranch_execz .LBB198_47
; %bb.46:
	v_bcnt_u32_b32 v5, v6, 0
	v_bcnt_u32_b32 v5, v7, v5
	s_waitcnt lgkmcnt(0)
	v_add_u32_e32 v5, v55, v5
	ds_write_b32 v44, v5 offset:16
.LBB198_47:
	s_or_b64 exec, exec, s[24:25]
	v_cmp_lt_i16_e64 s[24:25], -1, v16
	v_cndmask_b32_e64 v5, -1, v45, s[24:25]
	v_xor_b32_e32 v16, v5, v16
	v_cmp_ne_u16_e64 s[24:25], s28, v16
	v_cndmask_b32_e64 v5, v45, v16, s[24:25]
	v_lshrrev_b32_sdwa v5, s68, v5 dst_sel:DWORD dst_unused:UNUSED_PAD src0_sel:DWORD src1_sel:WORD_0
	v_and_b32_e32 v6, s74, v5
	v_mul_u32_u24_e32 v5, 5, v6
	v_add_lshl_u32 v45, v5, v23, 2
	v_and_b32_e32 v5, 1, v6
	v_add_co_u32_e64 v7, s[24:25], -1, v5
	v_addc_co_u32_e64 v58, s[24:25], 0, -1, s[24:25]
	v_cmp_ne_u32_e64 s[24:25], 0, v5
	v_xor_b32_e32 v5, s25, v58
	v_and_b32_e32 v58, exec_hi, v5
	v_lshlrev_b32_e32 v5, 30, v6
	v_xor_b32_e32 v7, s24, v7
	v_cmp_gt_i64_e64 s[24:25], 0, v[4:5]
	v_not_b32_e32 v5, v5
	v_ashrrev_i32_e32 v5, 31, v5
	v_and_b32_e32 v7, exec_lo, v7
	v_xor_b32_e32 v59, s25, v5
	v_xor_b32_e32 v5, s24, v5
	v_and_b32_e32 v7, v7, v5
	v_lshlrev_b32_e32 v5, 29, v6
	v_cmp_gt_i64_e64 s[24:25], 0, v[4:5]
	v_not_b32_e32 v5, v5
	v_ashrrev_i32_e32 v5, 31, v5
	v_and_b32_e32 v58, v58, v59
	v_xor_b32_e32 v59, s25, v5
	v_xor_b32_e32 v5, s24, v5
	v_and_b32_e32 v7, v7, v5
	v_lshlrev_b32_e32 v5, 28, v6
	v_cmp_gt_i64_e64 s[24:25], 0, v[4:5]
	v_not_b32_e32 v5, v5
	v_ashrrev_i32_e32 v5, 31, v5
	v_and_b32_e32 v58, v58, v59
	;; [unrolled: 8-line block ×5, first 2 shown]
	v_xor_b32_e32 v59, s25, v5
	v_xor_b32_e32 v5, s24, v5
	v_and_b32_e32 v7, v7, v5
	v_lshlrev_b32_e32 v5, 24, v6
	v_cmp_gt_i64_e64 s[24:25], 0, v[4:5]
	v_not_b32_e32 v4, v5
	v_ashrrev_i32_e32 v4, 31, v4
	v_xor_b32_e32 v5, s25, v4
	v_xor_b32_e32 v4, s24, v4
	; wave barrier
	ds_read_b32 v23, v45 offset:16
	v_and_b32_e32 v58, v58, v59
	v_and_b32_e32 v4, v7, v4
	;; [unrolled: 1-line block ×3, first 2 shown]
	v_mbcnt_lo_u32_b32 v6, v4, 0
	v_mbcnt_hi_u32_b32 v58, v5, v6
	v_cmp_eq_u32_e64 s[24:25], 0, v58
	v_cmp_ne_u64_e64 s[26:27], 0, v[4:5]
	v_add_u32_e32 v57, 16, v9
	s_and_b64 s[26:27], s[26:27], s[24:25]
	; wave barrier
	s_and_saveexec_b64 s[24:25], s[26:27]
	s_cbranch_execz .LBB198_49
; %bb.48:
	v_bcnt_u32_b32 v4, v4, 0
	v_bcnt_u32_b32 v4, v5, v4
	s_waitcnt lgkmcnt(0)
	v_add_u32_e32 v4, v23, v4
	ds_write_b32 v45, v4 offset:16
.LBB198_49:
	s_or_b64 exec, exec, s[24:25]
	; wave barrier
	s_waitcnt lgkmcnt(0)
	s_barrier
	ds_read2_b32 v[6:7], v9 offset0:4 offset1:5
	ds_read2_b32 v[4:5], v57 offset0:2 offset1:3
	ds_read_b32 v59, v57 offset:16
	v_min_u32_e32 v3, 0xc0, v3
	v_or_b32_e32 v3, 63, v3
	s_waitcnt lgkmcnt(1)
	v_add3_u32 v60, v7, v6, v4
	s_waitcnt lgkmcnt(0)
	v_add3_u32 v59, v60, v5, v59
	v_and_b32_e32 v60, 15, v13
	v_cmp_ne_u32_e64 s[24:25], 0, v60
	v_mov_b32_dpp v61, v59 row_shr:1 row_mask:0xf bank_mask:0xf
	v_cndmask_b32_e64 v61, 0, v61, s[24:25]
	v_add_u32_e32 v59, v61, v59
	v_cmp_lt_u32_e64 s[24:25], 1, v60
	s_nop 0
	v_mov_b32_dpp v61, v59 row_shr:2 row_mask:0xf bank_mask:0xf
	v_cndmask_b32_e64 v61, 0, v61, s[24:25]
	v_add_u32_e32 v59, v59, v61
	v_cmp_lt_u32_e64 s[24:25], 3, v60
	s_nop 0
	;; [unrolled: 5-line block ×3, first 2 shown]
	v_mov_b32_dpp v61, v59 row_shr:8 row_mask:0xf bank_mask:0xf
	v_cndmask_b32_e64 v60, 0, v61, s[24:25]
	v_add_u32_e32 v59, v59, v60
	v_bfe_i32 v61, v13, 4, 1
	v_cmp_lt_u32_e64 s[24:25], 31, v13
	v_mov_b32_dpp v60, v59 row_bcast:15 row_mask:0xf bank_mask:0xf
	v_and_b32_e32 v60, v61, v60
	v_add_u32_e32 v59, v59, v60
	s_nop 1
	v_mov_b32_dpp v60, v59 row_bcast:31 row_mask:0xf bank_mask:0xf
	v_cndmask_b32_e64 v60, 0, v60, s[24:25]
	v_add_u32_e32 v59, v59, v60
	v_lshrrev_b32_e32 v60, 6, v2
	v_cmp_eq_u32_e64 s[24:25], v3, v2
	s_and_saveexec_b64 s[26:27], s[24:25]
	s_cbranch_execz .LBB198_51
; %bb.50:
	v_lshlrev_b32_e32 v3, 2, v60
	ds_write_b32 v3, v59
.LBB198_51:
	s_or_b64 exec, exec, s[26:27]
	v_cmp_gt_u32_e64 s[24:25], 4, v2
	s_waitcnt lgkmcnt(0)
	s_barrier
	s_and_saveexec_b64 s[26:27], s[24:25]
	s_cbranch_execz .LBB198_53
; %bb.52:
	v_lshlrev_b32_e32 v3, 2, v2
	ds_read_b32 v61, v3
	v_and_b32_e32 v62, 3, v13
	v_cmp_ne_u32_e64 s[24:25], 0, v62
	s_waitcnt lgkmcnt(0)
	v_mov_b32_dpp v63, v61 row_shr:1 row_mask:0xf bank_mask:0xf
	v_cndmask_b32_e64 v63, 0, v63, s[24:25]
	v_add_u32_e32 v61, v63, v61
	v_cmp_lt_u32_e64 s[24:25], 1, v62
	s_nop 0
	v_mov_b32_dpp v63, v61 row_shr:2 row_mask:0xf bank_mask:0xf
	v_cndmask_b32_e64 v62, 0, v63, s[24:25]
	v_add_u32_e32 v61, v61, v62
	ds_write_b32 v3, v61
.LBB198_53:
	s_or_b64 exec, exec, s[26:27]
	v_cmp_lt_u32_e64 s[24:25], 63, v2
	v_mov_b32_e32 v3, 0
	s_waitcnt lgkmcnt(0)
	s_barrier
	s_and_saveexec_b64 s[26:27], s[24:25]
	s_cbranch_execz .LBB198_55
; %bb.54:
	v_lshl_add_u32 v3, v60, 2, -4
	ds_read_b32 v3, v3
.LBB198_55:
	s_or_b64 exec, exec, s[26:27]
	v_add_u32_e32 v60, -1, v13
	v_and_b32_e32 v61, 64, v13
	v_cmp_lt_i32_e64 s[24:25], v60, v61
	v_cndmask_b32_e64 v60, v60, v13, s[24:25]
	s_waitcnt lgkmcnt(0)
	v_add_u32_e32 v59, v3, v59
	v_lshlrev_b32_e32 v60, 2, v60
	ds_bpermute_b32 v59, v60, v59
	v_cmp_eq_u32_e64 s[24:25], 0, v13
	s_waitcnt lgkmcnt(0)
	v_cndmask_b32_e64 v3, v59, v3, s[24:25]
	v_cmp_ne_u32_e64 s[24:25], 0, v2
	v_cndmask_b32_e64 v3, 0, v3, s[24:25]
	v_add_u32_e32 v6, v3, v6
	v_add_u32_e32 v7, v6, v7
	;; [unrolled: 1-line block ×4, first 2 shown]
	ds_write2_b32 v9, v3, v6 offset0:4 offset1:5
	ds_write2_b32 v57, v7, v4 offset0:2 offset1:3
	ds_write_b32 v57, v5 offset:16
	s_waitcnt lgkmcnt(0)
	s_barrier
	ds_read_b32 v5, v17 offset:16
	ds_read_b32 v6, v22 offset:16
	;; [unrolled: 1-line block ×13, first 2 shown]
	v_add_u32_e32 v9, 1, v2
	s_movk_i32 s24, 0x100
	v_cmp_ne_u32_e64 s[24:25], s24, v9
	v_mov_b32_e32 v3, 0xc00
	s_and_saveexec_b64 s[26:27], s[24:25]
	s_cbranch_execz .LBB198_57
; %bb.56:
	v_mul_u32_u24_e32 v3, 5, v9
	v_lshlrev_b32_e32 v3, 2, v3
	ds_read_b32 v3, v3 offset:16
.LBB198_57:
	s_or_b64 exec, exec, s[26:27]
	s_waitcnt lgkmcnt(1)
	v_add_u32_e32 v45, v11, v14
	v_add3_u32 v44, v18, v15, v5
	v_lshlrev_b32_e32 v5, 1, v45
	v_add3_u32 v43, v25, v20, v6
	s_waitcnt lgkmcnt(0)
	s_barrier
	ds_write_b16 v5, v8 offset:2048
	v_lshlrev_b32_e32 v5, 1, v44
	v_add3_u32 v42, v30, v27, v7
	ds_write_b16 v5, v10 offset:2048
	v_lshlrev_b32_e32 v5, 1, v43
	v_add3_u32 v41, v35, v32, v17
	;; [unrolled: 3-line block ×8, first 2 shown]
	ds_write_b16 v5, v31 offset:2048
	v_lshlrev_b32_e32 v5, 1, v36
	v_lshl_add_u32 v6, s6, 8, v2
	v_mov_b32_e32 v7, 0
	v_add3_u32 v34, v58, v23, v60
	ds_write_b16 v5, v26 offset:2048
	v_lshlrev_b32_e32 v5, 1, v35
	v_lshlrev_b64 v[8:9], 2, v[6:7]
	ds_write_b16 v5, v21 offset:2048
	v_lshlrev_b32_e32 v5, 1, v34
	v_sub_u32_e32 v32, v3, v4
	v_mov_b32_e32 v3, s73
	v_add_co_u32_e64 v8, s[24:25], s72, v8
	ds_write_b16 v5, v16 offset:2048
	v_addc_co_u32_e64 v9, s[24:25], v3, v9, s[24:25]
	v_or_b32_e32 v5, 2.0, v32
	s_waitcnt lgkmcnt(0)
	s_barrier
	global_store_dword v[8:9], v5, off
	s_mov_b64 s[26:27], 0
	s_brev_b32 s34, 1
	s_mov_b32 s35, s7
	v_mov_b32_e32 v5, 0
                                        ; implicit-def: $sgpr24_sgpr25
	s_branch .LBB198_59
.LBB198_58:                             ;   in Loop: Header=BB198_59 Depth=1
	s_or_b64 exec, exec, s[28:29]
	v_and_b32_e32 v10, 0x3fffffff, v14
	v_add_u32_e32 v5, v10, v5
	v_cmp_eq_u32_e64 s[24:25], s34, v6
	s_and_b64 s[28:29], exec, s[24:25]
	s_or_b64 s[26:27], s[28:29], s[26:27]
	s_andn2_b64 exec, exec, s[26:27]
	s_cbranch_execz .LBB198_65
.LBB198_59:                             ; =>This Loop Header: Depth=1
                                        ;     Child Loop BB198_62 Depth 2
	s_or_b64 s[24:25], s[24:25], exec
	s_cmp_eq_u32 s35, 0
	s_cbranch_scc1 .LBB198_64
; %bb.60:                               ;   in Loop: Header=BB198_59 Depth=1
	s_add_i32 s35, s35, -1
	v_lshl_add_u32 v6, s35, 8, v2
	v_lshlrev_b64 v[10:11], 2, v[6:7]
	v_add_co_u32_e64 v10, s[24:25], s72, v10
	v_addc_co_u32_e64 v11, s[24:25], v3, v11, s[24:25]
	global_load_dword v14, v[10:11], off glc
	s_waitcnt vmcnt(0)
	v_and_b32_e32 v6, -2.0, v14
	v_cmp_eq_u32_e64 s[24:25], 0, v6
	s_and_saveexec_b64 s[28:29], s[24:25]
	s_cbranch_execz .LBB198_58
; %bb.61:                               ;   in Loop: Header=BB198_59 Depth=1
	s_mov_b64 s[30:31], 0
.LBB198_62:                             ;   Parent Loop BB198_59 Depth=1
                                        ; =>  This Inner Loop Header: Depth=2
	global_load_dword v14, v[10:11], off glc
	s_waitcnt vmcnt(0)
	v_and_b32_e32 v6, -2.0, v14
	v_cmp_ne_u32_e64 s[24:25], 0, v6
	s_or_b64 s[30:31], s[24:25], s[30:31]
	s_andn2_b64 exec, exec, s[30:31]
	s_cbranch_execnz .LBB198_62
; %bb.63:                               ;   in Loop: Header=BB198_59 Depth=1
	s_or_b64 exec, exec, s[30:31]
	s_branch .LBB198_58
.LBB198_64:                             ;   in Loop: Header=BB198_59 Depth=1
                                        ; implicit-def: $sgpr35
	s_and_b64 s[28:29], exec, s[24:25]
	s_or_b64 s[26:27], s[28:29], s[26:27]
	s_andn2_b64 exec, exec, s[26:27]
	s_cbranch_execnz .LBB198_59
.LBB198_65:
	s_or_b64 exec, exec, s[26:27]
	v_add_u32_e32 v3, v5, v32
	v_or_b32_e32 v3, 0x80000000, v3
	global_store_dword v[8:9], v3, off
	v_lshlrev_b32_e32 v33, 3, v2
	global_load_dwordx2 v[6:7], v33, s[64:65]
	v_sub_co_u32_e64 v8, s[24:25], v5, v4
	v_subb_co_u32_e64 v9, s[24:25], 0, 0, s[24:25]
	v_mov_b32_e32 v3, 0
	v_mov_b32_e32 v5, v3
	s_waitcnt vmcnt(0)
	v_add_co_u32_e64 v6, s[24:25], v8, v6
	v_addc_co_u32_e64 v7, s[24:25], v9, v7, s[24:25]
	v_cmp_gt_u32_e64 s[24:25], s70, v2
	ds_write_b64 v33, v[6:7]
	s_waitcnt lgkmcnt(0)
	s_barrier
	s_and_saveexec_b64 s[28:29], s[24:25]
	s_cbranch_execz .LBB198_67
; %bb.66:
	v_mad_i32_i24 v6, v2, -6, v33
	ds_read_u16 v8, v6 offset:2048
	s_movk_i32 s26, 0x7fff
	v_mov_b32_e32 v9, 0xffff8000
	v_mov_b32_e32 v10, s59
	s_waitcnt lgkmcnt(0)
	v_cmp_ne_u16_e64 s[26:27], s26, v8
	v_cndmask_b32_e64 v6, v9, v8, s[26:27]
	v_lshrrev_b32_sdwa v6, s68, v6 dst_sel:DWORD dst_unused:UNUSED_PAD src0_sel:DWORD src1_sel:WORD_0
	v_and_b32_e32 v6, s74, v6
	v_lshlrev_b32_e32 v6, 3, v6
	ds_read_b64 v[6:7], v6
	v_cmp_lt_i16_e64 s[26:27], -1, v8
	v_cndmask_b32_e64 v9, v9, -1, s[26:27]
	v_xor_b32_e32 v8, v9, v8
	v_lshlrev_b32_e32 v9, 1, v2
	s_waitcnt lgkmcnt(0)
	v_lshlrev_b64 v[6:7], 1, v[6:7]
	v_add_co_u32_e64 v6, s[26:27], s58, v6
	v_addc_co_u32_e64 v7, s[26:27], v10, v7, s[26:27]
	v_add_co_u32_e64 v6, s[26:27], v6, v9
	v_addc_co_u32_e64 v7, s[26:27], 0, v7, s[26:27]
	global_store_short v[6:7], v8, off
.LBB198_67:
	s_or_b64 exec, exec, s[28:29]
	v_add_u32_e32 v6, 0x100, v2
	v_cmp_gt_u32_e64 s[26:27], s70, v6
	s_and_saveexec_b64 s[30:31], s[26:27]
	s_cbranch_execz .LBB198_69
; %bb.68:
	v_lshlrev_b32_e32 v8, 1, v2
	ds_read_u16 v9, v8 offset:2560
	s_movk_i32 s28, 0x7fff
	v_mov_b32_e32 v10, 0xffff8000
	v_mov_b32_e32 v11, s59
	s_waitcnt lgkmcnt(0)
	v_cmp_ne_u16_e64 s[28:29], s28, v9
	v_cndmask_b32_e64 v6, v10, v9, s[28:29]
	v_lshrrev_b32_sdwa v6, s68, v6 dst_sel:DWORD dst_unused:UNUSED_PAD src0_sel:DWORD src1_sel:WORD_0
	v_and_b32_e32 v6, s74, v6
	v_lshlrev_b32_e32 v6, 3, v6
	ds_read_b64 v[6:7], v6
	v_cmp_lt_i16_e64 s[28:29], -1, v9
	v_cndmask_b32_e64 v10, v10, -1, s[28:29]
	v_xor_b32_e32 v9, v10, v9
	s_waitcnt lgkmcnt(0)
	v_lshlrev_b64 v[6:7], 1, v[6:7]
	v_add_co_u32_e64 v6, s[28:29], s58, v6
	v_addc_co_u32_e64 v7, s[28:29], v11, v7, s[28:29]
	v_add_co_u32_e64 v6, s[28:29], v6, v8
	v_addc_co_u32_e64 v7, s[28:29], 0, v7, s[28:29]
	global_store_short v[6:7], v9, off offset:512
.LBB198_69:
	s_or_b64 exec, exec, s[30:31]
	v_add_u32_e32 v46, 0x200, v2
	v_cmp_gt_u32_e64 s[28:29], s70, v46
	s_and_saveexec_b64 s[34:35], s[28:29]
	s_cbranch_execz .LBB198_71
; %bb.70:
	v_lshlrev_b32_e32 v8, 1, v2
	ds_read_u16 v9, v8 offset:3072
	s_movk_i32 s30, 0x7fff
	v_mov_b32_e32 v10, 0xffff8000
	v_mov_b32_e32 v11, s59
	s_waitcnt lgkmcnt(0)
	v_cmp_ne_u16_e64 s[30:31], s30, v9
	v_cndmask_b32_e64 v6, v10, v9, s[30:31]
	v_lshrrev_b32_sdwa v6, s68, v6 dst_sel:DWORD dst_unused:UNUSED_PAD src0_sel:DWORD src1_sel:WORD_0
	v_and_b32_e32 v6, s74, v6
	v_lshlrev_b32_e32 v6, 3, v6
	ds_read_b64 v[6:7], v6
	v_cmp_lt_i16_e64 s[30:31], -1, v9
	v_cndmask_b32_e64 v10, v10, -1, s[30:31]
	v_xor_b32_e32 v9, v10, v9
	s_waitcnt lgkmcnt(0)
	v_lshlrev_b64 v[6:7], 1, v[6:7]
	v_add_co_u32_e64 v6, s[30:31], s58, v6
	v_addc_co_u32_e64 v7, s[30:31], v11, v7, s[30:31]
	v_add_co_u32_e64 v6, s[30:31], v6, v8
	v_addc_co_u32_e64 v7, s[30:31], 0, v7, s[30:31]
	global_store_short v[6:7], v9, off offset:1024
.LBB198_71:
	;; [unrolled: 29-line block ×3, first 2 shown]
	s_or_b64 exec, exec, s[36:37]
	v_or_b32_e32 v48, 0x400, v2
	v_cmp_gt_u32_e64 s[34:35], s70, v48
	s_and_saveexec_b64 s[38:39], s[34:35]
	s_cbranch_execz .LBB198_75
; %bb.74:
	v_lshlrev_b32_e32 v8, 1, v2
	ds_read_u16 v9, v8 offset:4096
	s_movk_i32 s36, 0x7fff
	v_mov_b32_e32 v10, 0xffff8000
	v_mov_b32_e32 v11, s59
	s_waitcnt lgkmcnt(0)
	v_cmp_ne_u16_e64 s[36:37], s36, v9
	v_cndmask_b32_e64 v6, v10, v9, s[36:37]
	v_lshrrev_b32_sdwa v6, s68, v6 dst_sel:DWORD dst_unused:UNUSED_PAD src0_sel:DWORD src1_sel:WORD_0
	v_and_b32_e32 v6, s74, v6
	v_lshlrev_b32_e32 v6, 3, v6
	ds_read_b64 v[6:7], v6
	v_cmp_lt_i16_e64 s[36:37], -1, v9
	v_cndmask_b32_e64 v10, v10, -1, s[36:37]
	v_xor_b32_e32 v9, v10, v9
	s_waitcnt lgkmcnt(0)
	v_lshlrev_b64 v[6:7], 1, v[6:7]
	v_add_co_u32_e64 v6, s[36:37], s58, v6
	v_addc_co_u32_e64 v7, s[36:37], v11, v7, s[36:37]
	v_add_co_u32_e64 v6, s[36:37], v6, v8
	v_addc_co_u32_e64 v7, s[36:37], 0, v7, s[36:37]
	global_store_short v[6:7], v9, off offset:2048
.LBB198_75:
	s_or_b64 exec, exec, s[38:39]
	v_add_u32_e32 v49, 0x500, v2
	v_cmp_gt_u32_e64 s[36:37], s70, v49
	s_and_saveexec_b64 s[40:41], s[36:37]
	s_cbranch_execz .LBB198_77
; %bb.76:
	v_lshlrev_b32_e32 v8, 1, v2
	ds_read_u16 v9, v8 offset:4608
	s_movk_i32 s38, 0x7fff
	v_mov_b32_e32 v10, 0xffff8000
	v_mov_b32_e32 v11, s59
	s_waitcnt lgkmcnt(0)
	v_cmp_ne_u16_e64 s[38:39], s38, v9
	v_cndmask_b32_e64 v6, v10, v9, s[38:39]
	v_lshrrev_b32_sdwa v6, s68, v6 dst_sel:DWORD dst_unused:UNUSED_PAD src0_sel:DWORD src1_sel:WORD_0
	v_and_b32_e32 v6, s74, v6
	v_lshlrev_b32_e32 v6, 3, v6
	ds_read_b64 v[6:7], v6
	v_cmp_lt_i16_e64 s[38:39], -1, v9
	v_cndmask_b32_e64 v10, v10, -1, s[38:39]
	v_xor_b32_e32 v9, v10, v9
	s_waitcnt lgkmcnt(0)
	v_lshlrev_b64 v[6:7], 1, v[6:7]
	v_add_co_u32_e64 v6, s[38:39], s58, v6
	v_addc_co_u32_e64 v7, s[38:39], v11, v7, s[38:39]
	v_add_co_u32_e64 v6, s[38:39], v6, v8
	v_addc_co_u32_e64 v7, s[38:39], 0, v7, s[38:39]
	global_store_short v[6:7], v9, off offset:2560
.LBB198_77:
	s_or_b64 exec, exec, s[40:41]
	v_add_u32_e32 v50, 0x600, v2
	;; [unrolled: 29-line block ×3, first 2 shown]
	v_cmp_gt_u32_e64 s[40:41], s70, v51
	s_and_saveexec_b64 s[44:45], s[40:41]
	s_cbranch_execz .LBB198_81
; %bb.80:
	v_lshlrev_b32_e32 v8, 1, v2
	ds_read_u16 v9, v8 offset:5632
	s_movk_i32 s42, 0x7fff
	v_mov_b32_e32 v10, 0xffff8000
	v_mov_b32_e32 v11, s59
	s_waitcnt lgkmcnt(0)
	v_cmp_ne_u16_e64 s[42:43], s42, v9
	v_cndmask_b32_e64 v6, v10, v9, s[42:43]
	v_lshrrev_b32_sdwa v6, s68, v6 dst_sel:DWORD dst_unused:UNUSED_PAD src0_sel:DWORD src1_sel:WORD_0
	v_and_b32_e32 v6, s74, v6
	v_lshlrev_b32_e32 v6, 3, v6
	ds_read_b64 v[6:7], v6
	v_cmp_lt_i16_e64 s[42:43], -1, v9
	v_cndmask_b32_e64 v10, v10, -1, s[42:43]
	v_xor_b32_e32 v9, v10, v9
	s_waitcnt lgkmcnt(0)
	v_lshlrev_b64 v[6:7], 1, v[6:7]
	v_add_co_u32_e64 v6, s[42:43], s58, v6
	v_addc_co_u32_e64 v7, s[42:43], v11, v7, s[42:43]
	v_add_co_u32_e64 v6, s[42:43], v6, v8
	v_addc_co_u32_e64 v7, s[42:43], 0, v7, s[42:43]
	global_store_short v[6:7], v9, off offset:3584
.LBB198_81:
	s_or_b64 exec, exec, s[44:45]
	v_or_b32_e32 v52, 0x800, v2
	v_cmp_gt_u32_e64 s[42:43], s70, v52
	s_and_saveexec_b64 s[46:47], s[42:43]
	s_cbranch_execz .LBB198_83
; %bb.82:
	v_lshlrev_b32_e32 v6, 1, v2
	ds_read_u16 v8, v6 offset:6144
	s_movk_i32 s44, 0x7fff
	v_mov_b32_e32 v9, 0xffff8000
	v_mov_b32_e32 v10, s59
	s_waitcnt lgkmcnt(0)
	v_cmp_ne_u16_e64 s[44:45], s44, v8
	v_cndmask_b32_e64 v6, v9, v8, s[44:45]
	v_lshrrev_b32_sdwa v6, s68, v6 dst_sel:DWORD dst_unused:UNUSED_PAD src0_sel:DWORD src1_sel:WORD_0
	v_and_b32_e32 v6, s74, v6
	v_lshlrev_b32_e32 v6, 3, v6
	ds_read_b64 v[6:7], v6
	v_cmp_lt_i16_e64 s[44:45], -1, v8
	v_cndmask_b32_e64 v9, v9, -1, s[44:45]
	v_xor_b32_e32 v8, v9, v8
	v_lshlrev_b32_e32 v9, 1, v52
	s_waitcnt lgkmcnt(0)
	v_lshlrev_b64 v[6:7], 1, v[6:7]
	v_add_co_u32_e64 v6, s[44:45], s58, v6
	v_addc_co_u32_e64 v7, s[44:45], v10, v7, s[44:45]
	v_add_co_u32_e64 v6, s[44:45], v6, v9
	v_addc_co_u32_e64 v7, s[44:45], 0, v7, s[44:45]
	global_store_short v[6:7], v8, off
.LBB198_83:
	s_or_b64 exec, exec, s[46:47]
	v_add_u32_e32 v53, 0x900, v2
	v_cmp_gt_u32_e64 s[44:45], s70, v53
	s_and_saveexec_b64 s[48:49], s[44:45]
	s_cbranch_execz .LBB198_85
; %bb.84:
	v_lshlrev_b32_e32 v6, 1, v2
	ds_read_u16 v8, v6 offset:6656
	s_movk_i32 s46, 0x7fff
	v_mov_b32_e32 v9, 0xffff8000
	v_mov_b32_e32 v10, s59
	s_waitcnt lgkmcnt(0)
	v_cmp_ne_u16_e64 s[46:47], s46, v8
	v_cndmask_b32_e64 v6, v9, v8, s[46:47]
	v_lshrrev_b32_sdwa v6, s68, v6 dst_sel:DWORD dst_unused:UNUSED_PAD src0_sel:DWORD src1_sel:WORD_0
	v_and_b32_e32 v6, s74, v6
	v_lshlrev_b32_e32 v6, 3, v6
	ds_read_b64 v[6:7], v6
	v_cmp_lt_i16_e64 s[46:47], -1, v8
	v_cndmask_b32_e64 v9, v9, -1, s[46:47]
	v_xor_b32_e32 v8, v9, v8
	v_lshlrev_b32_e32 v9, 1, v53
	s_waitcnt lgkmcnt(0)
	v_lshlrev_b64 v[6:7], 1, v[6:7]
	v_add_co_u32_e64 v6, s[46:47], s58, v6
	v_addc_co_u32_e64 v7, s[46:47], v10, v7, s[46:47]
	v_add_co_u32_e64 v6, s[46:47], v6, v9
	v_addc_co_u32_e64 v7, s[46:47], 0, v7, s[46:47]
	global_store_short v[6:7], v8, off
.LBB198_85:
	s_or_b64 exec, exec, s[48:49]
	v_add_u32_e32 v54, 0xa00, v2
	;; [unrolled: 30-line block ×3, first 2 shown]
	v_cmp_gt_u32_e64 s[48:49], s70, v55
	s_and_saveexec_b64 s[70:71], s[48:49]
	s_cbranch_execz .LBB198_89
; %bb.88:
	v_lshlrev_b32_e32 v6, 1, v2
	ds_read_u16 v8, v6 offset:7680
	s_movk_i32 s52, 0x7fff
	v_mov_b32_e32 v9, 0xffff8000
	v_mov_b32_e32 v10, s59
	s_waitcnt lgkmcnt(0)
	v_cmp_ne_u16_e64 s[52:53], s52, v8
	v_cndmask_b32_e64 v6, v9, v8, s[52:53]
	v_lshrrev_b32_sdwa v6, s68, v6 dst_sel:DWORD dst_unused:UNUSED_PAD src0_sel:DWORD src1_sel:WORD_0
	v_and_b32_e32 v6, s74, v6
	v_lshlrev_b32_e32 v6, 3, v6
	ds_read_b64 v[6:7], v6
	v_cmp_lt_i16_e64 s[52:53], -1, v8
	v_cndmask_b32_e64 v9, v9, -1, s[52:53]
	v_xor_b32_e32 v8, v9, v8
	v_lshlrev_b32_e32 v9, 1, v55
	s_waitcnt lgkmcnt(0)
	v_lshlrev_b64 v[6:7], 1, v[6:7]
	v_add_co_u32_e64 v6, s[52:53], s58, v6
	v_addc_co_u32_e64 v7, s[52:53], v10, v7, s[52:53]
	v_add_co_u32_e64 v6, s[52:53], v6, v9
	v_addc_co_u32_e64 v7, s[52:53], 0, v7, s[52:53]
	global_store_short v[6:7], v8, off
.LBB198_89:
	s_or_b64 exec, exec, s[70:71]
	s_lshl_b64 s[52:53], s[54:55], 3
	s_add_u32 s52, s60, s52
	s_addc_u32 s53, s61, s53
	v_lshlrev_b32_e32 v6, 3, v13
	v_mov_b32_e32 v7, s53
	v_add_co_u32_e64 v6, s[52:53], s52, v6
	v_addc_co_u32_e64 v7, s[52:53], 0, v7, s[52:53]
	v_lshlrev_b32_e32 v8, 3, v12
	v_add_co_u32_e64 v30, s[52:53], v6, v8
	v_addc_co_u32_e64 v31, s[52:53], 0, v7, s[52:53]
                                        ; implicit-def: $vgpr6_vgpr7
	s_and_saveexec_b64 s[52:53], vcc
	s_xor_b64 s[52:53], exec, s[52:53]
	s_cbranch_execnz .LBB198_174
; %bb.90:
	s_or_b64 exec, exec, s[52:53]
                                        ; implicit-def: $vgpr8_vgpr9
	s_and_saveexec_b64 s[52:53], s[0:1]
	s_cbranch_execnz .LBB198_175
.LBB198_91:
	s_or_b64 exec, exec, s[52:53]
                                        ; implicit-def: $vgpr10_vgpr11
	s_and_saveexec_b64 s[0:1], s[2:3]
	s_cbranch_execnz .LBB198_176
.LBB198_92:
	s_or_b64 exec, exec, s[0:1]
                                        ; implicit-def: $vgpr12_vgpr13
	s_and_saveexec_b64 s[0:1], s[50:51]
	s_cbranch_execnz .LBB198_177
.LBB198_93:
	s_or_b64 exec, exec, s[0:1]
                                        ; implicit-def: $vgpr14_vgpr15
	s_and_saveexec_b64 s[0:1], s[8:9]
	s_cbranch_execnz .LBB198_178
.LBB198_94:
	s_or_b64 exec, exec, s[0:1]
                                        ; implicit-def: $vgpr16_vgpr17
	s_and_saveexec_b64 s[0:1], s[12:13]
	s_cbranch_execnz .LBB198_179
.LBB198_95:
	s_or_b64 exec, exec, s[0:1]
                                        ; implicit-def: $vgpr18_vgpr19
	s_and_saveexec_b64 s[0:1], s[16:17]
	s_cbranch_execnz .LBB198_180
.LBB198_96:
	s_or_b64 exec, exec, s[0:1]
                                        ; implicit-def: $vgpr20_vgpr21
	s_and_saveexec_b64 s[0:1], s[20:21]
	s_cbranch_execnz .LBB198_181
.LBB198_97:
	s_or_b64 exec, exec, s[0:1]
                                        ; implicit-def: $vgpr22_vgpr23
	s_and_saveexec_b64 s[0:1], s[22:23]
	s_cbranch_execnz .LBB198_182
.LBB198_98:
	s_or_b64 exec, exec, s[0:1]
                                        ; implicit-def: $vgpr24_vgpr25
	s_and_saveexec_b64 s[0:1], s[18:19]
	s_cbranch_execnz .LBB198_183
.LBB198_99:
	s_or_b64 exec, exec, s[0:1]
                                        ; implicit-def: $vgpr26_vgpr27
	s_and_saveexec_b64 s[0:1], s[14:15]
	s_cbranch_execnz .LBB198_184
.LBB198_100:
	s_or_b64 exec, exec, s[0:1]
                                        ; implicit-def: $vgpr28_vgpr29
	s_and_saveexec_b64 s[0:1], s[10:11]
	s_cbranch_execnz .LBB198_185
.LBB198_101:
	s_or_b64 exec, exec, s[0:1]
                                        ; implicit-def: $vgpr65
	s_and_saveexec_b64 s[0:1], s[24:25]
	s_cbranch_execnz .LBB198_186
.LBB198_102:
	s_or_b64 exec, exec, s[0:1]
                                        ; implicit-def: $vgpr64
	s_and_saveexec_b64 s[0:1], s[26:27]
	s_cbranch_execnz .LBB198_187
.LBB198_103:
	s_or_b64 exec, exec, s[0:1]
                                        ; implicit-def: $vgpr63
	s_and_saveexec_b64 s[0:1], s[28:29]
	s_cbranch_execnz .LBB198_188
.LBB198_104:
	s_or_b64 exec, exec, s[0:1]
                                        ; implicit-def: $vgpr62
	s_and_saveexec_b64 s[0:1], s[30:31]
	s_cbranch_execnz .LBB198_189
.LBB198_105:
	s_or_b64 exec, exec, s[0:1]
                                        ; implicit-def: $vgpr61
	s_and_saveexec_b64 s[0:1], s[34:35]
	s_cbranch_execnz .LBB198_190
.LBB198_106:
	s_or_b64 exec, exec, s[0:1]
                                        ; implicit-def: $vgpr60
	s_and_saveexec_b64 s[0:1], s[36:37]
	s_cbranch_execnz .LBB198_191
.LBB198_107:
	s_or_b64 exec, exec, s[0:1]
                                        ; implicit-def: $vgpr59
	s_and_saveexec_b64 s[0:1], s[38:39]
	s_cbranch_execnz .LBB198_192
.LBB198_108:
	s_or_b64 exec, exec, s[0:1]
                                        ; implicit-def: $vgpr58
	s_and_saveexec_b64 s[0:1], s[40:41]
	s_cbranch_execnz .LBB198_193
.LBB198_109:
	s_or_b64 exec, exec, s[0:1]
                                        ; implicit-def: $vgpr57
	s_and_saveexec_b64 s[0:1], s[42:43]
	s_cbranch_execz .LBB198_111
.LBB198_110:
	v_lshlrev_b32_e32 v30, 1, v2
	ds_read_u16 v30, v30 offset:6144
	s_movk_i32 s2, 0x7fff
	v_mov_b32_e32 v31, 0xffff8000
	s_waitcnt lgkmcnt(0)
	v_cmp_ne_u16_e32 vcc, s2, v30
	v_cndmask_b32_e32 v30, v31, v30, vcc
	v_lshrrev_b32_sdwa v30, s68, v30 dst_sel:DWORD dst_unused:UNUSED_PAD src0_sel:DWORD src1_sel:WORD_0
	v_and_b32_e32 v57, s74, v30
.LBB198_111:
	s_or_b64 exec, exec, s[0:1]
	v_mov_b32_e32 v30, 0
	v_mov_b32_e32 v56, 0
	s_and_saveexec_b64 s[0:1], s[44:45]
	s_cbranch_execnz .LBB198_194
; %bb.112:
	s_or_b64 exec, exec, s[0:1]
	s_and_saveexec_b64 s[0:1], s[46:47]
	s_cbranch_execnz .LBB198_195
.LBB198_113:
	s_or_b64 exec, exec, s[0:1]
	v_mov_b32_e32 v31, 0
	s_and_saveexec_b64 s[0:1], s[48:49]
	s_cbranch_execz .LBB198_115
.LBB198_114:
	v_lshlrev_b32_e32 v31, 1, v2
	ds_read_u16 v31, v31 offset:7680
	s_movk_i32 s2, 0x7fff
	v_mov_b32_e32 v66, 0xffff8000
	s_waitcnt lgkmcnt(0)
	v_cmp_ne_u16_e32 vcc, s2, v31
	v_cndmask_b32_e32 v31, v66, v31, vcc
	v_lshrrev_b32_sdwa v31, s68, v31 dst_sel:DWORD dst_unused:UNUSED_PAD src0_sel:DWORD src1_sel:WORD_0
	v_and_b32_e32 v31, s74, v31
.LBB198_115:
	s_or_b64 exec, exec, s[0:1]
	v_lshlrev_b32_e32 v45, 3, v45
	s_barrier
	s_waitcnt vmcnt(0)
	ds_write_b64 v45, v[6:7] offset:2048
	v_lshlrev_b32_e32 v6, 3, v44
	ds_write_b64 v6, v[8:9] offset:2048
	v_lshlrev_b32_e32 v6, 3, v43
	;; [unrolled: 2-line block ×11, first 2 shown]
	ds_write_b64 v6, v[28:29] offset:2048
	s_waitcnt lgkmcnt(0)
	s_barrier
	s_and_saveexec_b64 s[0:1], s[24:25]
	s_cbranch_execnz .LBB198_196
; %bb.116:
	s_or_b64 exec, exec, s[0:1]
	s_and_saveexec_b64 s[0:1], s[26:27]
	s_cbranch_execnz .LBB198_197
.LBB198_117:
	s_or_b64 exec, exec, s[0:1]
	s_and_saveexec_b64 s[0:1], s[28:29]
	s_cbranch_execnz .LBB198_198
.LBB198_118:
	s_or_b64 exec, exec, s[0:1]
	s_and_saveexec_b64 s[0:1], s[30:31]
	s_cbranch_execnz .LBB198_199
.LBB198_119:
	s_or_b64 exec, exec, s[0:1]
	s_and_saveexec_b64 s[0:1], s[34:35]
	s_cbranch_execnz .LBB198_200
.LBB198_120:
	s_or_b64 exec, exec, s[0:1]
	s_and_saveexec_b64 s[0:1], s[36:37]
	s_cbranch_execnz .LBB198_201
.LBB198_121:
	s_or_b64 exec, exec, s[0:1]
	s_and_saveexec_b64 s[0:1], s[38:39]
	s_cbranch_execnz .LBB198_202
.LBB198_122:
	s_or_b64 exec, exec, s[0:1]
	s_and_saveexec_b64 s[0:1], s[40:41]
	s_cbranch_execnz .LBB198_203
.LBB198_123:
	s_or_b64 exec, exec, s[0:1]
	s_and_saveexec_b64 s[0:1], s[42:43]
	s_cbranch_execnz .LBB198_204
.LBB198_124:
	s_or_b64 exec, exec, s[0:1]
	s_and_saveexec_b64 s[0:1], s[44:45]
	s_cbranch_execnz .LBB198_205
.LBB198_125:
	s_or_b64 exec, exec, s[0:1]
	s_and_saveexec_b64 s[0:1], s[46:47]
	s_cbranch_execnz .LBB198_206
.LBB198_126:
	s_or_b64 exec, exec, s[0:1]
	s_and_saveexec_b64 s[0:1], s[48:49]
	s_cbranch_execz .LBB198_128
.LBB198_127:
	v_lshlrev_b32_e32 v6, 3, v31
	ds_read_b64 v[6:7], v6
	v_lshlrev_b32_e32 v8, 3, v2
	ds_read_b64 v[8:9], v8 offset:24576
	v_mov_b32_e32 v10, s63
	s_waitcnt lgkmcnt(1)
	v_lshlrev_b64 v[6:7], 3, v[6:7]
	v_add_co_u32_e32 v6, vcc, s62, v6
	v_addc_co_u32_e32 v7, vcc, v10, v7, vcc
	v_lshlrev_b32_e32 v10, 3, v55
	v_add_co_u32_e32 v6, vcc, v6, v10
	v_addc_co_u32_e32 v7, vcc, 0, v7, vcc
	s_waitcnt lgkmcnt(0)
	global_store_dwordx2 v[6:7], v[8:9], off
.LBB198_128:
	s_or_b64 exec, exec, s[0:1]
	s_add_i32 s33, s33, -1
	s_cmp_eq_u32 s6, s33
	s_cselect_b64 s[0:1], -1, 0
	s_branch .LBB198_171
.LBB198_129:
	s_mov_b64 s[0:1], 0
                                        ; implicit-def: $vgpr33
                                        ; implicit-def: $vgpr2_vgpr3
                                        ; implicit-def: $vgpr4_vgpr5
                                        ; implicit-def: $vgpr32
	s_cbranch_execz .LBB198_171
; %bb.130:
	s_mov_b32 s55, 0
	s_lshl_b64 s[0:1], s[54:55], 1
	v_mbcnt_hi_u32_b32 v10, -1, v1
	s_add_u32 s0, s56, s0
	v_lshlrev_b32_e32 v1, 1, v10
	v_and_b32_e32 v2, 0x3ff, v0
	v_add_co_u32_e32 v1, vcc, s0, v1
	s_load_dword s8, s[4:5], 0x50
	s_load_dword s0, s[4:5], 0x5c
	s_addc_u32 s1, s57, s1
	v_and_b32_e32 v8, 0xc0, v2
	v_mul_u32_u24_e32 v3, 12, v8
	v_mov_b32_e32 v5, s1
	v_addc_co_u32_e32 v5, vcc, 0, v5, vcc
	v_lshlrev_b32_e32 v6, 1, v3
	v_add_co_u32_e32 v14, vcc, v1, v6
	s_add_u32 s1, s4, 0x50
	v_addc_co_u32_e32 v15, vcc, 0, v5, vcc
	s_addc_u32 s2, s5, 0
	s_waitcnt lgkmcnt(0)
	s_lshr_b32 s3, s0, 16
	global_load_ushort v1, v[14:15], off
	s_cmp_lt_u32 s6, s8
	s_cselect_b32 s0, 12, 18
	s_add_u32 s0, s1, s0
	v_mov_b32_e32 v4, 0
	s_addc_u32 s1, s2, 0
	global_load_ushort v5, v4, s[0:1]
	v_mul_u32_u24_e32 v7, 5, v2
	v_lshlrev_b32_e32 v7, 2, v7
	ds_write2_b32 v7, v4, v4 offset0:4 offset1:5
	ds_write2_b32 v7, v4, v4 offset0:6 offset1:7
	ds_write_b32 v7, v4 offset:32
	global_load_ushort v12, v[14:15], off offset:128
	global_load_ushort v16, v[14:15], off offset:256
	;; [unrolled: 1-line block ×11, first 2 shown]
	v_mov_b32_e32 v13, 0xffff8000
	v_bfe_u32 v6, v0, 10, 10
	v_bfe_u32 v0, v0, 20, 10
	v_mad_u32_u24 v0, v0, s3, v6
	s_movk_i32 s2, 0x7fff
	s_lshl_b32 s0, -1, s69
	s_not_b32 s9, s0
	s_waitcnt lgkmcnt(0)
	s_barrier
	s_waitcnt lgkmcnt(0)
	; wave barrier
	s_waitcnt vmcnt(12)
	v_cmp_lt_i16_e32 vcc, -1, v1
	v_cndmask_b32_e32 v6, -1, v13, vcc
	v_xor_b32_e32 v6, v6, v1
	v_cmp_ne_u16_e32 vcc, s2, v6
	v_cndmask_b32_e32 v9, v13, v6, vcc
	s_waitcnt vmcnt(11)
	v_mad_u64_u32 v[0:1], s[0:1], v0, v5, v[2:3]
	v_lshrrev_b32_sdwa v1, s68, v9 dst_sel:DWORD dst_unused:UNUSED_PAD src0_sel:DWORD src1_sel:WORD_0
	v_lshrrev_b32_e32 v18, 6, v0
	v_and_b32_e32 v0, s9, v1
	v_mul_u32_u24_e32 v1, 5, v0
	v_and_b32_e32 v11, 1, v0
	v_add_lshl_u32 v9, v18, v1, 2
	v_add_co_u32_e32 v1, vcc, -1, v11
	v_lshlrev_b32_e32 v5, 30, v0
	v_addc_co_u32_e64 v14, s[0:1], 0, -1, vcc
	v_cmp_ne_u32_e32 vcc, 0, v11
	v_cmp_gt_i64_e64 s[0:1], 0, v[4:5]
	v_not_b32_e32 v11, v5
	v_lshlrev_b32_e32 v5, 29, v0
	v_xor_b32_e32 v14, vcc_hi, v14
	v_xor_b32_e32 v1, vcc_lo, v1
	v_ashrrev_i32_e32 v11, 31, v11
	v_cmp_gt_i64_e32 vcc, 0, v[4:5]
	v_not_b32_e32 v15, v5
	v_lshlrev_b32_e32 v5, 28, v0
	v_and_b32_e32 v14, exec_hi, v14
	v_and_b32_e32 v1, exec_lo, v1
	v_xor_b32_e32 v19, s1, v11
	v_xor_b32_e32 v11, s0, v11
	v_ashrrev_i32_e32 v15, 31, v15
	v_cmp_gt_i64_e64 s[0:1], 0, v[4:5]
	v_not_b32_e32 v5, v5
	v_and_b32_e32 v14, v14, v19
	v_and_b32_e32 v1, v1, v11
	v_xor_b32_e32 v11, vcc_hi, v15
	v_xor_b32_e32 v15, vcc_lo, v15
	v_ashrrev_i32_e32 v5, 31, v5
	v_and_b32_e32 v11, v14, v11
	v_and_b32_e32 v1, v1, v15
	v_xor_b32_e32 v14, s1, v5
	v_xor_b32_e32 v5, s0, v5
	v_and_b32_e32 v1, v1, v5
	v_lshlrev_b32_e32 v5, 27, v0
	v_cmp_gt_i64_e32 vcc, 0, v[4:5]
	v_not_b32_e32 v5, v5
	v_ashrrev_i32_e32 v5, 31, v5
	v_and_b32_e32 v11, v11, v14
	v_xor_b32_e32 v14, vcc_hi, v5
	v_xor_b32_e32 v5, vcc_lo, v5
	v_and_b32_e32 v1, v1, v5
	v_lshlrev_b32_e32 v5, 26, v0
	v_cmp_gt_i64_e32 vcc, 0, v[4:5]
	v_not_b32_e32 v5, v5
	v_ashrrev_i32_e32 v5, 31, v5
	v_and_b32_e32 v11, v11, v14
	v_xor_b32_e32 v14, vcc_hi, v5
	v_xor_b32_e32 v5, vcc_lo, v5
	;; [unrolled: 8-line block ×3, first 2 shown]
	v_and_b32_e32 v11, v11, v14
	v_and_b32_e32 v14, v1, v5
	v_lshlrev_b32_e32 v5, 24, v0
	v_not_b32_e32 v0, v5
	v_cmp_gt_i64_e32 vcc, 0, v[4:5]
	v_ashrrev_i32_e32 v0, 31, v0
	v_xor_b32_e32 v1, vcc_hi, v0
	v_xor_b32_e32 v0, vcc_lo, v0
	v_and_b32_e32 v0, v14, v0
	v_and_b32_e32 v1, v11, v1
	v_mbcnt_lo_u32_b32 v5, v0, 0
	v_mbcnt_hi_u32_b32 v11, v1, v5
	v_cmp_eq_u32_e32 vcc, 0, v11
	v_cmp_ne_u64_e64 s[0:1], 0, v[0:1]
	s_and_b64 s[4:5], s[0:1], vcc
	s_and_saveexec_b64 s[0:1], s[4:5]
	s_cbranch_execz .LBB198_132
; %bb.131:
	v_bcnt_u32_b32 v0, v0, 0
	v_bcnt_u32_b32 v0, v1, v0
	ds_write_b32 v9, v0 offset:16
.LBB198_132:
	s_or_b64 exec, exec, s[0:1]
	s_waitcnt vmcnt(10)
	v_cmp_lt_i16_e32 vcc, -1, v12
	v_cndmask_b32_e32 v0, -1, v13, vcc
	v_xor_b32_e32 v12, v0, v12
	v_cmp_ne_u16_e32 vcc, s2, v12
	v_cndmask_b32_e32 v0, v13, v12, vcc
	v_lshrrev_b32_sdwa v0, s68, v0 dst_sel:DWORD dst_unused:UNUSED_PAD src0_sel:DWORD src1_sel:WORD_0
	v_and_b32_e32 v0, s9, v0
	v_mul_u32_u24_e32 v1, 5, v0
	v_add_lshl_u32 v14, v18, v1, 2
	v_and_b32_e32 v1, 1, v0
	v_add_co_u32_e32 v5, vcc, -1, v1
	v_addc_co_u32_e64 v15, s[0:1], 0, -1, vcc
	v_cmp_ne_u32_e32 vcc, 0, v1
	v_xor_b32_e32 v5, vcc_lo, v5
	v_xor_b32_e32 v1, vcc_hi, v15
	v_and_b32_e32 v15, exec_lo, v5
	v_lshlrev_b32_e32 v5, 30, v0
	v_cmp_gt_i64_e32 vcc, 0, v[4:5]
	v_not_b32_e32 v5, v5
	v_ashrrev_i32_e32 v5, 31, v5
	v_xor_b32_e32 v19, vcc_hi, v5
	v_xor_b32_e32 v5, vcc_lo, v5
	v_and_b32_e32 v15, v15, v5
	v_lshlrev_b32_e32 v5, 29, v0
	v_cmp_gt_i64_e32 vcc, 0, v[4:5]
	v_not_b32_e32 v5, v5
	v_and_b32_e32 v1, exec_hi, v1
	v_ashrrev_i32_e32 v5, 31, v5
	v_and_b32_e32 v1, v1, v19
	v_xor_b32_e32 v19, vcc_hi, v5
	v_xor_b32_e32 v5, vcc_lo, v5
	v_and_b32_e32 v15, v15, v5
	v_lshlrev_b32_e32 v5, 28, v0
	v_cmp_gt_i64_e32 vcc, 0, v[4:5]
	v_not_b32_e32 v5, v5
	v_ashrrev_i32_e32 v5, 31, v5
	v_and_b32_e32 v1, v1, v19
	v_xor_b32_e32 v19, vcc_hi, v5
	v_xor_b32_e32 v5, vcc_lo, v5
	v_and_b32_e32 v15, v15, v5
	v_lshlrev_b32_e32 v5, 27, v0
	v_cmp_gt_i64_e32 vcc, 0, v[4:5]
	v_not_b32_e32 v5, v5
	v_ashrrev_i32_e32 v5, 31, v5
	v_and_b32_e32 v1, v1, v19
	v_xor_b32_e32 v19, vcc_hi, v5
	v_xor_b32_e32 v5, vcc_lo, v5
	v_and_b32_e32 v15, v15, v5
	v_lshlrev_b32_e32 v5, 26, v0
	v_cmp_gt_i64_e32 vcc, 0, v[4:5]
	v_not_b32_e32 v5, v5
	v_ashrrev_i32_e32 v5, 31, v5
	v_and_b32_e32 v1, v1, v19
	v_xor_b32_e32 v19, vcc_hi, v5
	v_xor_b32_e32 v5, vcc_lo, v5
	v_and_b32_e32 v15, v15, v5
	v_lshlrev_b32_e32 v5, 25, v0
	v_cmp_gt_i64_e32 vcc, 0, v[4:5]
	v_not_b32_e32 v5, v5
	v_ashrrev_i32_e32 v5, 31, v5
	v_and_b32_e32 v1, v1, v19
	v_xor_b32_e32 v19, vcc_hi, v5
	v_xor_b32_e32 v5, vcc_lo, v5
	v_and_b32_e32 v15, v15, v5
	v_lshlrev_b32_e32 v5, 24, v0
	v_not_b32_e32 v0, v5
	v_cmp_gt_i64_e32 vcc, 0, v[4:5]
	v_ashrrev_i32_e32 v0, 31, v0
	v_xor_b32_e32 v4, vcc_hi, v0
	v_xor_b32_e32 v0, vcc_lo, v0
	; wave barrier
	ds_read_b32 v13, v14 offset:16
	v_and_b32_e32 v1, v1, v19
	v_and_b32_e32 v0, v15, v0
	;; [unrolled: 1-line block ×3, first 2 shown]
	v_mbcnt_lo_u32_b32 v4, v0, 0
	v_mbcnt_hi_u32_b32 v15, v1, v4
	v_cmp_eq_u32_e32 vcc, 0, v15
	v_cmp_ne_u64_e64 s[0:1], 0, v[0:1]
	s_and_b64 s[2:3], s[0:1], vcc
	; wave barrier
	s_and_saveexec_b64 s[0:1], s[2:3]
	s_cbranch_execz .LBB198_134
; %bb.133:
	v_bcnt_u32_b32 v0, v0, 0
	v_bcnt_u32_b32 v0, v1, v0
	s_waitcnt lgkmcnt(0)
	v_add_u32_e32 v0, v13, v0
	ds_write_b32 v14, v0 offset:16
.LBB198_134:
	s_or_b64 exec, exec, s[0:1]
	v_mov_b32_e32 v24, 0xffff8000
	s_waitcnt vmcnt(9)
	v_cmp_lt_i16_e32 vcc, -1, v16
	v_cndmask_b32_e32 v0, -1, v24, vcc
	v_xor_b32_e32 v16, v0, v16
	s_movk_i32 s2, 0x7fff
	v_cmp_ne_u16_e32 vcc, s2, v16
	v_cndmask_b32_e32 v0, v24, v16, vcc
	v_lshrrev_b32_sdwa v0, s68, v0 dst_sel:DWORD dst_unused:UNUSED_PAD src0_sel:DWORD src1_sel:WORD_0
	v_and_b32_e32 v4, s9, v0
	v_and_b32_e32 v1, 1, v4
	v_add_co_u32_e32 v5, vcc, -1, v1
	v_addc_co_u32_e64 v22, s[0:1], 0, -1, vcc
	v_cmp_ne_u32_e32 vcc, 0, v1
	v_mul_u32_u24_e32 v0, 5, v4
	v_xor_b32_e32 v1, vcc_hi, v22
	v_add_lshl_u32 v20, v18, v0, 2
	v_mov_b32_e32 v0, 0
	v_and_b32_e32 v22, exec_hi, v1
	v_lshlrev_b32_e32 v1, 30, v4
	v_xor_b32_e32 v5, vcc_lo, v5
	v_cmp_gt_i64_e32 vcc, 0, v[0:1]
	v_not_b32_e32 v1, v1
	v_ashrrev_i32_e32 v1, 31, v1
	v_and_b32_e32 v5, exec_lo, v5
	v_xor_b32_e32 v25, vcc_hi, v1
	v_xor_b32_e32 v1, vcc_lo, v1
	v_and_b32_e32 v5, v5, v1
	v_lshlrev_b32_e32 v1, 29, v4
	v_cmp_gt_i64_e32 vcc, 0, v[0:1]
	v_not_b32_e32 v1, v1
	v_ashrrev_i32_e32 v1, 31, v1
	v_and_b32_e32 v22, v22, v25
	v_xor_b32_e32 v25, vcc_hi, v1
	v_xor_b32_e32 v1, vcc_lo, v1
	v_and_b32_e32 v5, v5, v1
	v_lshlrev_b32_e32 v1, 28, v4
	v_cmp_gt_i64_e32 vcc, 0, v[0:1]
	v_not_b32_e32 v1, v1
	v_ashrrev_i32_e32 v1, 31, v1
	v_and_b32_e32 v22, v22, v25
	;; [unrolled: 8-line block ×5, first 2 shown]
	v_xor_b32_e32 v25, vcc_hi, v1
	v_xor_b32_e32 v1, vcc_lo, v1
	v_and_b32_e32 v22, v22, v25
	v_and_b32_e32 v25, v5, v1
	v_lshlrev_b32_e32 v1, 24, v4
	v_cmp_gt_i64_e32 vcc, 0, v[0:1]
	v_not_b32_e32 v1, v1
	v_ashrrev_i32_e32 v1, 31, v1
	v_xor_b32_e32 v4, vcc_hi, v1
	v_xor_b32_e32 v1, vcc_lo, v1
	; wave barrier
	ds_read_b32 v19, v20 offset:16
	v_and_b32_e32 v5, v22, v4
	v_and_b32_e32 v4, v25, v1
	v_mbcnt_lo_u32_b32 v1, v4, 0
	v_mbcnt_hi_u32_b32 v22, v5, v1
	v_cmp_eq_u32_e32 vcc, 0, v22
	v_cmp_ne_u64_e64 s[0:1], 0, v[4:5]
	s_and_b64 s[4:5], s[0:1], vcc
	; wave barrier
	s_and_saveexec_b64 s[0:1], s[4:5]
	s_cbranch_execz .LBB198_136
; %bb.135:
	v_bcnt_u32_b32 v1, v4, 0
	v_bcnt_u32_b32 v1, v5, v1
	s_waitcnt lgkmcnt(0)
	v_add_u32_e32 v1, v19, v1
	ds_write_b32 v20, v1 offset:16
.LBB198_136:
	s_or_b64 exec, exec, s[0:1]
	s_waitcnt vmcnt(8)
	v_cmp_lt_i16_e32 vcc, -1, v21
	v_cndmask_b32_e32 v1, -1, v24, vcc
	v_xor_b32_e32 v21, v1, v21
	v_cmp_ne_u16_e32 vcc, s2, v21
	v_cndmask_b32_e32 v1, v24, v21, vcc
	v_lshrrev_b32_sdwa v1, s68, v1 dst_sel:DWORD dst_unused:UNUSED_PAD src0_sel:DWORD src1_sel:WORD_0
	v_and_b32_e32 v4, s9, v1
	v_mul_u32_u24_e32 v1, 5, v4
	v_add_lshl_u32 v25, v18, v1, 2
	v_and_b32_e32 v1, 1, v4
	v_add_co_u32_e32 v5, vcc, -1, v1
	v_addc_co_u32_e64 v27, s[0:1], 0, -1, vcc
	v_cmp_ne_u32_e32 vcc, 0, v1
	v_xor_b32_e32 v1, vcc_hi, v27
	v_and_b32_e32 v27, exec_hi, v1
	v_lshlrev_b32_e32 v1, 30, v4
	v_xor_b32_e32 v5, vcc_lo, v5
	v_cmp_gt_i64_e32 vcc, 0, v[0:1]
	v_not_b32_e32 v1, v1
	v_ashrrev_i32_e32 v1, 31, v1
	v_and_b32_e32 v5, exec_lo, v5
	v_xor_b32_e32 v29, vcc_hi, v1
	v_xor_b32_e32 v1, vcc_lo, v1
	v_and_b32_e32 v5, v5, v1
	v_lshlrev_b32_e32 v1, 29, v4
	v_cmp_gt_i64_e32 vcc, 0, v[0:1]
	v_not_b32_e32 v1, v1
	v_ashrrev_i32_e32 v1, 31, v1
	v_and_b32_e32 v27, v27, v29
	v_xor_b32_e32 v29, vcc_hi, v1
	v_xor_b32_e32 v1, vcc_lo, v1
	v_and_b32_e32 v5, v5, v1
	v_lshlrev_b32_e32 v1, 28, v4
	v_cmp_gt_i64_e32 vcc, 0, v[0:1]
	v_not_b32_e32 v1, v1
	v_ashrrev_i32_e32 v1, 31, v1
	v_and_b32_e32 v27, v27, v29
	;; [unrolled: 8-line block ×5, first 2 shown]
	v_xor_b32_e32 v29, vcc_hi, v1
	v_xor_b32_e32 v1, vcc_lo, v1
	v_and_b32_e32 v5, v5, v1
	v_lshlrev_b32_e32 v1, 24, v4
	v_cmp_gt_i64_e32 vcc, 0, v[0:1]
	v_not_b32_e32 v0, v1
	v_ashrrev_i32_e32 v0, 31, v0
	v_xor_b32_e32 v1, vcc_hi, v0
	v_xor_b32_e32 v0, vcc_lo, v0
	; wave barrier
	ds_read_b32 v24, v25 offset:16
	v_and_b32_e32 v27, v27, v29
	v_and_b32_e32 v0, v5, v0
	;; [unrolled: 1-line block ×3, first 2 shown]
	v_mbcnt_lo_u32_b32 v4, v0, 0
	v_mbcnt_hi_u32_b32 v27, v1, v4
	v_cmp_eq_u32_e32 vcc, 0, v27
	v_cmp_ne_u64_e64 s[0:1], 0, v[0:1]
	s_and_b64 s[2:3], s[0:1], vcc
	; wave barrier
	s_and_saveexec_b64 s[0:1], s[2:3]
	s_cbranch_execz .LBB198_138
; %bb.137:
	v_bcnt_u32_b32 v0, v0, 0
	v_bcnt_u32_b32 v0, v1, v0
	s_waitcnt lgkmcnt(0)
	v_add_u32_e32 v0, v24, v0
	ds_write_b32 v25, v0 offset:16
.LBB198_138:
	s_or_b64 exec, exec, s[0:1]
	v_mov_b32_e32 v34, 0xffff8000
	s_waitcnt vmcnt(7)
	v_cmp_lt_i16_e32 vcc, -1, v26
	v_cndmask_b32_e32 v0, -1, v34, vcc
	v_xor_b32_e32 v26, v0, v26
	s_movk_i32 s2, 0x7fff
	v_cmp_ne_u16_e32 vcc, s2, v26
	v_cndmask_b32_e32 v0, v34, v26, vcc
	v_lshrrev_b32_sdwa v0, s68, v0 dst_sel:DWORD dst_unused:UNUSED_PAD src0_sel:DWORD src1_sel:WORD_0
	v_and_b32_e32 v4, s9, v0
	v_and_b32_e32 v1, 1, v4
	v_add_co_u32_e32 v5, vcc, -1, v1
	v_addc_co_u32_e64 v32, s[0:1], 0, -1, vcc
	v_cmp_ne_u32_e32 vcc, 0, v1
	v_mul_u32_u24_e32 v0, 5, v4
	v_xor_b32_e32 v1, vcc_hi, v32
	v_add_lshl_u32 v30, v18, v0, 2
	v_mov_b32_e32 v0, 0
	v_and_b32_e32 v32, exec_hi, v1
	v_lshlrev_b32_e32 v1, 30, v4
	v_xor_b32_e32 v5, vcc_lo, v5
	v_cmp_gt_i64_e32 vcc, 0, v[0:1]
	v_not_b32_e32 v1, v1
	v_ashrrev_i32_e32 v1, 31, v1
	v_and_b32_e32 v5, exec_lo, v5
	v_xor_b32_e32 v35, vcc_hi, v1
	v_xor_b32_e32 v1, vcc_lo, v1
	v_and_b32_e32 v5, v5, v1
	v_lshlrev_b32_e32 v1, 29, v4
	v_cmp_gt_i64_e32 vcc, 0, v[0:1]
	v_not_b32_e32 v1, v1
	v_ashrrev_i32_e32 v1, 31, v1
	v_and_b32_e32 v32, v32, v35
	v_xor_b32_e32 v35, vcc_hi, v1
	v_xor_b32_e32 v1, vcc_lo, v1
	v_and_b32_e32 v5, v5, v1
	v_lshlrev_b32_e32 v1, 28, v4
	v_cmp_gt_i64_e32 vcc, 0, v[0:1]
	v_not_b32_e32 v1, v1
	v_ashrrev_i32_e32 v1, 31, v1
	v_and_b32_e32 v32, v32, v35
	;; [unrolled: 8-line block ×5, first 2 shown]
	v_xor_b32_e32 v35, vcc_hi, v1
	v_xor_b32_e32 v1, vcc_lo, v1
	v_and_b32_e32 v32, v32, v35
	v_and_b32_e32 v35, v5, v1
	v_lshlrev_b32_e32 v1, 24, v4
	v_cmp_gt_i64_e32 vcc, 0, v[0:1]
	v_not_b32_e32 v1, v1
	v_ashrrev_i32_e32 v1, 31, v1
	v_xor_b32_e32 v4, vcc_hi, v1
	v_xor_b32_e32 v1, vcc_lo, v1
	; wave barrier
	ds_read_b32 v29, v30 offset:16
	v_and_b32_e32 v5, v32, v4
	v_and_b32_e32 v4, v35, v1
	v_mbcnt_lo_u32_b32 v1, v4, 0
	v_mbcnt_hi_u32_b32 v32, v5, v1
	v_cmp_eq_u32_e32 vcc, 0, v32
	v_cmp_ne_u64_e64 s[0:1], 0, v[4:5]
	s_and_b64 s[4:5], s[0:1], vcc
	; wave barrier
	s_and_saveexec_b64 s[0:1], s[4:5]
	s_cbranch_execz .LBB198_140
; %bb.139:
	v_bcnt_u32_b32 v1, v4, 0
	v_bcnt_u32_b32 v1, v5, v1
	s_waitcnt lgkmcnt(0)
	v_add_u32_e32 v1, v29, v1
	ds_write_b32 v30, v1 offset:16
.LBB198_140:
	s_or_b64 exec, exec, s[0:1]
	s_waitcnt vmcnt(6)
	v_cmp_lt_i16_e32 vcc, -1, v31
	v_cndmask_b32_e32 v1, -1, v34, vcc
	v_xor_b32_e32 v31, v1, v31
	v_cmp_ne_u16_e32 vcc, s2, v31
	v_cndmask_b32_e32 v1, v34, v31, vcc
	v_lshrrev_b32_sdwa v1, s68, v1 dst_sel:DWORD dst_unused:UNUSED_PAD src0_sel:DWORD src1_sel:WORD_0
	v_and_b32_e32 v4, s9, v1
	v_mul_u32_u24_e32 v1, 5, v4
	v_add_lshl_u32 v35, v18, v1, 2
	v_and_b32_e32 v1, 1, v4
	v_add_co_u32_e32 v5, vcc, -1, v1
	v_addc_co_u32_e64 v37, s[0:1], 0, -1, vcc
	v_cmp_ne_u32_e32 vcc, 0, v1
	v_xor_b32_e32 v1, vcc_hi, v37
	v_and_b32_e32 v37, exec_hi, v1
	v_lshlrev_b32_e32 v1, 30, v4
	v_xor_b32_e32 v5, vcc_lo, v5
	v_cmp_gt_i64_e32 vcc, 0, v[0:1]
	v_not_b32_e32 v1, v1
	v_ashrrev_i32_e32 v1, 31, v1
	v_and_b32_e32 v5, exec_lo, v5
	v_xor_b32_e32 v39, vcc_hi, v1
	v_xor_b32_e32 v1, vcc_lo, v1
	v_and_b32_e32 v5, v5, v1
	v_lshlrev_b32_e32 v1, 29, v4
	v_cmp_gt_i64_e32 vcc, 0, v[0:1]
	v_not_b32_e32 v1, v1
	v_ashrrev_i32_e32 v1, 31, v1
	v_and_b32_e32 v37, v37, v39
	v_xor_b32_e32 v39, vcc_hi, v1
	v_xor_b32_e32 v1, vcc_lo, v1
	v_and_b32_e32 v5, v5, v1
	v_lshlrev_b32_e32 v1, 28, v4
	v_cmp_gt_i64_e32 vcc, 0, v[0:1]
	v_not_b32_e32 v1, v1
	v_ashrrev_i32_e32 v1, 31, v1
	v_and_b32_e32 v37, v37, v39
	;; [unrolled: 8-line block ×5, first 2 shown]
	v_xor_b32_e32 v39, vcc_hi, v1
	v_xor_b32_e32 v1, vcc_lo, v1
	v_and_b32_e32 v5, v5, v1
	v_lshlrev_b32_e32 v1, 24, v4
	v_cmp_gt_i64_e32 vcc, 0, v[0:1]
	v_not_b32_e32 v0, v1
	v_ashrrev_i32_e32 v0, 31, v0
	v_xor_b32_e32 v1, vcc_hi, v0
	v_xor_b32_e32 v0, vcc_lo, v0
	; wave barrier
	ds_read_b32 v34, v35 offset:16
	v_and_b32_e32 v37, v37, v39
	v_and_b32_e32 v0, v5, v0
	v_and_b32_e32 v1, v37, v1
	v_mbcnt_lo_u32_b32 v4, v0, 0
	v_mbcnt_hi_u32_b32 v37, v1, v4
	v_cmp_eq_u32_e32 vcc, 0, v37
	v_cmp_ne_u64_e64 s[0:1], 0, v[0:1]
	s_and_b64 s[2:3], s[0:1], vcc
	; wave barrier
	s_and_saveexec_b64 s[0:1], s[2:3]
	s_cbranch_execz .LBB198_142
; %bb.141:
	v_bcnt_u32_b32 v0, v0, 0
	v_bcnt_u32_b32 v0, v1, v0
	s_waitcnt lgkmcnt(0)
	v_add_u32_e32 v0, v34, v0
	ds_write_b32 v35, v0 offset:16
.LBB198_142:
	s_or_b64 exec, exec, s[0:1]
	v_mov_b32_e32 v42, 0xffff8000
	s_waitcnt vmcnt(5)
	v_cmp_lt_i16_e32 vcc, -1, v36
	v_cndmask_b32_e32 v0, -1, v42, vcc
	v_xor_b32_e32 v36, v0, v36
	s_movk_i32 s2, 0x7fff
	v_cmp_ne_u16_e32 vcc, s2, v36
	v_cndmask_b32_e32 v0, v42, v36, vcc
	v_lshrrev_b32_sdwa v0, s68, v0 dst_sel:DWORD dst_unused:UNUSED_PAD src0_sel:DWORD src1_sel:WORD_0
	v_and_b32_e32 v4, s9, v0
	v_and_b32_e32 v1, 1, v4
	v_add_co_u32_e32 v5, vcc, -1, v1
	v_addc_co_u32_e64 v41, s[0:1], 0, -1, vcc
	v_cmp_ne_u32_e32 vcc, 0, v1
	v_mul_u32_u24_e32 v0, 5, v4
	v_xor_b32_e32 v1, vcc_hi, v41
	v_add_lshl_u32 v40, v18, v0, 2
	v_mov_b32_e32 v0, 0
	v_and_b32_e32 v41, exec_hi, v1
	v_lshlrev_b32_e32 v1, 30, v4
	v_xor_b32_e32 v5, vcc_lo, v5
	v_cmp_gt_i64_e32 vcc, 0, v[0:1]
	v_not_b32_e32 v1, v1
	v_ashrrev_i32_e32 v1, 31, v1
	v_and_b32_e32 v5, exec_lo, v5
	v_xor_b32_e32 v43, vcc_hi, v1
	v_xor_b32_e32 v1, vcc_lo, v1
	v_and_b32_e32 v5, v5, v1
	v_lshlrev_b32_e32 v1, 29, v4
	v_cmp_gt_i64_e32 vcc, 0, v[0:1]
	v_not_b32_e32 v1, v1
	v_ashrrev_i32_e32 v1, 31, v1
	v_and_b32_e32 v41, v41, v43
	v_xor_b32_e32 v43, vcc_hi, v1
	v_xor_b32_e32 v1, vcc_lo, v1
	v_and_b32_e32 v5, v5, v1
	v_lshlrev_b32_e32 v1, 28, v4
	v_cmp_gt_i64_e32 vcc, 0, v[0:1]
	v_not_b32_e32 v1, v1
	v_ashrrev_i32_e32 v1, 31, v1
	v_and_b32_e32 v41, v41, v43
	;; [unrolled: 8-line block ×5, first 2 shown]
	v_xor_b32_e32 v43, vcc_hi, v1
	v_xor_b32_e32 v1, vcc_lo, v1
	v_and_b32_e32 v41, v41, v43
	v_and_b32_e32 v43, v5, v1
	v_lshlrev_b32_e32 v1, 24, v4
	v_cmp_gt_i64_e32 vcc, 0, v[0:1]
	v_not_b32_e32 v1, v1
	v_ashrrev_i32_e32 v1, 31, v1
	v_xor_b32_e32 v4, vcc_hi, v1
	v_xor_b32_e32 v1, vcc_lo, v1
	; wave barrier
	ds_read_b32 v39, v40 offset:16
	v_and_b32_e32 v5, v41, v4
	v_and_b32_e32 v4, v43, v1
	v_mbcnt_lo_u32_b32 v1, v4, 0
	v_mbcnt_hi_u32_b32 v41, v5, v1
	v_cmp_eq_u32_e32 vcc, 0, v41
	v_cmp_ne_u64_e64 s[0:1], 0, v[4:5]
	s_and_b64 s[4:5], s[0:1], vcc
	; wave barrier
	s_and_saveexec_b64 s[0:1], s[4:5]
	s_cbranch_execz .LBB198_144
; %bb.143:
	v_bcnt_u32_b32 v1, v4, 0
	v_bcnt_u32_b32 v1, v5, v1
	s_waitcnt lgkmcnt(0)
	v_add_u32_e32 v1, v39, v1
	ds_write_b32 v40, v1 offset:16
.LBB198_144:
	s_or_b64 exec, exec, s[0:1]
	s_waitcnt vmcnt(4)
	v_cmp_lt_i16_e32 vcc, -1, v38
	v_cndmask_b32_e32 v1, -1, v42, vcc
	v_xor_b32_e32 v38, v1, v38
	v_cmp_ne_u16_e32 vcc, s2, v38
	v_cndmask_b32_e32 v1, v42, v38, vcc
	v_lshrrev_b32_sdwa v1, s68, v1 dst_sel:DWORD dst_unused:UNUSED_PAD src0_sel:DWORD src1_sel:WORD_0
	v_and_b32_e32 v4, s9, v1
	v_mul_u32_u24_e32 v1, 5, v4
	v_add_lshl_u32 v43, v18, v1, 2
	v_and_b32_e32 v1, 1, v4
	v_add_co_u32_e32 v5, vcc, -1, v1
	v_addc_co_u32_e64 v44, s[0:1], 0, -1, vcc
	v_cmp_ne_u32_e32 vcc, 0, v1
	v_xor_b32_e32 v1, vcc_hi, v44
	v_and_b32_e32 v44, exec_hi, v1
	v_lshlrev_b32_e32 v1, 30, v4
	v_xor_b32_e32 v5, vcc_lo, v5
	v_cmp_gt_i64_e32 vcc, 0, v[0:1]
	v_not_b32_e32 v1, v1
	v_ashrrev_i32_e32 v1, 31, v1
	v_and_b32_e32 v5, exec_lo, v5
	v_xor_b32_e32 v45, vcc_hi, v1
	v_xor_b32_e32 v1, vcc_lo, v1
	v_and_b32_e32 v5, v5, v1
	v_lshlrev_b32_e32 v1, 29, v4
	v_cmp_gt_i64_e32 vcc, 0, v[0:1]
	v_not_b32_e32 v1, v1
	v_ashrrev_i32_e32 v1, 31, v1
	v_and_b32_e32 v44, v44, v45
	v_xor_b32_e32 v45, vcc_hi, v1
	v_xor_b32_e32 v1, vcc_lo, v1
	v_and_b32_e32 v5, v5, v1
	v_lshlrev_b32_e32 v1, 28, v4
	v_cmp_gt_i64_e32 vcc, 0, v[0:1]
	v_not_b32_e32 v1, v1
	v_ashrrev_i32_e32 v1, 31, v1
	v_and_b32_e32 v44, v44, v45
	;; [unrolled: 8-line block ×5, first 2 shown]
	v_xor_b32_e32 v45, vcc_hi, v1
	v_xor_b32_e32 v1, vcc_lo, v1
	v_and_b32_e32 v5, v5, v1
	v_lshlrev_b32_e32 v1, 24, v4
	v_cmp_gt_i64_e32 vcc, 0, v[0:1]
	v_not_b32_e32 v0, v1
	v_ashrrev_i32_e32 v0, 31, v0
	v_xor_b32_e32 v1, vcc_hi, v0
	v_xor_b32_e32 v0, vcc_lo, v0
	; wave barrier
	ds_read_b32 v42, v43 offset:16
	v_and_b32_e32 v44, v44, v45
	v_and_b32_e32 v0, v5, v0
	;; [unrolled: 1-line block ×3, first 2 shown]
	v_mbcnt_lo_u32_b32 v4, v0, 0
	v_mbcnt_hi_u32_b32 v44, v1, v4
	v_cmp_eq_u32_e32 vcc, 0, v44
	v_cmp_ne_u64_e64 s[0:1], 0, v[0:1]
	s_and_b64 s[2:3], s[0:1], vcc
	; wave barrier
	s_and_saveexec_b64 s[0:1], s[2:3]
	s_cbranch_execz .LBB198_146
; %bb.145:
	v_bcnt_u32_b32 v0, v0, 0
	v_bcnt_u32_b32 v0, v1, v0
	s_waitcnt lgkmcnt(0)
	v_add_u32_e32 v0, v42, v0
	ds_write_b32 v43, v0 offset:16
.LBB198_146:
	s_or_b64 exec, exec, s[0:1]
	v_mov_b32_e32 v49, 0xffff8000
	s_waitcnt vmcnt(3)
	v_cmp_lt_i16_e32 vcc, -1, v33
	v_cndmask_b32_e32 v0, -1, v49, vcc
	v_xor_b32_e32 v33, v0, v33
	s_movk_i32 s2, 0x7fff
	v_cmp_ne_u16_e32 vcc, s2, v33
	v_cndmask_b32_e32 v0, v49, v33, vcc
	v_lshrrev_b32_sdwa v0, s68, v0 dst_sel:DWORD dst_unused:UNUSED_PAD src0_sel:DWORD src1_sel:WORD_0
	v_and_b32_e32 v4, s9, v0
	v_and_b32_e32 v1, 1, v4
	v_add_co_u32_e32 v5, vcc, -1, v1
	v_addc_co_u32_e64 v47, s[0:1], 0, -1, vcc
	v_cmp_ne_u32_e32 vcc, 0, v1
	v_mul_u32_u24_e32 v0, 5, v4
	v_xor_b32_e32 v1, vcc_hi, v47
	v_add_lshl_u32 v46, v18, v0, 2
	v_mov_b32_e32 v0, 0
	v_and_b32_e32 v47, exec_hi, v1
	v_lshlrev_b32_e32 v1, 30, v4
	v_xor_b32_e32 v5, vcc_lo, v5
	v_cmp_gt_i64_e32 vcc, 0, v[0:1]
	v_not_b32_e32 v1, v1
	v_ashrrev_i32_e32 v1, 31, v1
	v_and_b32_e32 v5, exec_lo, v5
	v_xor_b32_e32 v48, vcc_hi, v1
	v_xor_b32_e32 v1, vcc_lo, v1
	v_and_b32_e32 v5, v5, v1
	v_lshlrev_b32_e32 v1, 29, v4
	v_cmp_gt_i64_e32 vcc, 0, v[0:1]
	v_not_b32_e32 v1, v1
	v_ashrrev_i32_e32 v1, 31, v1
	v_and_b32_e32 v47, v47, v48
	v_xor_b32_e32 v48, vcc_hi, v1
	v_xor_b32_e32 v1, vcc_lo, v1
	v_and_b32_e32 v5, v5, v1
	v_lshlrev_b32_e32 v1, 28, v4
	v_cmp_gt_i64_e32 vcc, 0, v[0:1]
	v_not_b32_e32 v1, v1
	v_ashrrev_i32_e32 v1, 31, v1
	v_and_b32_e32 v47, v47, v48
	;; [unrolled: 8-line block ×5, first 2 shown]
	v_xor_b32_e32 v48, vcc_hi, v1
	v_xor_b32_e32 v1, vcc_lo, v1
	v_and_b32_e32 v47, v47, v48
	v_and_b32_e32 v48, v5, v1
	v_lshlrev_b32_e32 v1, 24, v4
	v_cmp_gt_i64_e32 vcc, 0, v[0:1]
	v_not_b32_e32 v1, v1
	v_ashrrev_i32_e32 v1, 31, v1
	v_xor_b32_e32 v4, vcc_hi, v1
	v_xor_b32_e32 v1, vcc_lo, v1
	; wave barrier
	ds_read_b32 v45, v46 offset:16
	v_and_b32_e32 v5, v47, v4
	v_and_b32_e32 v4, v48, v1
	v_mbcnt_lo_u32_b32 v1, v4, 0
	v_mbcnt_hi_u32_b32 v48, v5, v1
	v_cmp_eq_u32_e32 vcc, 0, v48
	v_cmp_ne_u64_e64 s[0:1], 0, v[4:5]
	s_and_b64 s[4:5], s[0:1], vcc
	; wave barrier
	s_and_saveexec_b64 s[0:1], s[4:5]
	s_cbranch_execz .LBB198_148
; %bb.147:
	v_bcnt_u32_b32 v1, v4, 0
	v_bcnt_u32_b32 v1, v5, v1
	s_waitcnt lgkmcnt(0)
	v_add_u32_e32 v1, v45, v1
	ds_write_b32 v46, v1 offset:16
.LBB198_148:
	s_or_b64 exec, exec, s[0:1]
	s_waitcnt vmcnt(2)
	v_cmp_lt_i16_e32 vcc, -1, v28
	v_cndmask_b32_e32 v1, -1, v49, vcc
	v_xor_b32_e32 v47, v1, v28
	v_cmp_ne_u16_e32 vcc, s2, v47
	v_cndmask_b32_e32 v1, v49, v47, vcc
	v_lshrrev_b32_sdwa v1, s68, v1 dst_sel:DWORD dst_unused:UNUSED_PAD src0_sel:DWORD src1_sel:WORD_0
	v_and_b32_e32 v4, s9, v1
	v_mul_u32_u24_e32 v1, 5, v4
	v_add_lshl_u32 v28, v18, v1, 2
	v_and_b32_e32 v1, 1, v4
	v_add_co_u32_e32 v5, vcc, -1, v1
	v_addc_co_u32_e64 v50, s[0:1], 0, -1, vcc
	v_cmp_ne_u32_e32 vcc, 0, v1
	v_xor_b32_e32 v1, vcc_hi, v50
	v_and_b32_e32 v50, exec_hi, v1
	v_lshlrev_b32_e32 v1, 30, v4
	v_xor_b32_e32 v5, vcc_lo, v5
	v_cmp_gt_i64_e32 vcc, 0, v[0:1]
	v_not_b32_e32 v1, v1
	v_ashrrev_i32_e32 v1, 31, v1
	v_and_b32_e32 v5, exec_lo, v5
	v_xor_b32_e32 v51, vcc_hi, v1
	v_xor_b32_e32 v1, vcc_lo, v1
	v_and_b32_e32 v5, v5, v1
	v_lshlrev_b32_e32 v1, 29, v4
	v_cmp_gt_i64_e32 vcc, 0, v[0:1]
	v_not_b32_e32 v1, v1
	v_ashrrev_i32_e32 v1, 31, v1
	v_and_b32_e32 v50, v50, v51
	v_xor_b32_e32 v51, vcc_hi, v1
	v_xor_b32_e32 v1, vcc_lo, v1
	v_and_b32_e32 v5, v5, v1
	v_lshlrev_b32_e32 v1, 28, v4
	v_cmp_gt_i64_e32 vcc, 0, v[0:1]
	v_not_b32_e32 v1, v1
	v_ashrrev_i32_e32 v1, 31, v1
	v_and_b32_e32 v50, v50, v51
	;; [unrolled: 8-line block ×5, first 2 shown]
	v_xor_b32_e32 v51, vcc_hi, v1
	v_xor_b32_e32 v1, vcc_lo, v1
	v_and_b32_e32 v5, v5, v1
	v_lshlrev_b32_e32 v1, 24, v4
	v_cmp_gt_i64_e32 vcc, 0, v[0:1]
	v_not_b32_e32 v0, v1
	v_ashrrev_i32_e32 v0, 31, v0
	v_xor_b32_e32 v1, vcc_hi, v0
	v_xor_b32_e32 v0, vcc_lo, v0
	; wave barrier
	ds_read_b32 v49, v28 offset:16
	v_and_b32_e32 v50, v50, v51
	v_and_b32_e32 v0, v5, v0
	;; [unrolled: 1-line block ×3, first 2 shown]
	v_mbcnt_lo_u32_b32 v4, v0, 0
	v_mbcnt_hi_u32_b32 v51, v1, v4
	v_cmp_eq_u32_e32 vcc, 0, v51
	v_cmp_ne_u64_e64 s[0:1], 0, v[0:1]
	s_and_b64 s[2:3], s[0:1], vcc
	; wave barrier
	s_and_saveexec_b64 s[0:1], s[2:3]
	s_cbranch_execz .LBB198_150
; %bb.149:
	v_bcnt_u32_b32 v0, v0, 0
	v_bcnt_u32_b32 v0, v1, v0
	s_waitcnt lgkmcnt(0)
	v_add_u32_e32 v0, v49, v0
	ds_write_b32 v28, v0 offset:16
.LBB198_150:
	s_or_b64 exec, exec, s[0:1]
	v_mov_b32_e32 v55, 0xffff8000
	s_waitcnt vmcnt(1)
	v_cmp_lt_i16_e32 vcc, -1, v23
	v_cndmask_b32_e32 v0, -1, v55, vcc
	v_xor_b32_e32 v50, v0, v23
	s_movk_i32 s2, 0x7fff
	v_cmp_ne_u16_e32 vcc, s2, v50
	v_cndmask_b32_e32 v0, v55, v50, vcc
	v_lshrrev_b32_sdwa v0, s68, v0 dst_sel:DWORD dst_unused:UNUSED_PAD src0_sel:DWORD src1_sel:WORD_0
	v_and_b32_e32 v4, s9, v0
	v_and_b32_e32 v1, 1, v4
	v_add_co_u32_e32 v5, vcc, -1, v1
	v_addc_co_u32_e64 v53, s[0:1], 0, -1, vcc
	v_cmp_ne_u32_e32 vcc, 0, v1
	v_mul_u32_u24_e32 v0, 5, v4
	v_xor_b32_e32 v1, vcc_hi, v53
	v_add_lshl_u32 v23, v0, v18, 2
	v_mov_b32_e32 v0, 0
	v_and_b32_e32 v53, exec_hi, v1
	v_lshlrev_b32_e32 v1, 30, v4
	v_xor_b32_e32 v5, vcc_lo, v5
	v_cmp_gt_i64_e32 vcc, 0, v[0:1]
	v_not_b32_e32 v1, v1
	v_ashrrev_i32_e32 v1, 31, v1
	v_and_b32_e32 v5, exec_lo, v5
	v_xor_b32_e32 v54, vcc_hi, v1
	v_xor_b32_e32 v1, vcc_lo, v1
	v_and_b32_e32 v5, v5, v1
	v_lshlrev_b32_e32 v1, 29, v4
	v_cmp_gt_i64_e32 vcc, 0, v[0:1]
	v_not_b32_e32 v1, v1
	v_ashrrev_i32_e32 v1, 31, v1
	v_and_b32_e32 v53, v53, v54
	v_xor_b32_e32 v54, vcc_hi, v1
	v_xor_b32_e32 v1, vcc_lo, v1
	v_and_b32_e32 v5, v5, v1
	v_lshlrev_b32_e32 v1, 28, v4
	v_cmp_gt_i64_e32 vcc, 0, v[0:1]
	v_not_b32_e32 v1, v1
	v_ashrrev_i32_e32 v1, 31, v1
	v_and_b32_e32 v53, v53, v54
	;; [unrolled: 8-line block ×5, first 2 shown]
	v_xor_b32_e32 v54, vcc_hi, v1
	v_xor_b32_e32 v1, vcc_lo, v1
	v_and_b32_e32 v53, v53, v54
	v_and_b32_e32 v54, v5, v1
	v_lshlrev_b32_e32 v1, 24, v4
	v_cmp_gt_i64_e32 vcc, 0, v[0:1]
	v_not_b32_e32 v1, v1
	v_ashrrev_i32_e32 v1, 31, v1
	v_xor_b32_e32 v4, vcc_hi, v1
	v_xor_b32_e32 v1, vcc_lo, v1
	; wave barrier
	ds_read_b32 v52, v23 offset:16
	v_and_b32_e32 v5, v53, v4
	v_and_b32_e32 v4, v54, v1
	v_mbcnt_lo_u32_b32 v1, v4, 0
	v_mbcnt_hi_u32_b32 v54, v5, v1
	v_cmp_eq_u32_e32 vcc, 0, v54
	v_cmp_ne_u64_e64 s[0:1], 0, v[4:5]
	s_and_b64 s[4:5], s[0:1], vcc
	; wave barrier
	s_and_saveexec_b64 s[0:1], s[4:5]
	s_cbranch_execz .LBB198_152
; %bb.151:
	v_bcnt_u32_b32 v1, v4, 0
	v_bcnt_u32_b32 v1, v5, v1
	s_waitcnt lgkmcnt(0)
	v_add_u32_e32 v1, v52, v1
	ds_write_b32 v23, v1 offset:16
.LBB198_152:
	s_or_b64 exec, exec, s[0:1]
	s_waitcnt vmcnt(0)
	v_cmp_lt_i16_e32 vcc, -1, v17
	v_cndmask_b32_e32 v1, -1, v55, vcc
	v_xor_b32_e32 v53, v1, v17
	v_cmp_ne_u16_e32 vcc, s2, v53
	v_cndmask_b32_e32 v1, v55, v53, vcc
	v_lshrrev_b32_sdwa v1, s68, v1 dst_sel:DWORD dst_unused:UNUSED_PAD src0_sel:DWORD src1_sel:WORD_0
	v_and_b32_e32 v4, s9, v1
	v_mul_u32_u24_e32 v1, 5, v4
	v_add_lshl_u32 v17, v1, v18, 2
	v_and_b32_e32 v1, 1, v4
	v_add_co_u32_e32 v5, vcc, -1, v1
	v_addc_co_u32_e64 v18, s[0:1], 0, -1, vcc
	v_cmp_ne_u32_e32 vcc, 0, v1
	v_xor_b32_e32 v1, vcc_hi, v18
	v_and_b32_e32 v18, exec_hi, v1
	v_lshlrev_b32_e32 v1, 30, v4
	v_xor_b32_e32 v5, vcc_lo, v5
	v_cmp_gt_i64_e32 vcc, 0, v[0:1]
	v_not_b32_e32 v1, v1
	v_ashrrev_i32_e32 v1, 31, v1
	v_and_b32_e32 v5, exec_lo, v5
	v_xor_b32_e32 v57, vcc_hi, v1
	v_xor_b32_e32 v1, vcc_lo, v1
	v_and_b32_e32 v5, v5, v1
	v_lshlrev_b32_e32 v1, 29, v4
	v_cmp_gt_i64_e32 vcc, 0, v[0:1]
	v_not_b32_e32 v1, v1
	v_ashrrev_i32_e32 v1, 31, v1
	v_and_b32_e32 v18, v18, v57
	v_xor_b32_e32 v57, vcc_hi, v1
	v_xor_b32_e32 v1, vcc_lo, v1
	v_and_b32_e32 v5, v5, v1
	v_lshlrev_b32_e32 v1, 28, v4
	v_cmp_gt_i64_e32 vcc, 0, v[0:1]
	v_not_b32_e32 v1, v1
	v_ashrrev_i32_e32 v1, 31, v1
	v_and_b32_e32 v18, v18, v57
	;; [unrolled: 8-line block ×5, first 2 shown]
	v_xor_b32_e32 v57, vcc_hi, v1
	v_xor_b32_e32 v1, vcc_lo, v1
	v_and_b32_e32 v5, v5, v1
	v_lshlrev_b32_e32 v1, 24, v4
	v_cmp_gt_i64_e32 vcc, 0, v[0:1]
	v_not_b32_e32 v0, v1
	v_ashrrev_i32_e32 v0, 31, v0
	v_xor_b32_e32 v1, vcc_hi, v0
	v_xor_b32_e32 v0, vcc_lo, v0
	; wave barrier
	ds_read_b32 v55, v17 offset:16
	v_and_b32_e32 v18, v18, v57
	v_and_b32_e32 v0, v5, v0
	;; [unrolled: 1-line block ×3, first 2 shown]
	v_mbcnt_lo_u32_b32 v4, v0, 0
	v_mbcnt_hi_u32_b32 v57, v1, v4
	v_cmp_eq_u32_e32 vcc, 0, v57
	v_cmp_ne_u64_e64 s[0:1], 0, v[0:1]
	v_add_u32_e32 v56, 16, v7
	s_and_b64 s[2:3], s[0:1], vcc
	; wave barrier
	s_and_saveexec_b64 s[0:1], s[2:3]
	s_cbranch_execz .LBB198_154
; %bb.153:
	v_bcnt_u32_b32 v0, v0, 0
	v_bcnt_u32_b32 v0, v1, v0
	s_waitcnt lgkmcnt(0)
	v_add_u32_e32 v0, v55, v0
	ds_write_b32 v17, v0 offset:16
.LBB198_154:
	s_or_b64 exec, exec, s[0:1]
	; wave barrier
	s_waitcnt lgkmcnt(0)
	s_barrier
	ds_read2_b32 v[4:5], v7 offset0:4 offset1:5
	ds_read2_b32 v[0:1], v56 offset0:2 offset1:3
	ds_read_b32 v18, v56 offset:16
	v_min_u32_e32 v8, 0xc0, v8
	v_or_b32_e32 v8, 63, v8
	s_waitcnt lgkmcnt(1)
	v_add3_u32 v58, v5, v4, v0
	s_waitcnt lgkmcnt(0)
	v_add3_u32 v18, v58, v1, v18
	v_and_b32_e32 v58, 15, v10
	v_cmp_ne_u32_e32 vcc, 0, v58
	v_mov_b32_dpp v59, v18 row_shr:1 row_mask:0xf bank_mask:0xf
	v_cndmask_b32_e32 v59, 0, v59, vcc
	v_add_u32_e32 v18, v59, v18
	v_cmp_lt_u32_e32 vcc, 1, v58
	s_nop 0
	v_mov_b32_dpp v59, v18 row_shr:2 row_mask:0xf bank_mask:0xf
	v_cndmask_b32_e32 v59, 0, v59, vcc
	v_add_u32_e32 v18, v18, v59
	v_cmp_lt_u32_e32 vcc, 3, v58
	s_nop 0
	;; [unrolled: 5-line block ×3, first 2 shown]
	v_mov_b32_dpp v59, v18 row_shr:8 row_mask:0xf bank_mask:0xf
	v_cndmask_b32_e32 v58, 0, v59, vcc
	v_add_u32_e32 v18, v18, v58
	v_bfe_i32 v59, v10, 4, 1
	v_cmp_lt_u32_e32 vcc, 31, v10
	v_mov_b32_dpp v58, v18 row_bcast:15 row_mask:0xf bank_mask:0xf
	v_and_b32_e32 v58, v59, v58
	v_add_u32_e32 v18, v18, v58
	s_nop 1
	v_mov_b32_dpp v58, v18 row_bcast:31 row_mask:0xf bank_mask:0xf
	v_cndmask_b32_e32 v58, 0, v58, vcc
	v_add_u32_e32 v18, v18, v58
	v_lshrrev_b32_e32 v58, 6, v2
	v_cmp_eq_u32_e32 vcc, v8, v2
	s_and_saveexec_b64 s[0:1], vcc
	s_cbranch_execz .LBB198_156
; %bb.155:
	v_lshlrev_b32_e32 v8, 2, v58
	ds_write_b32 v8, v18
.LBB198_156:
	s_or_b64 exec, exec, s[0:1]
	v_cmp_gt_u32_e32 vcc, 4, v2
	s_waitcnt lgkmcnt(0)
	s_barrier
	s_and_saveexec_b64 s[0:1], vcc
	s_cbranch_execz .LBB198_158
; %bb.157:
	v_lshlrev_b32_e32 v8, 2, v2
	ds_read_b32 v59, v8
	v_and_b32_e32 v60, 3, v10
	v_cmp_ne_u32_e32 vcc, 0, v60
	s_waitcnt lgkmcnt(0)
	v_mov_b32_dpp v61, v59 row_shr:1 row_mask:0xf bank_mask:0xf
	v_cndmask_b32_e32 v61, 0, v61, vcc
	v_add_u32_e32 v59, v61, v59
	v_cmp_lt_u32_e32 vcc, 1, v60
	s_nop 0
	v_mov_b32_dpp v61, v59 row_shr:2 row_mask:0xf bank_mask:0xf
	v_cndmask_b32_e32 v60, 0, v61, vcc
	v_add_u32_e32 v59, v59, v60
	ds_write_b32 v8, v59
.LBB198_158:
	s_or_b64 exec, exec, s[0:1]
	v_cmp_lt_u32_e32 vcc, 63, v2
	v_mov_b32_e32 v8, 0
	s_waitcnt lgkmcnt(0)
	s_barrier
	s_and_saveexec_b64 s[0:1], vcc
	s_cbranch_execz .LBB198_160
; %bb.159:
	v_lshl_add_u32 v8, v58, 2, -4
	ds_read_b32 v8, v8
.LBB198_160:
	s_or_b64 exec, exec, s[0:1]
	v_add_u32_e32 v58, -1, v10
	v_and_b32_e32 v59, 64, v10
	v_cmp_lt_i32_e32 vcc, v58, v59
	v_cndmask_b32_e32 v58, v58, v10, vcc
	s_waitcnt lgkmcnt(0)
	v_add_u32_e32 v18, v8, v18
	v_lshlrev_b32_e32 v58, 2, v58
	ds_bpermute_b32 v18, v58, v18
	v_cmp_eq_u32_e32 vcc, 0, v10
	s_movk_i32 s0, 0x100
	s_waitcnt lgkmcnt(0)
	v_cndmask_b32_e32 v8, v18, v8, vcc
	v_cmp_ne_u32_e32 vcc, 0, v2
	v_cndmask_b32_e32 v8, 0, v8, vcc
	v_add_u32_e32 v4, v8, v4
	v_add_u32_e32 v5, v4, v5
	v_add_u32_e32 v0, v5, v0
	v_add_u32_e32 v1, v0, v1
	ds_write2_b32 v7, v8, v4 offset0:4 offset1:5
	ds_write2_b32 v56, v5, v0 offset0:2 offset1:3
	ds_write_b32 v56, v1 offset:16
	s_waitcnt lgkmcnt(0)
	s_barrier
	ds_read_b32 v1, v14 offset:16
	ds_read_b32 v5, v20 offset:16
	;; [unrolled: 1-line block ×13, first 2 shown]
	v_add_u32_e32 v7, 1, v2
	v_cmp_ne_u32_e32 vcc, s0, v7
	v_mov_b32_e32 v0, 0xc00
	s_and_saveexec_b64 s[0:1], vcc
	s_cbranch_execz .LBB198_162
; %bb.161:
	v_mul_u32_u24_e32 v0, 5, v7
	v_lshlrev_b32_e32 v0, 2, v0
	ds_read_b32 v0, v0 offset:16
.LBB198_162:
	s_or_b64 exec, exec, s[0:1]
	s_waitcnt lgkmcnt(1)
	v_add_u32_e32 v28, v9, v11
	v_add3_u32 v25, v15, v13, v1
	v_lshlrev_b32_e32 v1, 1, v28
	v_add3_u32 v23, v22, v19, v5
	s_waitcnt lgkmcnt(0)
	s_barrier
	ds_write_b16 v1, v6 offset:2048
	v_lshlrev_b32_e32 v1, 1, v25
	v_add3_u32 v22, v27, v24, v8
	ds_write_b16 v1, v12 offset:2048
	v_lshlrev_b32_e32 v1, 1, v23
	v_add3_u32 v20, v32, v29, v14
	;; [unrolled: 3-line block ×9, first 2 shown]
	ds_write_b16 v1, v47 offset:2048
	v_lshlrev_b32_e32 v1, 1, v13
	ds_write_b16 v1, v50 offset:2048
	v_lshlrev_b32_e32 v1, 1, v11
	ds_write_b16 v1, v53 offset:2048
	v_sub_u32_e32 v32, v0, v4
	v_lshl_add_u32 v0, s6, 8, v2
	v_mov_b32_e32 v1, 0
	v_lshlrev_b64 v[6:7], 2, v[0:1]
	v_mov_b32_e32 v12, s73
	v_add_co_u32_e32 v6, vcc, s72, v6
	v_addc_co_u32_e32 v7, vcc, v12, v7, vcc
	v_or_b32_e32 v0, 2.0, v32
	s_mov_b64 s[0:1], 0
	s_brev_b32 s10, 1
	v_mov_b32_e32 v5, 0
	s_waitcnt lgkmcnt(0)
	s_barrier
	global_store_dword v[6:7], v0, off
                                        ; implicit-def: $sgpr2_sgpr3
	s_branch .LBB198_165
.LBB198_163:                            ;   in Loop: Header=BB198_165 Depth=1
	s_or_b64 exec, exec, s[4:5]
.LBB198_164:                            ;   in Loop: Header=BB198_165 Depth=1
	s_or_b64 exec, exec, s[2:3]
	v_and_b32_e32 v8, 0x3fffffff, v16
	v_add_u32_e32 v5, v8, v5
	v_cmp_eq_u32_e64 s[2:3], s10, v0
	s_and_b64 s[4:5], exec, s[2:3]
	s_or_b64 s[0:1], s[4:5], s[0:1]
	s_andn2_b64 exec, exec, s[0:1]
	s_cbranch_execz .LBB198_170
.LBB198_165:                            ; =>This Loop Header: Depth=1
                                        ;     Child Loop BB198_168 Depth 2
	s_or_b64 s[2:3], s[2:3], exec
	s_cmp_eq_u32 s7, 0
	s_cbranch_scc1 .LBB198_169
; %bb.166:                              ;   in Loop: Header=BB198_165 Depth=1
	s_add_i32 s7, s7, -1
	v_lshl_add_u32 v0, s7, 8, v2
	v_lshlrev_b64 v[8:9], 2, v[0:1]
	v_add_co_u32_e32 v8, vcc, s72, v8
	v_addc_co_u32_e32 v9, vcc, v12, v9, vcc
	global_load_dword v16, v[8:9], off glc
	s_waitcnt vmcnt(0)
	v_and_b32_e32 v0, -2.0, v16
	v_cmp_eq_u32_e32 vcc, 0, v0
	s_and_saveexec_b64 s[2:3], vcc
	s_cbranch_execz .LBB198_164
; %bb.167:                              ;   in Loop: Header=BB198_165 Depth=1
	s_mov_b64 s[4:5], 0
.LBB198_168:                            ;   Parent Loop BB198_165 Depth=1
                                        ; =>  This Inner Loop Header: Depth=2
	global_load_dword v16, v[8:9], off glc
	s_waitcnt vmcnt(0)
	v_and_b32_e32 v0, -2.0, v16
	v_cmp_ne_u32_e32 vcc, 0, v0
	s_or_b64 s[4:5], vcc, s[4:5]
	s_andn2_b64 exec, exec, s[4:5]
	s_cbranch_execnz .LBB198_168
	s_branch .LBB198_163
.LBB198_169:                            ;   in Loop: Header=BB198_165 Depth=1
                                        ; implicit-def: $sgpr7
	s_and_b64 s[4:5], exec, s[2:3]
	s_or_b64 s[0:1], s[4:5], s[0:1]
	s_andn2_b64 exec, exec, s[0:1]
	s_cbranch_execnz .LBB198_165
.LBB198_170:
	s_or_b64 exec, exec, s[0:1]
	v_add_u32_e32 v0, v5, v32
	v_or_b32_e32 v0, 0x80000000, v0
	global_store_dword v[6:7], v0, off
	v_lshlrev_b32_e32 v33, 3, v2
	global_load_dwordx2 v[0:1], v33, s[64:65]
	v_sub_co_u32_e32 v5, vcc, v5, v4
	v_subb_co_u32_e64 v6, s[0:1], 0, 0, vcc
	s_movk_i32 s0, 0x7fff
	v_mad_i32_i24 v8, v2, -6, v33
	v_mov_b32_e32 v12, 0xffff8000
	v_lshlrev_b32_e32 v16, 1, v2
	v_mov_b32_e32 v7, s59
	v_mov_b32_e32 v21, s59
	;; [unrolled: 1-line block ×4, first 2 shown]
	v_add_u32_e32 v56, 0x900, v2
	v_add_u32_e32 v60, 0xa00, v2
	;; [unrolled: 1-line block ×3, first 2 shown]
	v_lshlrev_b32_e32 v3, 3, v3
	s_waitcnt vmcnt(0)
	v_add_co_u32_e32 v0, vcc, v5, v0
	v_addc_co_u32_e32 v1, vcc, v6, v1, vcc
	ds_write_b64 v33, v[0:1]
	s_waitcnt lgkmcnt(0)
	s_barrier
	ds_read_u16 v0, v8 offset:2048
	ds_read_u16 v1, v16 offset:2560
	;; [unrolled: 1-line block ×7, first 2 shown]
	s_waitcnt lgkmcnt(6)
	v_cmp_ne_u16_e32 vcc, s0, v0
	v_cndmask_b32_e32 v6, v12, v0, vcc
	v_cmp_lt_i16_e32 vcc, -1, v0
	v_cndmask_b32_e64 v8, v12, -1, vcc
	s_waitcnt lgkmcnt(5)
	v_cmp_ne_u16_e32 vcc, s0, v1
	v_cndmask_b32_e32 v9, v12, v1, vcc
	v_cmp_lt_i16_e32 vcc, -1, v1
	v_cndmask_b32_e64 v26, v12, -1, vcc
	s_waitcnt lgkmcnt(4)
	v_cmp_ne_u16_e32 vcc, s0, v5
	v_cndmask_b32_e32 v27, v12, v5, vcc
	v_lshrrev_b32_sdwa v6, s68, v6 dst_sel:DWORD dst_unused:UNUSED_PAD src0_sel:DWORD src1_sel:WORD_0
	v_cmp_lt_i16_e32 vcc, -1, v5
	v_xor_b32_e32 v8, v8, v0
	v_lshrrev_b32_sdwa v0, s68, v9 dst_sel:DWORD dst_unused:UNUSED_PAD src0_sel:DWORD src1_sel:WORD_0
	v_xor_b32_e32 v37, v26, v1
	v_lshrrev_b32_sdwa v1, s68, v27 dst_sel:DWORD dst_unused:UNUSED_PAD src0_sel:DWORD src1_sel:WORD_0
	v_and_b32_e32 v6, s9, v6
	v_cndmask_b32_e64 v36, v12, -1, vcc
	v_and_b32_e32 v0, s9, v0
	v_and_b32_e32 v1, s9, v1
	v_lshlrev_b32_e32 v50, 3, v6
	v_xor_b32_e32 v5, v36, v5
	v_lshlrev_b32_e32 v51, 3, v0
	v_lshlrev_b32_e32 v52, 3, v1
	ds_read_b64 v[0:1], v50
	ds_read_u16 v6, v16 offset:3072
	ds_read_u16 v36, v16 offset:4096
	;; [unrolled: 1-line block ×5, first 2 shown]
	s_waitcnt lgkmcnt(4)
	v_cmp_ne_u16_e32 vcc, s0, v6
	v_cndmask_b32_e32 v9, v12, v6, vcc
	v_cmp_lt_i16_e32 vcc, -1, v6
	v_lshlrev_b64 v[0:1], 1, v[0:1]
	v_cndmask_b32_e64 v26, v12, -1, vcc
	s_waitcnt lgkmcnt(3)
	v_cmp_ne_u16_e32 vcc, s0, v36
	v_cndmask_b32_e32 v27, v12, v36, vcc
	v_add_co_u32_e32 v0, vcc, s58, v0
	v_addc_co_u32_e32 v1, vcc, v7, v1, vcc
	v_add_co_u32_e32 v0, vcc, v0, v16
	v_addc_co_u32_e32 v1, vcc, 0, v1, vcc
	global_store_short v[0:1], v8, off
	ds_read_b64 v[0:1], v51
	v_lshrrev_b32_sdwa v7, s68, v9 dst_sel:DWORD dst_unused:UNUSED_PAD src0_sel:DWORD src1_sel:WORD_0
	v_xor_b32_e32 v41, v26, v6
	v_lshrrev_b32_sdwa v6, s68, v27 dst_sel:DWORD dst_unused:UNUSED_PAD src0_sel:DWORD src1_sel:WORD_0
	v_and_b32_e32 v7, s9, v7
	s_waitcnt lgkmcnt(0)
	v_lshlrev_b64 v[0:1], 1, v[0:1]
	v_and_b32_e32 v6, s9, v6
	v_lshlrev_b32_e32 v53, 3, v7
	v_add_co_u32_e32 v0, vcc, s58, v0
	v_lshlrev_b32_e32 v54, 3, v6
	ds_read_b64 v[6:7], v53
	ds_read_b64 v[8:9], v52
	;; [unrolled: 1-line block ×3, first 2 shown]
	v_addc_co_u32_e32 v1, vcc, v21, v1, vcc
	v_add_co_u32_e32 v0, vcc, v0, v16
	v_addc_co_u32_e32 v1, vcc, 0, v1, vcc
	global_store_short v[0:1], v37, off offset:512
	s_waitcnt lgkmcnt(2)
	v_lshlrev_b64 v[0:1], 1, v[6:7]
	v_add_co_u32_e32 v0, vcc, s58, v0
	v_addc_co_u32_e32 v1, vcc, v24, v1, vcc
	v_add_co_u32_e32 v0, vcc, v0, v16
	s_waitcnt lgkmcnt(1)
	v_lshlrev_b64 v[6:7], 1, v[8:9]
	v_addc_co_u32_e32 v1, vcc, 0, v1, vcc
	global_store_short v[0:1], v41, off offset:1024
	v_add_co_u32_e32 v0, vcc, s58, v6
	v_addc_co_u32_e32 v1, vcc, v29, v7, vcc
	v_add_co_u32_e32 v0, vcc, v0, v16
	v_addc_co_u32_e32 v1, vcc, 0, v1, vcc
	v_cmp_lt_i16_e32 vcc, -1, v36
	global_store_short v[0:1], v5, off offset:1536
	v_cndmask_b32_e64 v0, v12, -1, vcc
	v_xor_b32_e32 v5, v0, v36
	s_waitcnt lgkmcnt(0)
	v_lshlrev_b64 v[0:1], 1, v[26:27]
	v_mov_b32_e32 v6, s59
	v_add_co_u32_e32 v0, vcc, s58, v0
	v_addc_co_u32_e32 v1, vcc, v6, v1, vcc
	v_add_co_u32_e32 v0, vcc, v0, v16
	v_addc_co_u32_e32 v1, vcc, 0, v1, vcc
	v_cmp_ne_u16_e32 vcc, s0, v30
	global_store_short v[0:1], v5, off offset:2048
	v_cndmask_b32_e32 v0, v12, v30, vcc
	v_lshrrev_b32_sdwa v0, s68, v0 dst_sel:DWORD dst_unused:UNUSED_PAD src0_sel:DWORD src1_sel:WORD_0
	v_cmp_lt_i16_e32 vcc, -1, v30
	v_and_b32_e32 v0, s9, v0
	v_cndmask_b32_e64 v1, v12, -1, vcc
	v_cmp_ne_u16_e32 vcc, s0, v38
	v_lshlrev_b32_e32 v21, 3, v0
	v_cndmask_b32_e32 v0, v12, v38, vcc
	v_lshrrev_b32_sdwa v0, s68, v0 dst_sel:DWORD dst_unused:UNUSED_PAD src0_sel:DWORD src1_sel:WORD_0
	v_and_b32_e32 v0, s9, v0
	v_cmp_ne_u16_e32 vcc, s0, v31
	v_lshlrev_b32_e32 v24, 3, v0
	v_cndmask_b32_e32 v0, v12, v31, vcc
	v_lshrrev_b32_sdwa v0, s68, v0 dst_sel:DWORD dst_unused:UNUSED_PAD src0_sel:DWORD src1_sel:WORD_0
	v_and_b32_e32 v0, s9, v0
	v_cmp_ne_u16_e32 vcc, s0, v39
	v_lshlrev_b32_e32 v29, 3, v0
	v_cndmask_b32_e32 v0, v12, v39, vcc
	v_lshrrev_b32_sdwa v0, s68, v0 dst_sel:DWORD dst_unused:UNUSED_PAD src0_sel:DWORD src1_sel:WORD_0
	v_xor_b32_e32 v5, v1, v30
	v_and_b32_e32 v6, s9, v0
	ds_read_b64 v[0:1], v21
	v_mov_b32_e32 v30, s59
	v_lshlrev_b32_e32 v55, 3, v6
	ds_read_b64 v[6:7], v24
	ds_read_b64 v[8:9], v29
	;; [unrolled: 1-line block ×3, first 2 shown]
	s_waitcnt lgkmcnt(3)
	v_lshlrev_b64 v[0:1], 1, v[0:1]
	v_add_co_u32_e32 v0, vcc, s58, v0
	v_addc_co_u32_e32 v1, vcc, v30, v1, vcc
	v_add_co_u32_e32 v0, vcc, v0, v16
	v_addc_co_u32_e32 v1, vcc, 0, v1, vcc
	v_cmp_lt_i16_e32 vcc, -1, v38
	global_store_short v[0:1], v5, off offset:2560
	v_cndmask_b32_e64 v0, v12, -1, vcc
	v_xor_b32_e32 v5, v0, v38
	s_waitcnt lgkmcnt(2)
	v_lshlrev_b64 v[0:1], 1, v[6:7]
	v_mov_b32_e32 v6, s59
	v_add_co_u32_e32 v0, vcc, s58, v0
	v_addc_co_u32_e32 v1, vcc, v6, v1, vcc
	v_add_co_u32_e32 v0, vcc, v0, v16
	v_addc_co_u32_e32 v1, vcc, 0, v1, vcc
	v_cmp_lt_i16_e32 vcc, -1, v31
	global_store_short v[0:1], v5, off offset:3072
	v_cndmask_b32_e64 v0, v12, -1, vcc
	v_xor_b32_e32 v5, v0, v31
	s_waitcnt lgkmcnt(1)
	v_lshlrev_b64 v[0:1], 1, v[8:9]
	v_add_co_u32_e32 v0, vcc, s58, v0
	v_addc_co_u32_e32 v1, vcc, v6, v1, vcc
	v_add_co_u32_e32 v0, vcc, v0, v16
	v_addc_co_u32_e32 v1, vcc, 0, v1, vcc
	v_cmp_lt_i16_e32 vcc, -1, v39
	global_store_short v[0:1], v5, off offset:3584
	v_cndmask_b32_e64 v0, v12, -1, vcc
	v_xor_b32_e32 v5, v0, v39
	s_waitcnt lgkmcnt(0)
	v_lshlrev_b64 v[0:1], 1, v[26:27]
	v_or_b32_e32 v16, 0x800, v2
	v_add_co_u32_e32 v0, vcc, s58, v0
	v_addc_co_u32_e32 v1, vcc, v6, v1, vcc
	v_lshlrev_b32_e32 v6, 1, v16
	v_add_co_u32_e32 v0, vcc, v0, v6
	v_addc_co_u32_e32 v1, vcc, 0, v1, vcc
	v_cmp_ne_u16_e32 vcc, s0, v34
	global_store_short v[0:1], v5, off
	v_cndmask_b32_e32 v0, v12, v34, vcc
	v_lshrrev_b32_sdwa v0, s68, v0 dst_sel:DWORD dst_unused:UNUSED_PAD src0_sel:DWORD src1_sel:WORD_0
	v_cmp_lt_i16_e32 vcc, -1, v34
	v_and_b32_e32 v0, s9, v0
	v_cndmask_b32_e64 v1, v12, -1, vcc
	v_cmp_ne_u16_e32 vcc, s0, v40
	v_lshlrev_b32_e32 v57, 3, v0
	v_cndmask_b32_e32 v0, v12, v40, vcc
	v_lshrrev_b32_sdwa v0, s68, v0 dst_sel:DWORD dst_unused:UNUSED_PAD src0_sel:DWORD src1_sel:WORD_0
	v_and_b32_e32 v0, s9, v0
	v_cmp_ne_u16_e32 vcc, s0, v35
	v_lshlrev_b32_e32 v58, 3, v0
	v_cndmask_b32_e32 v0, v12, v35, vcc
	v_xor_b32_e32 v5, v1, v34
	v_lshrrev_b32_sdwa v6, s68, v0 dst_sel:DWORD dst_unused:UNUSED_PAD src0_sel:DWORD src1_sel:WORD_0
	ds_read_b64 v[0:1], v57
	v_mov_b32_e32 v26, s59
	v_and_b32_e32 v6, s9, v6
	v_lshlrev_b32_e32 v59, 3, v6
	ds_read_b64 v[6:7], v58
	ds_read_b64 v[8:9], v59
	s_waitcnt lgkmcnt(2)
	v_lshlrev_b64 v[0:1], 1, v[0:1]
	v_add_co_u32_e32 v0, vcc, s58, v0
	v_addc_co_u32_e32 v1, vcc, v26, v1, vcc
	v_lshlrev_b32_e32 v26, 1, v56
	v_add_co_u32_e32 v0, vcc, v0, v26
	v_addc_co_u32_e32 v1, vcc, 0, v1, vcc
	v_cmp_lt_i16_e32 vcc, -1, v40
	global_store_short v[0:1], v5, off
	v_cndmask_b32_e64 v0, v12, -1, vcc
	v_xor_b32_e32 v5, v0, v40
	s_waitcnt lgkmcnt(1)
	v_lshlrev_b64 v[0:1], 1, v[6:7]
	v_mov_b32_e32 v6, s59
	v_add_co_u32_e32 v0, vcc, s58, v0
	v_addc_co_u32_e32 v1, vcc, v6, v1, vcc
	v_lshlrev_b32_e32 v6, 1, v60
	v_add_co_u32_e32 v0, vcc, v0, v6
	v_addc_co_u32_e32 v1, vcc, 0, v1, vcc
	v_cmp_lt_i16_e32 vcc, -1, v35
	global_store_short v[0:1], v5, off
	v_cndmask_b32_e64 v0, v12, -1, vcc
	v_xor_b32_e32 v5, v0, v35
	s_waitcnt lgkmcnt(0)
	v_lshlrev_b64 v[0:1], 1, v[8:9]
	v_mov_b32_e32 v6, s59
	v_add_co_u32_e32 v0, vcc, s58, v0
	v_addc_co_u32_e32 v1, vcc, v6, v1, vcc
	v_lshlrev_b32_e32 v6, 1, v61
	v_add_co_u32_e32 v0, vcc, v0, v6
	s_lshl_b64 s[0:1], s[54:55], 3
	v_addc_co_u32_e32 v1, vcc, 0, v1, vcc
	s_add_u32 s0, s60, s0
	global_store_short v[0:1], v5, off
	s_addc_u32 s1, s61, s1
	v_lshlrev_b32_e32 v0, 3, v10
	v_mov_b32_e32 v1, s1
	v_add_co_u32_e32 v0, vcc, s0, v0
	v_addc_co_u32_e32 v1, vcc, 0, v1, vcc
	v_add_co_u32_e32 v0, vcc, v0, v3
	v_addc_co_u32_e32 v1, vcc, 0, v1, vcc
	global_load_dwordx2 v[6:7], v[0:1], off
	global_load_dwordx2 v[8:9], v[0:1], off offset:512
	global_load_dwordx2 v[26:27], v[0:1], off offset:1024
	global_load_dwordx2 v[30:31], v[0:1], off offset:1536
	global_load_dwordx2 v[34:35], v[0:1], off offset:2048
	global_load_dwordx2 v[36:37], v[0:1], off offset:2560
	global_load_dwordx2 v[38:39], v[0:1], off offset:3072
	global_load_dwordx2 v[40:41], v[0:1], off offset:3584
	s_movk_i32 s0, 0x1000
	v_add_co_u32_e32 v0, vcc, s0, v0
	v_addc_co_u32_e32 v1, vcc, 0, v1, vcc
	global_load_dwordx2 v[42:43], v[0:1], off
	global_load_dwordx2 v[44:45], v[0:1], off offset:512
	global_load_dwordx2 v[46:47], v[0:1], off offset:1024
	;; [unrolled: 1-line block ×3, first 2 shown]
	v_lshlrev_b32_e32 v0, 3, v28
	s_barrier
	v_lshlrev_b32_e32 v16, 3, v16
	s_add_i32 s8, s8, -1
	v_mov_b32_e32 v3, 0
	s_cmp_eq_u32 s6, s8
	v_mov_b32_e32 v5, v3
	s_cselect_b64 s[0:1], -1, 0
	s_waitcnt vmcnt(11)
	ds_write_b64 v0, v[6:7] offset:2048
	v_lshlrev_b32_e32 v0, 3, v25
	s_waitcnt vmcnt(10)
	ds_write_b64 v0, v[8:9] offset:2048
	v_lshlrev_b32_e32 v0, 3, v23
	;; [unrolled: 3-line block ×11, first 2 shown]
	s_waitcnt vmcnt(0)
	ds_write_b64 v0, v[48:49] offset:2048
	s_waitcnt lgkmcnt(0)
	s_barrier
	ds_read_b64 v[0:1], v50
	ds_read2st64_b64 v[6:9], v33 offset0:4 offset1:8
	ds_read_b64 v[10:11], v51
	ds_read_b64 v[12:13], v53
	;; [unrolled: 1-line block ×3, first 2 shown]
	s_waitcnt lgkmcnt(4)
	v_lshlrev_b64 v[0:1], 3, v[0:1]
	v_mov_b32_e32 v17, s63
	v_add_co_u32_e32 v0, vcc, s62, v0
	v_addc_co_u32_e32 v1, vcc, v17, v1, vcc
	v_add_co_u32_e32 v0, vcc, v0, v33
	v_addc_co_u32_e32 v1, vcc, 0, v1, vcc
	s_waitcnt lgkmcnt(3)
	global_store_dwordx2 v[0:1], v[6:7], off
	s_waitcnt lgkmcnt(2)
	v_lshlrev_b64 v[0:1], 3, v[10:11]
	v_mov_b32_e32 v6, s63
	v_add_co_u32_e32 v0, vcc, s62, v0
	v_addc_co_u32_e32 v1, vcc, v6, v1, vcc
	v_add_co_u32_e32 v0, vcc, v0, v33
	v_addc_co_u32_e32 v1, vcc, 0, v1, vcc
	global_store_dwordx2 v[0:1], v[8:9], off offset:2048
	ds_read2st64_b64 v[6:9], v33 offset0:12 offset1:16
	s_waitcnt lgkmcnt(2)
	v_lshlrev_b64 v[0:1], 3, v[12:13]
	v_mov_b32_e32 v10, s63
	v_add_co_u32_e32 v0, vcc, s62, v0
	v_addc_co_u32_e32 v1, vcc, v10, v1, vcc
	v_add_u32_e32 v10, 0x1000, v33
	v_add_co_u32_e32 v0, vcc, v0, v10
	v_addc_co_u32_e32 v1, vcc, 0, v1, vcc
	s_waitcnt lgkmcnt(0)
	global_store_dwordx2 v[0:1], v[6:7], off
	v_lshlrev_b64 v[0:1], 3, v[14:15]
	v_mov_b32_e32 v6, s63
	v_add_co_u32_e32 v0, vcc, s62, v0
	v_addc_co_u32_e32 v1, vcc, v6, v1, vcc
	v_add_u32_e32 v6, 0x1800, v33
	v_add_co_u32_e32 v0, vcc, v0, v6
	v_addc_co_u32_e32 v1, vcc, 0, v1, vcc
	global_store_dwordx2 v[0:1], v[8:9], off
	ds_read_b64 v[0:1], v54
	ds_read2st64_b64 v[6:9], v33 offset0:20 offset1:24
	ds_read_b64 v[10:11], v21
	ds_read_b64 v[12:13], v24
	;; [unrolled: 1-line block ×3, first 2 shown]
	s_waitcnt lgkmcnt(4)
	v_lshlrev_b64 v[0:1], 3, v[0:1]
	v_add_co_u32_e32 v0, vcc, s62, v0
	v_addc_co_u32_e32 v1, vcc, v17, v1, vcc
	v_or_b32_e32 v17, 0x2000, v33
	v_add_co_u32_e32 v0, vcc, v0, v17
	v_addc_co_u32_e32 v1, vcc, 0, v1, vcc
	s_waitcnt lgkmcnt(3)
	global_store_dwordx2 v[0:1], v[6:7], off
	s_waitcnt lgkmcnt(2)
	v_lshlrev_b64 v[0:1], 3, v[10:11]
	v_mov_b32_e32 v6, s63
	v_add_co_u32_e32 v0, vcc, s62, v0
	v_addc_co_u32_e32 v1, vcc, v6, v1, vcc
	v_add_u32_e32 v6, 0x2800, v33
	v_add_co_u32_e32 v0, vcc, v0, v6
	v_addc_co_u32_e32 v1, vcc, 0, v1, vcc
	global_store_dwordx2 v[0:1], v[8:9], off
	ds_read2st64_b64 v[6:9], v33 offset0:28 offset1:32
	s_waitcnt lgkmcnt(2)
	v_lshlrev_b64 v[0:1], 3, v[12:13]
	v_mov_b32_e32 v10, s63
	v_add_co_u32_e32 v0, vcc, s62, v0
	v_addc_co_u32_e32 v1, vcc, v10, v1, vcc
	v_add_u32_e32 v10, 0x3000, v33
	v_add_co_u32_e32 v0, vcc, v0, v10
	v_addc_co_u32_e32 v1, vcc, 0, v1, vcc
	s_waitcnt lgkmcnt(0)
	global_store_dwordx2 v[0:1], v[6:7], off
	v_lshlrev_b64 v[0:1], 3, v[14:15]
	v_mov_b32_e32 v6, s63
	v_add_co_u32_e32 v0, vcc, s62, v0
	v_addc_co_u32_e32 v1, vcc, v6, v1, vcc
	v_add_u32_e32 v6, 0x3800, v33
	v_add_co_u32_e32 v0, vcc, v0, v6
	v_addc_co_u32_e32 v1, vcc, 0, v1, vcc
	global_store_dwordx2 v[0:1], v[8:9], off
	ds_read_b64 v[0:1], v55
	ds_read2st64_b64 v[6:9], v33 offset0:36 offset1:40
	ds_read_b64 v[10:11], v57
	ds_read_b64 v[12:13], v58
	;; [unrolled: 1-line block ×3, first 2 shown]
	s_waitcnt lgkmcnt(4)
	v_lshlrev_b64 v[0:1], 3, v[0:1]
	v_mov_b32_e32 v17, s63
	v_add_co_u32_e32 v0, vcc, s62, v0
	v_addc_co_u32_e32 v1, vcc, v17, v1, vcc
	v_add_co_u32_e32 v0, vcc, v0, v16
	v_addc_co_u32_e32 v1, vcc, 0, v1, vcc
	s_waitcnt lgkmcnt(3)
	global_store_dwordx2 v[0:1], v[6:7], off
	s_waitcnt lgkmcnt(2)
	v_lshlrev_b64 v[0:1], 3, v[10:11]
	v_mov_b32_e32 v6, s63
	v_add_co_u32_e32 v0, vcc, s62, v0
	v_addc_co_u32_e32 v1, vcc, v6, v1, vcc
	v_lshlrev_b32_e32 v6, 3, v56
	v_add_co_u32_e32 v0, vcc, v0, v6
	v_addc_co_u32_e32 v1, vcc, 0, v1, vcc
	global_store_dwordx2 v[0:1], v[8:9], off
	ds_read2st64_b64 v[6:9], v33 offset0:44 offset1:48
	s_waitcnt lgkmcnt(2)
	v_lshlrev_b64 v[0:1], 3, v[12:13]
	v_mov_b32_e32 v10, s63
	v_add_co_u32_e32 v0, vcc, s62, v0
	v_addc_co_u32_e32 v1, vcc, v10, v1, vcc
	v_lshlrev_b32_e32 v10, 3, v60
	v_add_co_u32_e32 v0, vcc, v0, v10
	v_addc_co_u32_e32 v1, vcc, 0, v1, vcc
	s_waitcnt lgkmcnt(0)
	global_store_dwordx2 v[0:1], v[6:7], off
	v_lshlrev_b64 v[0:1], 3, v[14:15]
	v_mov_b32_e32 v6, s63
	v_add_co_u32_e32 v0, vcc, s62, v0
	v_addc_co_u32_e32 v1, vcc, v6, v1, vcc
	v_lshlrev_b32_e32 v6, 3, v61
	v_add_co_u32_e32 v0, vcc, v0, v6
	v_addc_co_u32_e32 v1, vcc, 0, v1, vcc
	global_store_dwordx2 v[0:1], v[8:9], off
.LBB198_171:
	s_and_b64 vcc, exec, s[0:1]
	s_cbranch_vccnz .LBB198_173
; %bb.172:
	s_endpgm
.LBB198_173:
	v_lshlrev_b64 v[0:1], 3, v[2:3]
	ds_read_b64 v[2:3], v33
	v_add_co_u32_e32 v4, vcc, v4, v32
	v_addc_co_u32_e32 v5, vcc, 0, v5, vcc
	v_mov_b32_e32 v6, s67
	v_add_co_u32_e32 v0, vcc, s66, v0
	v_addc_co_u32_e32 v1, vcc, v6, v1, vcc
	s_waitcnt lgkmcnt(0)
	v_add_co_u32_e32 v2, vcc, v4, v2
	v_addc_co_u32_e32 v3, vcc, v5, v3, vcc
	global_store_dwordx2 v[0:1], v[2:3], off
	s_endpgm
.LBB198_174:
	global_load_dwordx2 v[6:7], v[30:31], off
	s_or_b64 exec, exec, s[52:53]
                                        ; implicit-def: $vgpr8_vgpr9
	s_and_saveexec_b64 s[52:53], s[0:1]
	s_cbranch_execz .LBB198_91
.LBB198_175:
	global_load_dwordx2 v[8:9], v[30:31], off offset:512
	s_or_b64 exec, exec, s[52:53]
                                        ; implicit-def: $vgpr10_vgpr11
	s_and_saveexec_b64 s[0:1], s[2:3]
	s_cbranch_execz .LBB198_92
.LBB198_176:
	global_load_dwordx2 v[10:11], v[30:31], off offset:1024
	s_or_b64 exec, exec, s[0:1]
                                        ; implicit-def: $vgpr12_vgpr13
	s_and_saveexec_b64 s[0:1], s[50:51]
	s_cbranch_execz .LBB198_93
.LBB198_177:
	global_load_dwordx2 v[12:13], v[30:31], off offset:1536
	s_or_b64 exec, exec, s[0:1]
                                        ; implicit-def: $vgpr14_vgpr15
	s_and_saveexec_b64 s[0:1], s[8:9]
	s_cbranch_execz .LBB198_94
.LBB198_178:
	global_load_dwordx2 v[14:15], v[30:31], off offset:2048
	s_or_b64 exec, exec, s[0:1]
                                        ; implicit-def: $vgpr16_vgpr17
	s_and_saveexec_b64 s[0:1], s[12:13]
	s_cbranch_execz .LBB198_95
.LBB198_179:
	global_load_dwordx2 v[16:17], v[30:31], off offset:2560
	s_or_b64 exec, exec, s[0:1]
                                        ; implicit-def: $vgpr18_vgpr19
	s_and_saveexec_b64 s[0:1], s[16:17]
	s_cbranch_execz .LBB198_96
.LBB198_180:
	global_load_dwordx2 v[18:19], v[30:31], off offset:3072
	s_or_b64 exec, exec, s[0:1]
                                        ; implicit-def: $vgpr20_vgpr21
	s_and_saveexec_b64 s[0:1], s[20:21]
	s_cbranch_execz .LBB198_97
.LBB198_181:
	global_load_dwordx2 v[20:21], v[30:31], off offset:3584
	s_or_b64 exec, exec, s[0:1]
                                        ; implicit-def: $vgpr22_vgpr23
	s_and_saveexec_b64 s[0:1], s[22:23]
	s_cbranch_execz .LBB198_98
.LBB198_182:
	v_add_co_u32_e32 v22, vcc, 0x1000, v30
	v_addc_co_u32_e32 v23, vcc, 0, v31, vcc
	global_load_dwordx2 v[22:23], v[22:23], off
	s_or_b64 exec, exec, s[0:1]
                                        ; implicit-def: $vgpr24_vgpr25
	s_and_saveexec_b64 s[0:1], s[18:19]
	s_cbranch_execz .LBB198_99
.LBB198_183:
	v_add_co_u32_e32 v24, vcc, 0x1000, v30
	v_addc_co_u32_e32 v25, vcc, 0, v31, vcc
	global_load_dwordx2 v[24:25], v[24:25], off offset:512
	s_or_b64 exec, exec, s[0:1]
                                        ; implicit-def: $vgpr26_vgpr27
	s_and_saveexec_b64 s[0:1], s[14:15]
	s_cbranch_execz .LBB198_100
.LBB198_184:
	v_add_co_u32_e32 v26, vcc, 0x1000, v30
	v_addc_co_u32_e32 v27, vcc, 0, v31, vcc
	global_load_dwordx2 v[26:27], v[26:27], off offset:1024
	s_or_b64 exec, exec, s[0:1]
                                        ; implicit-def: $vgpr28_vgpr29
	s_and_saveexec_b64 s[0:1], s[10:11]
	s_cbranch_execz .LBB198_101
.LBB198_185:
	v_add_co_u32_e32 v28, vcc, 0x1000, v30
	v_addc_co_u32_e32 v29, vcc, 0, v31, vcc
	global_load_dwordx2 v[28:29], v[28:29], off offset:1536
	s_or_b64 exec, exec, s[0:1]
                                        ; implicit-def: $vgpr65
	s_and_saveexec_b64 s[0:1], s[24:25]
	s_cbranch_execz .LBB198_102
.LBB198_186:
	v_lshlrev_b32_e32 v30, 1, v2
	ds_read_u16 v30, v30 offset:2048
	s_movk_i32 s2, 0x7fff
	v_mov_b32_e32 v31, 0xffff8000
	s_waitcnt lgkmcnt(0)
	v_cmp_ne_u16_e32 vcc, s2, v30
	v_cndmask_b32_e32 v30, v31, v30, vcc
	v_lshrrev_b32_sdwa v30, s68, v30 dst_sel:DWORD dst_unused:UNUSED_PAD src0_sel:DWORD src1_sel:WORD_0
	v_and_b32_e32 v65, s74, v30
	s_or_b64 exec, exec, s[0:1]
                                        ; implicit-def: $vgpr64
	s_and_saveexec_b64 s[0:1], s[26:27]
	s_cbranch_execz .LBB198_103
.LBB198_187:
	v_lshlrev_b32_e32 v30, 1, v2
	ds_read_u16 v30, v30 offset:2560
	s_movk_i32 s2, 0x7fff
	v_mov_b32_e32 v31, 0xffff8000
	s_waitcnt lgkmcnt(0)
	v_cmp_ne_u16_e32 vcc, s2, v30
	v_cndmask_b32_e32 v30, v31, v30, vcc
	v_lshrrev_b32_sdwa v30, s68, v30 dst_sel:DWORD dst_unused:UNUSED_PAD src0_sel:DWORD src1_sel:WORD_0
	v_and_b32_e32 v64, s74, v30
	s_or_b64 exec, exec, s[0:1]
                                        ; implicit-def: $vgpr63
	s_and_saveexec_b64 s[0:1], s[28:29]
	s_cbranch_execz .LBB198_104
.LBB198_188:
	v_lshlrev_b32_e32 v30, 1, v2
	ds_read_u16 v30, v30 offset:3072
	s_movk_i32 s2, 0x7fff
	v_mov_b32_e32 v31, 0xffff8000
	s_waitcnt lgkmcnt(0)
	v_cmp_ne_u16_e32 vcc, s2, v30
	v_cndmask_b32_e32 v30, v31, v30, vcc
	v_lshrrev_b32_sdwa v30, s68, v30 dst_sel:DWORD dst_unused:UNUSED_PAD src0_sel:DWORD src1_sel:WORD_0
	v_and_b32_e32 v63, s74, v30
	s_or_b64 exec, exec, s[0:1]
                                        ; implicit-def: $vgpr62
	s_and_saveexec_b64 s[0:1], s[30:31]
	s_cbranch_execz .LBB198_105
.LBB198_189:
	v_lshlrev_b32_e32 v30, 1, v2
	ds_read_u16 v30, v30 offset:3584
	s_movk_i32 s2, 0x7fff
	v_mov_b32_e32 v31, 0xffff8000
	s_waitcnt lgkmcnt(0)
	v_cmp_ne_u16_e32 vcc, s2, v30
	v_cndmask_b32_e32 v30, v31, v30, vcc
	v_lshrrev_b32_sdwa v30, s68, v30 dst_sel:DWORD dst_unused:UNUSED_PAD src0_sel:DWORD src1_sel:WORD_0
	v_and_b32_e32 v62, s74, v30
	s_or_b64 exec, exec, s[0:1]
                                        ; implicit-def: $vgpr61
	s_and_saveexec_b64 s[0:1], s[34:35]
	s_cbranch_execz .LBB198_106
.LBB198_190:
	v_lshlrev_b32_e32 v30, 1, v2
	ds_read_u16 v30, v30 offset:4096
	s_movk_i32 s2, 0x7fff
	v_mov_b32_e32 v31, 0xffff8000
	s_waitcnt lgkmcnt(0)
	v_cmp_ne_u16_e32 vcc, s2, v30
	v_cndmask_b32_e32 v30, v31, v30, vcc
	v_lshrrev_b32_sdwa v30, s68, v30 dst_sel:DWORD dst_unused:UNUSED_PAD src0_sel:DWORD src1_sel:WORD_0
	v_and_b32_e32 v61, s74, v30
	s_or_b64 exec, exec, s[0:1]
                                        ; implicit-def: $vgpr60
	s_and_saveexec_b64 s[0:1], s[36:37]
	s_cbranch_execz .LBB198_107
.LBB198_191:
	v_lshlrev_b32_e32 v30, 1, v2
	ds_read_u16 v30, v30 offset:4608
	s_movk_i32 s2, 0x7fff
	v_mov_b32_e32 v31, 0xffff8000
	s_waitcnt lgkmcnt(0)
	v_cmp_ne_u16_e32 vcc, s2, v30
	v_cndmask_b32_e32 v30, v31, v30, vcc
	v_lshrrev_b32_sdwa v30, s68, v30 dst_sel:DWORD dst_unused:UNUSED_PAD src0_sel:DWORD src1_sel:WORD_0
	v_and_b32_e32 v60, s74, v30
	s_or_b64 exec, exec, s[0:1]
                                        ; implicit-def: $vgpr59
	s_and_saveexec_b64 s[0:1], s[38:39]
	s_cbranch_execz .LBB198_108
.LBB198_192:
	v_lshlrev_b32_e32 v30, 1, v2
	ds_read_u16 v30, v30 offset:5120
	s_movk_i32 s2, 0x7fff
	v_mov_b32_e32 v31, 0xffff8000
	s_waitcnt lgkmcnt(0)
	v_cmp_ne_u16_e32 vcc, s2, v30
	v_cndmask_b32_e32 v30, v31, v30, vcc
	v_lshrrev_b32_sdwa v30, s68, v30 dst_sel:DWORD dst_unused:UNUSED_PAD src0_sel:DWORD src1_sel:WORD_0
	v_and_b32_e32 v59, s74, v30
	s_or_b64 exec, exec, s[0:1]
                                        ; implicit-def: $vgpr58
	s_and_saveexec_b64 s[0:1], s[40:41]
	s_cbranch_execz .LBB198_109
.LBB198_193:
	v_lshlrev_b32_e32 v30, 1, v2
	ds_read_u16 v30, v30 offset:5632
	s_movk_i32 s2, 0x7fff
	v_mov_b32_e32 v31, 0xffff8000
	s_waitcnt lgkmcnt(0)
	v_cmp_ne_u16_e32 vcc, s2, v30
	v_cndmask_b32_e32 v30, v31, v30, vcc
	v_lshrrev_b32_sdwa v30, s68, v30 dst_sel:DWORD dst_unused:UNUSED_PAD src0_sel:DWORD src1_sel:WORD_0
	v_and_b32_e32 v58, s74, v30
	s_or_b64 exec, exec, s[0:1]
                                        ; implicit-def: $vgpr57
	s_and_saveexec_b64 s[0:1], s[42:43]
	s_cbranch_execnz .LBB198_110
	s_branch .LBB198_111
.LBB198_194:
	v_lshlrev_b32_e32 v31, 1, v2
	ds_read_u16 v31, v31 offset:6656
	s_movk_i32 s2, 0x7fff
	v_mov_b32_e32 v56, 0xffff8000
	s_waitcnt lgkmcnt(0)
	v_cmp_ne_u16_e32 vcc, s2, v31
	v_cndmask_b32_e32 v31, v56, v31, vcc
	v_lshrrev_b32_sdwa v31, s68, v31 dst_sel:DWORD dst_unused:UNUSED_PAD src0_sel:DWORD src1_sel:WORD_0
	v_and_b32_e32 v56, s74, v31
	s_or_b64 exec, exec, s[0:1]
	s_and_saveexec_b64 s[0:1], s[46:47]
	s_cbranch_execz .LBB198_113
.LBB198_195:
	v_lshlrev_b32_e32 v30, 1, v2
	ds_read_u16 v30, v30 offset:7168
	s_movk_i32 s2, 0x7fff
	v_mov_b32_e32 v31, 0xffff8000
	s_waitcnt lgkmcnt(0)
	v_cmp_ne_u16_e32 vcc, s2, v30
	v_cndmask_b32_e32 v30, v31, v30, vcc
	v_lshrrev_b32_sdwa v30, s68, v30 dst_sel:DWORD dst_unused:UNUSED_PAD src0_sel:DWORD src1_sel:WORD_0
	v_and_b32_e32 v30, s74, v30
	s_or_b64 exec, exec, s[0:1]
	v_mov_b32_e32 v31, 0
	s_and_saveexec_b64 s[0:1], s[48:49]
	s_cbranch_execnz .LBB198_114
	s_branch .LBB198_115
.LBB198_196:
	v_lshlrev_b32_e32 v6, 3, v65
	ds_read_b64 v[6:7], v6
	ds_read_b64 v[8:9], v33 offset:2048
	v_mov_b32_e32 v10, s63
	s_waitcnt lgkmcnt(1)
	v_lshlrev_b64 v[6:7], 3, v[6:7]
	v_add_co_u32_e32 v6, vcc, s62, v6
	v_addc_co_u32_e32 v7, vcc, v10, v7, vcc
	v_add_co_u32_e32 v6, vcc, v6, v33
	v_addc_co_u32_e32 v7, vcc, 0, v7, vcc
	s_waitcnt lgkmcnt(0)
	global_store_dwordx2 v[6:7], v[8:9], off
	s_or_b64 exec, exec, s[0:1]
	s_and_saveexec_b64 s[0:1], s[26:27]
	s_cbranch_execz .LBB198_117
.LBB198_197:
	v_lshlrev_b32_e32 v6, 3, v64
	ds_read_b64 v[6:7], v6
	v_lshlrev_b32_e32 v10, 3, v2
	ds_read_b64 v[8:9], v10 offset:4096
	v_mov_b32_e32 v11, s63
	s_waitcnt lgkmcnt(1)
	v_lshlrev_b64 v[6:7], 3, v[6:7]
	v_add_co_u32_e32 v6, vcc, s62, v6
	v_addc_co_u32_e32 v7, vcc, v11, v7, vcc
	v_add_co_u32_e32 v6, vcc, v6, v10
	v_addc_co_u32_e32 v7, vcc, 0, v7, vcc
	s_waitcnt lgkmcnt(0)
	global_store_dwordx2 v[6:7], v[8:9], off offset:2048
	s_or_b64 exec, exec, s[0:1]
	s_and_saveexec_b64 s[0:1], s[28:29]
	s_cbranch_execz .LBB198_118
.LBB198_198:
	v_lshlrev_b32_e32 v6, 3, v63
	ds_read_b64 v[6:7], v6
	v_lshlrev_b32_e32 v8, 3, v2
	ds_read_b64 v[8:9], v8 offset:6144
	v_mov_b32_e32 v10, s63
	s_waitcnt lgkmcnt(1)
	v_lshlrev_b64 v[6:7], 3, v[6:7]
	v_add_co_u32_e32 v6, vcc, s62, v6
	v_addc_co_u32_e32 v7, vcc, v10, v7, vcc
	v_lshlrev_b32_e32 v10, 3, v46
	v_add_co_u32_e32 v6, vcc, v6, v10
	v_addc_co_u32_e32 v7, vcc, 0, v7, vcc
	s_waitcnt lgkmcnt(0)
	global_store_dwordx2 v[6:7], v[8:9], off
	s_or_b64 exec, exec, s[0:1]
	s_and_saveexec_b64 s[0:1], s[30:31]
	s_cbranch_execz .LBB198_119
.LBB198_199:
	v_lshlrev_b32_e32 v6, 3, v62
	ds_read_b64 v[6:7], v6
	v_lshlrev_b32_e32 v8, 3, v2
	ds_read_b64 v[8:9], v8 offset:8192
	v_mov_b32_e32 v10, s63
	s_waitcnt lgkmcnt(1)
	v_lshlrev_b64 v[6:7], 3, v[6:7]
	v_add_co_u32_e32 v6, vcc, s62, v6
	v_addc_co_u32_e32 v7, vcc, v10, v7, vcc
	v_lshlrev_b32_e32 v10, 3, v47
	v_add_co_u32_e32 v6, vcc, v6, v10
	v_addc_co_u32_e32 v7, vcc, 0, v7, vcc
	s_waitcnt lgkmcnt(0)
	global_store_dwordx2 v[6:7], v[8:9], off
	s_or_b64 exec, exec, s[0:1]
	s_and_saveexec_b64 s[0:1], s[34:35]
	s_cbranch_execz .LBB198_120
.LBB198_200:
	v_lshlrev_b32_e32 v6, 3, v61
	ds_read_b64 v[6:7], v6
	v_lshlrev_b32_e32 v8, 3, v2
	ds_read_b64 v[8:9], v8 offset:10240
	v_mov_b32_e32 v10, s63
	s_waitcnt lgkmcnt(1)
	v_lshlrev_b64 v[6:7], 3, v[6:7]
	v_add_co_u32_e32 v6, vcc, s62, v6
	v_addc_co_u32_e32 v7, vcc, v10, v7, vcc
	v_lshlrev_b32_e32 v10, 3, v48
	v_add_co_u32_e32 v6, vcc, v6, v10
	v_addc_co_u32_e32 v7, vcc, 0, v7, vcc
	s_waitcnt lgkmcnt(0)
	global_store_dwordx2 v[6:7], v[8:9], off
	s_or_b64 exec, exec, s[0:1]
	s_and_saveexec_b64 s[0:1], s[36:37]
	s_cbranch_execz .LBB198_121
.LBB198_201:
	v_lshlrev_b32_e32 v6, 3, v60
	ds_read_b64 v[6:7], v6
	v_lshlrev_b32_e32 v8, 3, v2
	ds_read_b64 v[8:9], v8 offset:12288
	v_mov_b32_e32 v10, s63
	s_waitcnt lgkmcnt(1)
	v_lshlrev_b64 v[6:7], 3, v[6:7]
	v_add_co_u32_e32 v6, vcc, s62, v6
	v_addc_co_u32_e32 v7, vcc, v10, v7, vcc
	v_lshlrev_b32_e32 v10, 3, v49
	v_add_co_u32_e32 v6, vcc, v6, v10
	v_addc_co_u32_e32 v7, vcc, 0, v7, vcc
	s_waitcnt lgkmcnt(0)
	global_store_dwordx2 v[6:7], v[8:9], off
	s_or_b64 exec, exec, s[0:1]
	s_and_saveexec_b64 s[0:1], s[38:39]
	s_cbranch_execz .LBB198_122
.LBB198_202:
	v_lshlrev_b32_e32 v6, 3, v59
	ds_read_b64 v[6:7], v6
	v_lshlrev_b32_e32 v8, 3, v2
	ds_read_b64 v[8:9], v8 offset:14336
	v_mov_b32_e32 v10, s63
	s_waitcnt lgkmcnt(1)
	v_lshlrev_b64 v[6:7], 3, v[6:7]
	v_add_co_u32_e32 v6, vcc, s62, v6
	v_addc_co_u32_e32 v7, vcc, v10, v7, vcc
	v_lshlrev_b32_e32 v10, 3, v50
	v_add_co_u32_e32 v6, vcc, v6, v10
	v_addc_co_u32_e32 v7, vcc, 0, v7, vcc
	s_waitcnt lgkmcnt(0)
	global_store_dwordx2 v[6:7], v[8:9], off
	s_or_b64 exec, exec, s[0:1]
	s_and_saveexec_b64 s[0:1], s[40:41]
	s_cbranch_execz .LBB198_123
.LBB198_203:
	v_lshlrev_b32_e32 v6, 3, v58
	ds_read_b64 v[6:7], v6
	v_lshlrev_b32_e32 v8, 3, v2
	ds_read_b64 v[8:9], v8 offset:16384
	v_mov_b32_e32 v10, s63
	s_waitcnt lgkmcnt(1)
	v_lshlrev_b64 v[6:7], 3, v[6:7]
	v_add_co_u32_e32 v6, vcc, s62, v6
	v_addc_co_u32_e32 v7, vcc, v10, v7, vcc
	v_lshlrev_b32_e32 v10, 3, v51
	v_add_co_u32_e32 v6, vcc, v6, v10
	v_addc_co_u32_e32 v7, vcc, 0, v7, vcc
	s_waitcnt lgkmcnt(0)
	global_store_dwordx2 v[6:7], v[8:9], off
	s_or_b64 exec, exec, s[0:1]
	s_and_saveexec_b64 s[0:1], s[42:43]
	s_cbranch_execz .LBB198_124
.LBB198_204:
	v_lshlrev_b32_e32 v6, 3, v57
	ds_read_b64 v[6:7], v6
	v_lshlrev_b32_e32 v8, 3, v2
	ds_read_b64 v[8:9], v8 offset:18432
	v_mov_b32_e32 v10, s63
	s_waitcnt lgkmcnt(1)
	v_lshlrev_b64 v[6:7], 3, v[6:7]
	v_add_co_u32_e32 v6, vcc, s62, v6
	v_addc_co_u32_e32 v7, vcc, v10, v7, vcc
	v_lshlrev_b32_e32 v10, 3, v52
	v_add_co_u32_e32 v6, vcc, v6, v10
	v_addc_co_u32_e32 v7, vcc, 0, v7, vcc
	s_waitcnt lgkmcnt(0)
	global_store_dwordx2 v[6:7], v[8:9], off
	s_or_b64 exec, exec, s[0:1]
	s_and_saveexec_b64 s[0:1], s[44:45]
	s_cbranch_execz .LBB198_125
.LBB198_205:
	v_lshlrev_b32_e32 v6, 3, v56
	ds_read_b64 v[6:7], v6
	v_lshlrev_b32_e32 v8, 3, v2
	ds_read_b64 v[8:9], v8 offset:20480
	v_mov_b32_e32 v10, s63
	s_waitcnt lgkmcnt(1)
	v_lshlrev_b64 v[6:7], 3, v[6:7]
	v_add_co_u32_e32 v6, vcc, s62, v6
	v_addc_co_u32_e32 v7, vcc, v10, v7, vcc
	v_lshlrev_b32_e32 v10, 3, v53
	v_add_co_u32_e32 v6, vcc, v6, v10
	v_addc_co_u32_e32 v7, vcc, 0, v7, vcc
	s_waitcnt lgkmcnt(0)
	global_store_dwordx2 v[6:7], v[8:9], off
	s_or_b64 exec, exec, s[0:1]
	s_and_saveexec_b64 s[0:1], s[46:47]
	s_cbranch_execz .LBB198_126
.LBB198_206:
	v_lshlrev_b32_e32 v6, 3, v30
	ds_read_b64 v[6:7], v6
	v_lshlrev_b32_e32 v8, 3, v2
	ds_read_b64 v[8:9], v8 offset:22528
	v_mov_b32_e32 v10, s63
	s_waitcnt lgkmcnt(1)
	v_lshlrev_b64 v[6:7], 3, v[6:7]
	v_add_co_u32_e32 v6, vcc, s62, v6
	v_addc_co_u32_e32 v7, vcc, v10, v7, vcc
	v_lshlrev_b32_e32 v10, 3, v54
	v_add_co_u32_e32 v6, vcc, v6, v10
	v_addc_co_u32_e32 v7, vcc, 0, v7, vcc
	s_waitcnt lgkmcnt(0)
	global_store_dwordx2 v[6:7], v[8:9], off
	s_or_b64 exec, exec, s[0:1]
	s_and_saveexec_b64 s[0:1], s[48:49]
	s_cbranch_execnz .LBB198_127
	s_branch .LBB198_128
	.section	.rodata,"a",@progbits
	.p2align	6, 0x0
	.amdhsa_kernel _ZN7rocprim17ROCPRIM_304000_NS6detail25onesweep_iteration_kernelINS1_34wrapped_radix_sort_onesweep_configINS0_14default_configE6__halfN2at4cuda3cub6detail10OpaqueTypeILi8EEEEELb0EPKS5_PS5_PKSB_PSB_mNS0_19identity_decomposerEEEvT1_T2_T3_T4_jPT5_SP_PNS1_23onesweep_lookback_stateET6_jjj
		.amdhsa_group_segment_fixed_size 26624
		.amdhsa_private_segment_fixed_size 0
		.amdhsa_kernarg_size 336
		.amdhsa_user_sgpr_count 6
		.amdhsa_user_sgpr_private_segment_buffer 1
		.amdhsa_user_sgpr_dispatch_ptr 0
		.amdhsa_user_sgpr_queue_ptr 0
		.amdhsa_user_sgpr_kernarg_segment_ptr 1
		.amdhsa_user_sgpr_dispatch_id 0
		.amdhsa_user_sgpr_flat_scratch_init 0
		.amdhsa_user_sgpr_kernarg_preload_length 0
		.amdhsa_user_sgpr_kernarg_preload_offset 0
		.amdhsa_user_sgpr_private_segment_size 0
		.amdhsa_uses_dynamic_stack 0
		.amdhsa_system_sgpr_private_segment_wavefront_offset 0
		.amdhsa_system_sgpr_workgroup_id_x 1
		.amdhsa_system_sgpr_workgroup_id_y 0
		.amdhsa_system_sgpr_workgroup_id_z 0
		.amdhsa_system_sgpr_workgroup_info 0
		.amdhsa_system_vgpr_workitem_id 2
		.amdhsa_next_free_vgpr 67
		.amdhsa_next_free_sgpr 75
		.amdhsa_accum_offset 68
		.amdhsa_reserve_vcc 1
		.amdhsa_reserve_flat_scratch 0
		.amdhsa_float_round_mode_32 0
		.amdhsa_float_round_mode_16_64 0
		.amdhsa_float_denorm_mode_32 3
		.amdhsa_float_denorm_mode_16_64 3
		.amdhsa_dx10_clamp 1
		.amdhsa_ieee_mode 1
		.amdhsa_fp16_overflow 0
		.amdhsa_tg_split 0
		.amdhsa_exception_fp_ieee_invalid_op 0
		.amdhsa_exception_fp_denorm_src 0
		.amdhsa_exception_fp_ieee_div_zero 0
		.amdhsa_exception_fp_ieee_overflow 0
		.amdhsa_exception_fp_ieee_underflow 0
		.amdhsa_exception_fp_ieee_inexact 0
		.amdhsa_exception_int_div_zero 0
	.end_amdhsa_kernel
	.section	.text._ZN7rocprim17ROCPRIM_304000_NS6detail25onesweep_iteration_kernelINS1_34wrapped_radix_sort_onesweep_configINS0_14default_configE6__halfN2at4cuda3cub6detail10OpaqueTypeILi8EEEEELb0EPKS5_PS5_PKSB_PSB_mNS0_19identity_decomposerEEEvT1_T2_T3_T4_jPT5_SP_PNS1_23onesweep_lookback_stateET6_jjj,"axG",@progbits,_ZN7rocprim17ROCPRIM_304000_NS6detail25onesweep_iteration_kernelINS1_34wrapped_radix_sort_onesweep_configINS0_14default_configE6__halfN2at4cuda3cub6detail10OpaqueTypeILi8EEEEELb0EPKS5_PS5_PKSB_PSB_mNS0_19identity_decomposerEEEvT1_T2_T3_T4_jPT5_SP_PNS1_23onesweep_lookback_stateET6_jjj,comdat
.Lfunc_end198:
	.size	_ZN7rocprim17ROCPRIM_304000_NS6detail25onesweep_iteration_kernelINS1_34wrapped_radix_sort_onesweep_configINS0_14default_configE6__halfN2at4cuda3cub6detail10OpaqueTypeILi8EEEEELb0EPKS5_PS5_PKSB_PSB_mNS0_19identity_decomposerEEEvT1_T2_T3_T4_jPT5_SP_PNS1_23onesweep_lookback_stateET6_jjj, .Lfunc_end198-_ZN7rocprim17ROCPRIM_304000_NS6detail25onesweep_iteration_kernelINS1_34wrapped_radix_sort_onesweep_configINS0_14default_configE6__halfN2at4cuda3cub6detail10OpaqueTypeILi8EEEEELb0EPKS5_PS5_PKSB_PSB_mNS0_19identity_decomposerEEEvT1_T2_T3_T4_jPT5_SP_PNS1_23onesweep_lookback_stateET6_jjj
                                        ; -- End function
	.section	.AMDGPU.csdata,"",@progbits
; Kernel info:
; codeLenInByte = 21012
; NumSgprs: 79
; NumVgprs: 67
; NumAgprs: 0
; TotalNumVgprs: 67
; ScratchSize: 0
; MemoryBound: 0
; FloatMode: 240
; IeeeMode: 1
; LDSByteSize: 26624 bytes/workgroup (compile time only)
; SGPRBlocks: 9
; VGPRBlocks: 8
; NumSGPRsForWavesPerEU: 79
; NumVGPRsForWavesPerEU: 67
; AccumOffset: 68
; Occupancy: 2
; WaveLimiterHint : 1
; COMPUTE_PGM_RSRC2:SCRATCH_EN: 0
; COMPUTE_PGM_RSRC2:USER_SGPR: 6
; COMPUTE_PGM_RSRC2:TRAP_HANDLER: 0
; COMPUTE_PGM_RSRC2:TGID_X_EN: 1
; COMPUTE_PGM_RSRC2:TGID_Y_EN: 0
; COMPUTE_PGM_RSRC2:TGID_Z_EN: 0
; COMPUTE_PGM_RSRC2:TIDIG_COMP_CNT: 2
; COMPUTE_PGM_RSRC3_GFX90A:ACCUM_OFFSET: 16
; COMPUTE_PGM_RSRC3_GFX90A:TG_SPLIT: 0
	.section	.text._ZN7rocprim17ROCPRIM_304000_NS6detail25onesweep_iteration_kernelINS1_34wrapped_radix_sort_onesweep_configINS0_14default_configE6__halfN2at4cuda3cub6detail10OpaqueTypeILi8EEEEELb0EPS5_SD_PSB_SE_mNS0_19identity_decomposerEEEvT1_T2_T3_T4_jPT5_SL_PNS1_23onesweep_lookback_stateET6_jjj,"axG",@progbits,_ZN7rocprim17ROCPRIM_304000_NS6detail25onesweep_iteration_kernelINS1_34wrapped_radix_sort_onesweep_configINS0_14default_configE6__halfN2at4cuda3cub6detail10OpaqueTypeILi8EEEEELb0EPS5_SD_PSB_SE_mNS0_19identity_decomposerEEEvT1_T2_T3_T4_jPT5_SL_PNS1_23onesweep_lookback_stateET6_jjj,comdat
	.protected	_ZN7rocprim17ROCPRIM_304000_NS6detail25onesweep_iteration_kernelINS1_34wrapped_radix_sort_onesweep_configINS0_14default_configE6__halfN2at4cuda3cub6detail10OpaqueTypeILi8EEEEELb0EPS5_SD_PSB_SE_mNS0_19identity_decomposerEEEvT1_T2_T3_T4_jPT5_SL_PNS1_23onesweep_lookback_stateET6_jjj ; -- Begin function _ZN7rocprim17ROCPRIM_304000_NS6detail25onesweep_iteration_kernelINS1_34wrapped_radix_sort_onesweep_configINS0_14default_configE6__halfN2at4cuda3cub6detail10OpaqueTypeILi8EEEEELb0EPS5_SD_PSB_SE_mNS0_19identity_decomposerEEEvT1_T2_T3_T4_jPT5_SL_PNS1_23onesweep_lookback_stateET6_jjj
	.globl	_ZN7rocprim17ROCPRIM_304000_NS6detail25onesweep_iteration_kernelINS1_34wrapped_radix_sort_onesweep_configINS0_14default_configE6__halfN2at4cuda3cub6detail10OpaqueTypeILi8EEEEELb0EPS5_SD_PSB_SE_mNS0_19identity_decomposerEEEvT1_T2_T3_T4_jPT5_SL_PNS1_23onesweep_lookback_stateET6_jjj
	.p2align	8
	.type	_ZN7rocprim17ROCPRIM_304000_NS6detail25onesweep_iteration_kernelINS1_34wrapped_radix_sort_onesweep_configINS0_14default_configE6__halfN2at4cuda3cub6detail10OpaqueTypeILi8EEEEELb0EPS5_SD_PSB_SE_mNS0_19identity_decomposerEEEvT1_T2_T3_T4_jPT5_SL_PNS1_23onesweep_lookback_stateET6_jjj,@function
_ZN7rocprim17ROCPRIM_304000_NS6detail25onesweep_iteration_kernelINS1_34wrapped_radix_sort_onesweep_configINS0_14default_configE6__halfN2at4cuda3cub6detail10OpaqueTypeILi8EEEEELb0EPS5_SD_PSB_SE_mNS0_19identity_decomposerEEEvT1_T2_T3_T4_jPT5_SL_PNS1_23onesweep_lookback_stateET6_jjj: ; @_ZN7rocprim17ROCPRIM_304000_NS6detail25onesweep_iteration_kernelINS1_34wrapped_radix_sort_onesweep_configINS0_14default_configE6__halfN2at4cuda3cub6detail10OpaqueTypeILi8EEEEELb0EPS5_SD_PSB_SE_mNS0_19identity_decomposerEEEvT1_T2_T3_T4_jPT5_SL_PNS1_23onesweep_lookback_stateET6_jjj
; %bb.0:
	s_load_dwordx4 s[68:71], s[4:5], 0x44
	s_load_dwordx8 s[56:63], s[4:5], 0x0
	s_load_dwordx4 s[64:67], s[4:5], 0x28
	s_load_dwordx2 s[72:73], s[4:5], 0x38
	s_mov_b32 s7, s6
	s_waitcnt lgkmcnt(0)
	s_cmp_ge_u32 s6, s70
	s_mul_i32 s54, s6, 0xc00
	v_mbcnt_lo_u32_b32 v1, -1, 0
	s_cbranch_scc0 .LBB199_129
; %bb.1:
	s_load_dword s2, s[4:5], 0x20
	s_mulk_i32 s70, 0xf400
	s_mov_b32 s55, 0
	s_lshl_b64 s[0:1], s[54:55], 1
	v_and_b32_e32 v2, 0x3ff, v0
	s_waitcnt lgkmcnt(0)
	s_add_i32 s70, s70, s2
	s_add_u32 s0, s56, s0
	v_mbcnt_hi_u32_b32 v13, -1, v1
	s_addc_u32 s1, s57, s1
	v_and_b32_e32 v3, 0xc0, v2
	v_lshlrev_b32_e32 v4, 1, v13
	v_mul_u32_u24_e32 v12, 12, v3
	v_mov_b32_e32 v5, s1
	v_add_co_u32_e32 v4, vcc, s0, v4
	v_addc_co_u32_e32 v5, vcc, 0, v5, vcc
	v_lshlrev_b32_e32 v6, 1, v12
	v_add_co_u32_e32 v4, vcc, v4, v6
	v_addc_co_u32_e32 v5, vcc, 0, v5, vcc
	v_or_b32_e32 v7, v13, v12
	v_cmp_gt_u32_e32 vcc, s70, v7
	v_mov_b32_e32 v10, 0x7fff
	v_mov_b32_e32 v6, 0x7fff
	s_and_saveexec_b64 s[0:1], vcc
	s_cbranch_execz .LBB199_3
; %bb.2:
	global_load_ushort v6, v[4:5], off
.LBB199_3:
	s_or_b64 exec, exec, s[0:1]
	v_add_u32_e32 v8, 64, v7
	v_cmp_gt_u32_e64 s[0:1], s70, v8
	s_and_saveexec_b64 s[2:3], s[0:1]
	s_cbranch_execz .LBB199_5
; %bb.4:
	global_load_ushort v10, v[4:5], off offset:128
.LBB199_5:
	s_or_b64 exec, exec, s[2:3]
	v_add_u32_e32 v8, 0x80, v7
	v_cmp_gt_u32_e64 s[2:3], s70, v8
	v_mov_b32_e32 v24, 0x7fff
	v_mov_b32_e32 v19, 0x7fff
	s_and_saveexec_b64 s[8:9], s[2:3]
	s_cbranch_execz .LBB199_7
; %bb.6:
	global_load_ushort v19, v[4:5], off offset:256
.LBB199_7:
	s_or_b64 exec, exec, s[8:9]
	v_add_u32_e32 v8, 0xc0, v7
	v_cmp_gt_u32_e64 s[50:51], s70, v8
	s_and_saveexec_b64 s[8:9], s[50:51]
	s_cbranch_execz .LBB199_9
; %bb.8:
	global_load_ushort v24, v[4:5], off offset:384
.LBB199_9:
	s_or_b64 exec, exec, s[8:9]
	v_add_u32_e32 v8, 0x100, v7
	v_cmp_gt_u32_e64 s[8:9], s70, v8
	v_mov_b32_e32 v36, 0x7fff
	v_mov_b32_e32 v29, 0x7fff
	s_and_saveexec_b64 s[10:11], s[8:9]
	s_cbranch_execz .LBB199_11
; %bb.10:
	global_load_ushort v29, v[4:5], off offset:512
.LBB199_11:
	;; [unrolled: 18-line block ×5, first 2 shown]
	s_or_b64 exec, exec, s[10:11]
	v_add_u32_e32 v7, 0x2c0, v7
	v_cmp_gt_u32_e64 s[10:11], s70, v7
	s_and_saveexec_b64 s[24:25], s[10:11]
	s_cbranch_execz .LBB199_25
; %bb.24:
	global_load_ushort v16, v[4:5], off offset:1408
.LBB199_25:
	s_or_b64 exec, exec, s[24:25]
	s_load_dword s24, s[4:5], 0x5c
	s_load_dword s33, s[4:5], 0x50
	s_add_u32 s25, s4, 0x50
	s_addc_u32 s26, s5, 0
	v_mov_b32_e32 v4, 0
	s_waitcnt lgkmcnt(0)
	s_lshr_b32 s27, s24, 16
	s_cmp_lt_u32 s6, s33
	s_cselect_b32 s24, 12, 18
	s_add_u32 s24, s25, s24
	s_addc_u32 s25, s26, 0
	global_load_ushort v7, v4, s[24:25]
	v_mov_b32_e32 v15, 0xffff8000
	s_waitcnt vmcnt(1)
	v_cmp_lt_i16_e64 s[24:25], -1, v6
	v_mul_u32_u24_e32 v8, 5, v2
	v_cndmask_b32_e64 v14, -1, v15, s[24:25]
	s_movk_i32 s28, 0x7fff
	v_lshlrev_b32_e32 v9, 2, v8
	v_xor_b32_e32 v8, v14, v6
	v_cmp_ne_u16_e64 s[24:25], s28, v8
	v_cndmask_b32_e64 v6, v15, v8, s[24:25]
	s_lshl_b32 s24, -1, s69
	v_lshrrev_b32_sdwa v6, s68, v6 dst_sel:DWORD dst_unused:UNUSED_PAD src0_sel:DWORD src1_sel:WORD_0
	s_not_b32 s74, s24
	v_and_b32_e32 v14, s74, v6
	v_and_b32_e32 v6, 1, v14
	v_bfe_u32 v5, v0, 10, 10
	v_bfe_u32 v11, v0, 20, 10
	v_add_co_u32_e64 v18, s[24:25], -1, v6
	v_mad_u32_u24 v11, v11, s27, v5
	v_lshlrev_b32_e32 v5, 30, v14
	v_addc_co_u32_e64 v20, s[24:25], 0, -1, s[24:25]
	v_cmp_ne_u32_e64 s[24:25], 0, v6
	v_cmp_gt_i64_e64 s[26:27], 0, v[4:5]
	v_not_b32_e32 v6, v5
	v_lshlrev_b32_e32 v5, 29, v14
	v_xor_b32_e32 v20, s25, v20
	v_xor_b32_e32 v18, s24, v18
	v_ashrrev_i32_e32 v6, 31, v6
	v_cmp_gt_i64_e64 s[24:25], 0, v[4:5]
	v_not_b32_e32 v22, v5
	v_lshlrev_b32_e32 v5, 28, v14
	v_and_b32_e32 v20, exec_hi, v20
	v_and_b32_e32 v18, exec_lo, v18
	v_xor_b32_e32 v23, s27, v6
	v_xor_b32_e32 v6, s26, v6
	v_ashrrev_i32_e32 v22, 31, v22
	v_cmp_gt_i64_e64 s[26:27], 0, v[4:5]
	v_not_b32_e32 v25, v5
	v_lshlrev_b32_e32 v5, 27, v14
	v_and_b32_e32 v20, v20, v23
	v_and_b32_e32 v6, v18, v6
	v_xor_b32_e32 v18, s25, v22
	v_xor_b32_e32 v22, s24, v22
	v_ashrrev_i32_e32 v23, 31, v25
	v_cmp_gt_i64_e64 s[24:25], 0, v[4:5]
	v_not_b32_e32 v25, v5
	v_lshlrev_b32_e32 v5, 26, v14
	v_and_b32_e32 v18, v20, v18
	v_and_b32_e32 v6, v6, v22
	v_xor_b32_e32 v20, s27, v23
	v_xor_b32_e32 v22, s26, v23
	v_ashrrev_i32_e32 v23, 31, v25
	v_not_b32_e32 v25, v5
	v_cmp_gt_i64_e64 s[26:27], 0, v[4:5]
	v_lshlrev_b32_e32 v5, 25, v14
	v_and_b32_e32 v18, v18, v20
	v_and_b32_e32 v6, v6, v22
	v_xor_b32_e32 v20, s25, v23
	v_xor_b32_e32 v22, s24, v23
	v_ashrrev_i32_e32 v23, 31, v25
	v_cmp_gt_i64_e64 s[24:25], 0, v[4:5]
	v_not_b32_e32 v5, v5
	v_and_b32_e32 v18, v18, v20
	v_and_b32_e32 v6, v6, v22
	v_xor_b32_e32 v20, s27, v23
	v_xor_b32_e32 v22, s26, v23
	v_ashrrev_i32_e32 v5, 31, v5
	v_and_b32_e32 v18, v18, v20
	v_and_b32_e32 v20, v6, v22
	v_mul_u32_u24_e32 v17, 5, v14
	v_xor_b32_e32 v22, s25, v5
	v_xor_b32_e32 v5, s24, v5
	ds_write2_b32 v9, v4, v4 offset0:4 offset1:5
	ds_write2_b32 v9, v4, v4 offset0:6 offset1:7
	ds_write_b32 v9, v4 offset:32
	s_waitcnt lgkmcnt(0)
	s_barrier
	s_waitcnt lgkmcnt(0)
	; wave barrier
	s_waitcnt vmcnt(0)
	v_mad_u64_u32 v[6:7], s[26:27], v11, v7, v[2:3]
	v_lshrrev_b32_e32 v23, 6, v6
	v_add_lshl_u32 v11, v23, v17, 2
	v_and_b32_e32 v17, v20, v5
	v_lshlrev_b32_e32 v5, 24, v14
	v_cmp_gt_i64_e64 s[24:25], 0, v[4:5]
	v_not_b32_e32 v5, v5
	v_ashrrev_i32_e32 v5, 31, v5
	v_and_b32_e32 v6, v18, v22
	v_xor_b32_e32 v7, s25, v5
	v_xor_b32_e32 v5, s24, v5
	v_and_b32_e32 v7, v6, v7
	v_and_b32_e32 v6, v17, v5
	v_mbcnt_lo_u32_b32 v5, v6, 0
	v_mbcnt_hi_u32_b32 v14, v7, v5
	v_cmp_eq_u32_e64 s[24:25], 0, v14
	v_cmp_ne_u64_e64 s[26:27], 0, v[6:7]
	s_and_b64 s[26:27], s[26:27], s[24:25]
	s_and_saveexec_b64 s[24:25], s[26:27]
	s_cbranch_execz .LBB199_27
; %bb.26:
	v_bcnt_u32_b32 v5, v6, 0
	v_bcnt_u32_b32 v5, v7, v5
	ds_write_b32 v11, v5 offset:16
.LBB199_27:
	s_or_b64 exec, exec, s[24:25]
	v_cmp_lt_i16_e64 s[24:25], -1, v10
	v_cndmask_b32_e64 v5, -1, v15, s[24:25]
	v_xor_b32_e32 v10, v5, v10
	v_cmp_ne_u16_e64 s[24:25], s28, v10
	v_cndmask_b32_e64 v5, v15, v10, s[24:25]
	v_lshrrev_b32_sdwa v5, s68, v5 dst_sel:DWORD dst_unused:UNUSED_PAD src0_sel:DWORD src1_sel:WORD_0
	v_and_b32_e32 v6, s74, v5
	v_mul_u32_u24_e32 v5, 5, v6
	v_add_lshl_u32 v17, v23, v5, 2
	v_and_b32_e32 v5, 1, v6
	v_add_co_u32_e64 v7, s[24:25], -1, v5
	v_addc_co_u32_e64 v18, s[24:25], 0, -1, s[24:25]
	v_cmp_ne_u32_e64 s[24:25], 0, v5
	v_xor_b32_e32 v5, s25, v18
	v_and_b32_e32 v18, exec_hi, v5
	v_lshlrev_b32_e32 v5, 30, v6
	v_xor_b32_e32 v7, s24, v7
	v_cmp_gt_i64_e64 s[24:25], 0, v[4:5]
	v_not_b32_e32 v5, v5
	v_ashrrev_i32_e32 v5, 31, v5
	v_and_b32_e32 v7, exec_lo, v7
	v_xor_b32_e32 v20, s25, v5
	v_xor_b32_e32 v5, s24, v5
	v_and_b32_e32 v7, v7, v5
	v_lshlrev_b32_e32 v5, 29, v6
	v_cmp_gt_i64_e64 s[24:25], 0, v[4:5]
	v_not_b32_e32 v5, v5
	v_ashrrev_i32_e32 v5, 31, v5
	v_and_b32_e32 v18, v18, v20
	v_xor_b32_e32 v20, s25, v5
	v_xor_b32_e32 v5, s24, v5
	v_and_b32_e32 v7, v7, v5
	v_lshlrev_b32_e32 v5, 28, v6
	v_cmp_gt_i64_e64 s[24:25], 0, v[4:5]
	v_not_b32_e32 v5, v5
	v_ashrrev_i32_e32 v5, 31, v5
	v_and_b32_e32 v18, v18, v20
	;; [unrolled: 8-line block ×5, first 2 shown]
	v_xor_b32_e32 v20, s25, v5
	v_xor_b32_e32 v5, s24, v5
	v_and_b32_e32 v7, v7, v5
	v_lshlrev_b32_e32 v5, 24, v6
	v_cmp_gt_i64_e64 s[24:25], 0, v[4:5]
	v_not_b32_e32 v4, v5
	v_ashrrev_i32_e32 v4, 31, v4
	v_xor_b32_e32 v5, s25, v4
	v_xor_b32_e32 v4, s24, v4
	; wave barrier
	ds_read_b32 v15, v17 offset:16
	v_and_b32_e32 v18, v18, v20
	v_and_b32_e32 v4, v7, v4
	;; [unrolled: 1-line block ×3, first 2 shown]
	v_mbcnt_lo_u32_b32 v6, v4, 0
	v_mbcnt_hi_u32_b32 v18, v5, v6
	v_cmp_eq_u32_e64 s[24:25], 0, v18
	v_cmp_ne_u64_e64 s[26:27], 0, v[4:5]
	s_and_b64 s[26:27], s[26:27], s[24:25]
	; wave barrier
	s_and_saveexec_b64 s[24:25], s[26:27]
	s_cbranch_execz .LBB199_29
; %bb.28:
	v_bcnt_u32_b32 v4, v4, 0
	v_bcnt_u32_b32 v4, v5, v4
	s_waitcnt lgkmcnt(0)
	v_add_u32_e32 v4, v15, v4
	ds_write_b32 v17, v4 offset:16
.LBB199_29:
	s_or_b64 exec, exec, s[24:25]
	v_mov_b32_e32 v27, 0xffff8000
	v_cmp_lt_i16_e64 s[24:25], -1, v19
	v_cndmask_b32_e64 v4, -1, v27, s[24:25]
	v_xor_b32_e32 v19, v4, v19
	v_cmp_ne_u16_e64 s[24:25], s28, v19
	v_cndmask_b32_e64 v4, v27, v19, s[24:25]
	v_lshrrev_b32_sdwa v4, s68, v4 dst_sel:DWORD dst_unused:UNUSED_PAD src0_sel:DWORD src1_sel:WORD_0
	v_and_b32_e32 v6, s74, v4
	v_and_b32_e32 v5, 1, v6
	v_add_co_u32_e64 v7, s[24:25], -1, v5
	v_addc_co_u32_e64 v25, s[24:25], 0, -1, s[24:25]
	v_cmp_ne_u32_e64 s[24:25], 0, v5
	v_mul_u32_u24_e32 v4, 5, v6
	v_xor_b32_e32 v5, s25, v25
	v_add_lshl_u32 v22, v23, v4, 2
	v_mov_b32_e32 v4, 0
	v_and_b32_e32 v25, exec_hi, v5
	v_lshlrev_b32_e32 v5, 30, v6
	v_xor_b32_e32 v7, s24, v7
	v_cmp_gt_i64_e64 s[24:25], 0, v[4:5]
	v_not_b32_e32 v5, v5
	v_ashrrev_i32_e32 v5, 31, v5
	v_and_b32_e32 v7, exec_lo, v7
	v_xor_b32_e32 v28, s25, v5
	v_xor_b32_e32 v5, s24, v5
	v_and_b32_e32 v7, v7, v5
	v_lshlrev_b32_e32 v5, 29, v6
	v_cmp_gt_i64_e64 s[24:25], 0, v[4:5]
	v_not_b32_e32 v5, v5
	v_ashrrev_i32_e32 v5, 31, v5
	v_and_b32_e32 v25, v25, v28
	v_xor_b32_e32 v28, s25, v5
	v_xor_b32_e32 v5, s24, v5
	v_and_b32_e32 v7, v7, v5
	v_lshlrev_b32_e32 v5, 28, v6
	v_cmp_gt_i64_e64 s[24:25], 0, v[4:5]
	v_not_b32_e32 v5, v5
	v_ashrrev_i32_e32 v5, 31, v5
	v_and_b32_e32 v25, v25, v28
	v_xor_b32_e32 v28, s25, v5
	v_xor_b32_e32 v5, s24, v5
	v_and_b32_e32 v7, v7, v5
	v_lshlrev_b32_e32 v5, 27, v6
	v_cmp_gt_i64_e64 s[24:25], 0, v[4:5]
	v_not_b32_e32 v5, v5
	v_ashrrev_i32_e32 v5, 31, v5
	v_and_b32_e32 v25, v25, v28
	v_xor_b32_e32 v28, s25, v5
	v_xor_b32_e32 v5, s24, v5
	v_and_b32_e32 v7, v7, v5
	v_lshlrev_b32_e32 v5, 26, v6
	v_cmp_gt_i64_e64 s[24:25], 0, v[4:5]
	v_not_b32_e32 v5, v5
	v_ashrrev_i32_e32 v5, 31, v5
	v_and_b32_e32 v25, v25, v28
	v_xor_b32_e32 v28, s25, v5
	v_xor_b32_e32 v5, s24, v5
	v_and_b32_e32 v7, v7, v5
	v_lshlrev_b32_e32 v5, 25, v6
	v_cmp_gt_i64_e64 s[24:25], 0, v[4:5]
	v_not_b32_e32 v5, v5
	v_ashrrev_i32_e32 v5, 31, v5
	v_and_b32_e32 v25, v25, v28
	v_xor_b32_e32 v28, s25, v5
	v_xor_b32_e32 v5, s24, v5
	v_and_b32_e32 v25, v25, v28
	v_and_b32_e32 v28, v7, v5
	v_lshlrev_b32_e32 v5, 24, v6
	v_cmp_gt_i64_e64 s[24:25], 0, v[4:5]
	v_not_b32_e32 v5, v5
	v_ashrrev_i32_e32 v5, 31, v5
	v_xor_b32_e32 v6, s25, v5
	v_xor_b32_e32 v5, s24, v5
	; wave barrier
	ds_read_b32 v20, v22 offset:16
	v_and_b32_e32 v7, v25, v6
	v_and_b32_e32 v6, v28, v5
	v_mbcnt_lo_u32_b32 v5, v6, 0
	v_mbcnt_hi_u32_b32 v25, v7, v5
	v_cmp_eq_u32_e64 s[24:25], 0, v25
	v_cmp_ne_u64_e64 s[26:27], 0, v[6:7]
	s_and_b64 s[26:27], s[26:27], s[24:25]
	; wave barrier
	s_and_saveexec_b64 s[24:25], s[26:27]
	s_cbranch_execz .LBB199_31
; %bb.30:
	v_bcnt_u32_b32 v5, v6, 0
	v_bcnt_u32_b32 v5, v7, v5
	s_waitcnt lgkmcnt(0)
	v_add_u32_e32 v5, v20, v5
	ds_write_b32 v22, v5 offset:16
.LBB199_31:
	s_or_b64 exec, exec, s[24:25]
	v_cmp_lt_i16_e64 s[24:25], -1, v24
	v_cndmask_b32_e64 v5, -1, v27, s[24:25]
	v_xor_b32_e32 v24, v5, v24
	v_cmp_ne_u16_e64 s[24:25], s28, v24
	v_cndmask_b32_e64 v5, v27, v24, s[24:25]
	v_lshrrev_b32_sdwa v5, s68, v5 dst_sel:DWORD dst_unused:UNUSED_PAD src0_sel:DWORD src1_sel:WORD_0
	v_and_b32_e32 v6, s74, v5
	v_mul_u32_u24_e32 v5, 5, v6
	v_add_lshl_u32 v28, v23, v5, 2
	v_and_b32_e32 v5, 1, v6
	v_add_co_u32_e64 v7, s[24:25], -1, v5
	v_addc_co_u32_e64 v30, s[24:25], 0, -1, s[24:25]
	v_cmp_ne_u32_e64 s[24:25], 0, v5
	v_xor_b32_e32 v5, s25, v30
	v_and_b32_e32 v30, exec_hi, v5
	v_lshlrev_b32_e32 v5, 30, v6
	v_xor_b32_e32 v7, s24, v7
	v_cmp_gt_i64_e64 s[24:25], 0, v[4:5]
	v_not_b32_e32 v5, v5
	v_ashrrev_i32_e32 v5, 31, v5
	v_and_b32_e32 v7, exec_lo, v7
	v_xor_b32_e32 v32, s25, v5
	v_xor_b32_e32 v5, s24, v5
	v_and_b32_e32 v7, v7, v5
	v_lshlrev_b32_e32 v5, 29, v6
	v_cmp_gt_i64_e64 s[24:25], 0, v[4:5]
	v_not_b32_e32 v5, v5
	v_ashrrev_i32_e32 v5, 31, v5
	v_and_b32_e32 v30, v30, v32
	v_xor_b32_e32 v32, s25, v5
	v_xor_b32_e32 v5, s24, v5
	v_and_b32_e32 v7, v7, v5
	v_lshlrev_b32_e32 v5, 28, v6
	v_cmp_gt_i64_e64 s[24:25], 0, v[4:5]
	v_not_b32_e32 v5, v5
	v_ashrrev_i32_e32 v5, 31, v5
	v_and_b32_e32 v30, v30, v32
	;; [unrolled: 8-line block ×5, first 2 shown]
	v_xor_b32_e32 v32, s25, v5
	v_xor_b32_e32 v5, s24, v5
	v_and_b32_e32 v7, v7, v5
	v_lshlrev_b32_e32 v5, 24, v6
	v_cmp_gt_i64_e64 s[24:25], 0, v[4:5]
	v_not_b32_e32 v4, v5
	v_ashrrev_i32_e32 v4, 31, v4
	v_xor_b32_e32 v5, s25, v4
	v_xor_b32_e32 v4, s24, v4
	; wave barrier
	ds_read_b32 v27, v28 offset:16
	v_and_b32_e32 v30, v30, v32
	v_and_b32_e32 v4, v7, v4
	;; [unrolled: 1-line block ×3, first 2 shown]
	v_mbcnt_lo_u32_b32 v6, v4, 0
	v_mbcnt_hi_u32_b32 v30, v5, v6
	v_cmp_eq_u32_e64 s[24:25], 0, v30
	v_cmp_ne_u64_e64 s[26:27], 0, v[4:5]
	s_and_b64 s[26:27], s[26:27], s[24:25]
	; wave barrier
	s_and_saveexec_b64 s[24:25], s[26:27]
	s_cbranch_execz .LBB199_33
; %bb.32:
	v_bcnt_u32_b32 v4, v4, 0
	v_bcnt_u32_b32 v4, v5, v4
	s_waitcnt lgkmcnt(0)
	v_add_u32_e32 v4, v27, v4
	ds_write_b32 v28, v4 offset:16
.LBB199_33:
	s_or_b64 exec, exec, s[24:25]
	v_mov_b32_e32 v37, 0xffff8000
	v_cmp_lt_i16_e64 s[24:25], -1, v29
	v_cndmask_b32_e64 v4, -1, v37, s[24:25]
	v_xor_b32_e32 v29, v4, v29
	v_cmp_ne_u16_e64 s[24:25], s28, v29
	v_cndmask_b32_e64 v4, v37, v29, s[24:25]
	v_lshrrev_b32_sdwa v4, s68, v4 dst_sel:DWORD dst_unused:UNUSED_PAD src0_sel:DWORD src1_sel:WORD_0
	v_and_b32_e32 v6, s74, v4
	v_and_b32_e32 v5, 1, v6
	v_add_co_u32_e64 v7, s[24:25], -1, v5
	v_addc_co_u32_e64 v35, s[24:25], 0, -1, s[24:25]
	v_cmp_ne_u32_e64 s[24:25], 0, v5
	v_mul_u32_u24_e32 v4, 5, v6
	v_xor_b32_e32 v5, s25, v35
	v_add_lshl_u32 v33, v23, v4, 2
	v_mov_b32_e32 v4, 0
	v_and_b32_e32 v35, exec_hi, v5
	v_lshlrev_b32_e32 v5, 30, v6
	v_xor_b32_e32 v7, s24, v7
	v_cmp_gt_i64_e64 s[24:25], 0, v[4:5]
	v_not_b32_e32 v5, v5
	v_ashrrev_i32_e32 v5, 31, v5
	v_and_b32_e32 v7, exec_lo, v7
	v_xor_b32_e32 v38, s25, v5
	v_xor_b32_e32 v5, s24, v5
	v_and_b32_e32 v7, v7, v5
	v_lshlrev_b32_e32 v5, 29, v6
	v_cmp_gt_i64_e64 s[24:25], 0, v[4:5]
	v_not_b32_e32 v5, v5
	v_ashrrev_i32_e32 v5, 31, v5
	v_and_b32_e32 v35, v35, v38
	v_xor_b32_e32 v38, s25, v5
	v_xor_b32_e32 v5, s24, v5
	v_and_b32_e32 v7, v7, v5
	v_lshlrev_b32_e32 v5, 28, v6
	v_cmp_gt_i64_e64 s[24:25], 0, v[4:5]
	v_not_b32_e32 v5, v5
	v_ashrrev_i32_e32 v5, 31, v5
	v_and_b32_e32 v35, v35, v38
	;; [unrolled: 8-line block ×5, first 2 shown]
	v_xor_b32_e32 v38, s25, v5
	v_xor_b32_e32 v5, s24, v5
	v_and_b32_e32 v35, v35, v38
	v_and_b32_e32 v38, v7, v5
	v_lshlrev_b32_e32 v5, 24, v6
	v_cmp_gt_i64_e64 s[24:25], 0, v[4:5]
	v_not_b32_e32 v5, v5
	v_ashrrev_i32_e32 v5, 31, v5
	v_xor_b32_e32 v6, s25, v5
	v_xor_b32_e32 v5, s24, v5
	; wave barrier
	ds_read_b32 v32, v33 offset:16
	v_and_b32_e32 v7, v35, v6
	v_and_b32_e32 v6, v38, v5
	v_mbcnt_lo_u32_b32 v5, v6, 0
	v_mbcnt_hi_u32_b32 v35, v7, v5
	v_cmp_eq_u32_e64 s[24:25], 0, v35
	v_cmp_ne_u64_e64 s[26:27], 0, v[6:7]
	s_and_b64 s[26:27], s[26:27], s[24:25]
	; wave barrier
	s_and_saveexec_b64 s[24:25], s[26:27]
	s_cbranch_execz .LBB199_35
; %bb.34:
	v_bcnt_u32_b32 v5, v6, 0
	v_bcnt_u32_b32 v5, v7, v5
	s_waitcnt lgkmcnt(0)
	v_add_u32_e32 v5, v32, v5
	ds_write_b32 v33, v5 offset:16
.LBB199_35:
	s_or_b64 exec, exec, s[24:25]
	v_cmp_lt_i16_e64 s[24:25], -1, v36
	v_cndmask_b32_e64 v5, -1, v37, s[24:25]
	v_xor_b32_e32 v46, v5, v36
	v_cmp_ne_u16_e64 s[24:25], s28, v46
	v_cndmask_b32_e64 v5, v37, v46, s[24:25]
	v_lshrrev_b32_sdwa v5, s68, v5 dst_sel:DWORD dst_unused:UNUSED_PAD src0_sel:DWORD src1_sel:WORD_0
	v_and_b32_e32 v6, s74, v5
	v_mul_u32_u24_e32 v5, 5, v6
	v_add_lshl_u32 v37, v23, v5, 2
	v_and_b32_e32 v5, 1, v6
	v_add_co_u32_e64 v7, s[24:25], -1, v5
	v_addc_co_u32_e64 v38, s[24:25], 0, -1, s[24:25]
	v_cmp_ne_u32_e64 s[24:25], 0, v5
	v_xor_b32_e32 v5, s25, v38
	v_and_b32_e32 v38, exec_hi, v5
	v_lshlrev_b32_e32 v5, 30, v6
	v_xor_b32_e32 v7, s24, v7
	v_cmp_gt_i64_e64 s[24:25], 0, v[4:5]
	v_not_b32_e32 v5, v5
	v_ashrrev_i32_e32 v5, 31, v5
	v_and_b32_e32 v7, exec_lo, v7
	v_xor_b32_e32 v40, s25, v5
	v_xor_b32_e32 v5, s24, v5
	v_and_b32_e32 v7, v7, v5
	v_lshlrev_b32_e32 v5, 29, v6
	v_cmp_gt_i64_e64 s[24:25], 0, v[4:5]
	v_not_b32_e32 v5, v5
	v_ashrrev_i32_e32 v5, 31, v5
	v_and_b32_e32 v38, v38, v40
	v_xor_b32_e32 v40, s25, v5
	v_xor_b32_e32 v5, s24, v5
	v_and_b32_e32 v7, v7, v5
	v_lshlrev_b32_e32 v5, 28, v6
	v_cmp_gt_i64_e64 s[24:25], 0, v[4:5]
	v_not_b32_e32 v5, v5
	v_ashrrev_i32_e32 v5, 31, v5
	v_and_b32_e32 v38, v38, v40
	;; [unrolled: 8-line block ×5, first 2 shown]
	v_xor_b32_e32 v40, s25, v5
	v_xor_b32_e32 v5, s24, v5
	v_and_b32_e32 v7, v7, v5
	v_lshlrev_b32_e32 v5, 24, v6
	v_cmp_gt_i64_e64 s[24:25], 0, v[4:5]
	v_not_b32_e32 v4, v5
	v_ashrrev_i32_e32 v4, 31, v4
	v_xor_b32_e32 v5, s25, v4
	v_xor_b32_e32 v4, s24, v4
	; wave barrier
	ds_read_b32 v36, v37 offset:16
	v_and_b32_e32 v38, v38, v40
	v_and_b32_e32 v4, v7, v4
	;; [unrolled: 1-line block ×3, first 2 shown]
	v_mbcnt_lo_u32_b32 v6, v4, 0
	v_mbcnt_hi_u32_b32 v38, v5, v6
	v_cmp_eq_u32_e64 s[24:25], 0, v38
	v_cmp_ne_u64_e64 s[26:27], 0, v[4:5]
	s_and_b64 s[26:27], s[26:27], s[24:25]
	; wave barrier
	s_and_saveexec_b64 s[24:25], s[26:27]
	s_cbranch_execz .LBB199_37
; %bb.36:
	v_bcnt_u32_b32 v4, v4, 0
	v_bcnt_u32_b32 v4, v5, v4
	s_waitcnt lgkmcnt(0)
	v_add_u32_e32 v4, v36, v4
	ds_write_b32 v37, v4 offset:16
.LBB199_37:
	s_or_b64 exec, exec, s[24:25]
	v_mov_b32_e32 v41, 0xffff8000
	v_cmp_lt_i16_e64 s[24:25], -1, v39
	v_cndmask_b32_e64 v4, -1, v41, s[24:25]
	v_xor_b32_e32 v47, v4, v39
	v_cmp_ne_u16_e64 s[24:25], s28, v47
	v_cndmask_b32_e64 v4, v41, v47, s[24:25]
	v_lshrrev_b32_sdwa v4, s68, v4 dst_sel:DWORD dst_unused:UNUSED_PAD src0_sel:DWORD src1_sel:WORD_0
	v_and_b32_e32 v6, s74, v4
	v_and_b32_e32 v5, 1, v6
	v_add_co_u32_e64 v7, s[24:25], -1, v5
	v_addc_co_u32_e64 v42, s[24:25], 0, -1, s[24:25]
	v_cmp_ne_u32_e64 s[24:25], 0, v5
	v_mul_u32_u24_e32 v4, 5, v6
	v_xor_b32_e32 v5, s25, v42
	v_add_lshl_u32 v40, v23, v4, 2
	v_mov_b32_e32 v4, 0
	v_and_b32_e32 v42, exec_hi, v5
	v_lshlrev_b32_e32 v5, 30, v6
	v_xor_b32_e32 v7, s24, v7
	v_cmp_gt_i64_e64 s[24:25], 0, v[4:5]
	v_not_b32_e32 v5, v5
	v_ashrrev_i32_e32 v5, 31, v5
	v_and_b32_e32 v7, exec_lo, v7
	v_xor_b32_e32 v43, s25, v5
	v_xor_b32_e32 v5, s24, v5
	v_and_b32_e32 v7, v7, v5
	v_lshlrev_b32_e32 v5, 29, v6
	v_cmp_gt_i64_e64 s[24:25], 0, v[4:5]
	v_not_b32_e32 v5, v5
	v_ashrrev_i32_e32 v5, 31, v5
	v_and_b32_e32 v42, v42, v43
	v_xor_b32_e32 v43, s25, v5
	v_xor_b32_e32 v5, s24, v5
	v_and_b32_e32 v7, v7, v5
	v_lshlrev_b32_e32 v5, 28, v6
	v_cmp_gt_i64_e64 s[24:25], 0, v[4:5]
	v_not_b32_e32 v5, v5
	v_ashrrev_i32_e32 v5, 31, v5
	v_and_b32_e32 v42, v42, v43
	;; [unrolled: 8-line block ×5, first 2 shown]
	v_xor_b32_e32 v43, s25, v5
	v_xor_b32_e32 v5, s24, v5
	v_and_b32_e32 v42, v42, v43
	v_and_b32_e32 v43, v7, v5
	v_lshlrev_b32_e32 v5, 24, v6
	v_cmp_gt_i64_e64 s[24:25], 0, v[4:5]
	v_not_b32_e32 v5, v5
	v_ashrrev_i32_e32 v5, 31, v5
	v_xor_b32_e32 v6, s25, v5
	v_xor_b32_e32 v5, s24, v5
	; wave barrier
	ds_read_b32 v39, v40 offset:16
	v_and_b32_e32 v7, v42, v6
	v_and_b32_e32 v6, v43, v5
	v_mbcnt_lo_u32_b32 v5, v6, 0
	v_mbcnt_hi_u32_b32 v49, v7, v5
	v_cmp_eq_u32_e64 s[24:25], 0, v49
	v_cmp_ne_u64_e64 s[26:27], 0, v[6:7]
	s_and_b64 s[26:27], s[26:27], s[24:25]
	; wave barrier
	s_and_saveexec_b64 s[24:25], s[26:27]
	s_cbranch_execz .LBB199_39
; %bb.38:
	v_bcnt_u32_b32 v5, v6, 0
	v_bcnt_u32_b32 v5, v7, v5
	s_waitcnt lgkmcnt(0)
	v_add_u32_e32 v5, v39, v5
	ds_write_b32 v40, v5 offset:16
.LBB199_39:
	s_or_b64 exec, exec, s[24:25]
	v_cmp_lt_i16_e64 s[24:25], -1, v34
	v_cndmask_b32_e64 v5, -1, v41, s[24:25]
	v_xor_b32_e32 v48, v5, v34
	v_cmp_ne_u16_e64 s[24:25], s28, v48
	v_cndmask_b32_e64 v5, v41, v48, s[24:25]
	v_lshrrev_b32_sdwa v5, s68, v5 dst_sel:DWORD dst_unused:UNUSED_PAD src0_sel:DWORD src1_sel:WORD_0
	v_and_b32_e32 v6, s74, v5
	v_mul_u32_u24_e32 v5, 5, v6
	v_add_lshl_u32 v41, v23, v5, 2
	v_and_b32_e32 v5, 1, v6
	v_add_co_u32_e64 v7, s[24:25], -1, v5
	v_addc_co_u32_e64 v42, s[24:25], 0, -1, s[24:25]
	v_cmp_ne_u32_e64 s[24:25], 0, v5
	v_xor_b32_e32 v5, s25, v42
	v_and_b32_e32 v42, exec_hi, v5
	v_lshlrev_b32_e32 v5, 30, v6
	v_xor_b32_e32 v7, s24, v7
	v_cmp_gt_i64_e64 s[24:25], 0, v[4:5]
	v_not_b32_e32 v5, v5
	v_ashrrev_i32_e32 v5, 31, v5
	v_and_b32_e32 v7, exec_lo, v7
	v_xor_b32_e32 v43, s25, v5
	v_xor_b32_e32 v5, s24, v5
	v_and_b32_e32 v7, v7, v5
	v_lshlrev_b32_e32 v5, 29, v6
	v_cmp_gt_i64_e64 s[24:25], 0, v[4:5]
	v_not_b32_e32 v5, v5
	v_ashrrev_i32_e32 v5, 31, v5
	v_and_b32_e32 v42, v42, v43
	v_xor_b32_e32 v43, s25, v5
	v_xor_b32_e32 v5, s24, v5
	v_and_b32_e32 v7, v7, v5
	v_lshlrev_b32_e32 v5, 28, v6
	v_cmp_gt_i64_e64 s[24:25], 0, v[4:5]
	v_not_b32_e32 v5, v5
	v_ashrrev_i32_e32 v5, 31, v5
	v_and_b32_e32 v42, v42, v43
	;; [unrolled: 8-line block ×5, first 2 shown]
	v_xor_b32_e32 v43, s25, v5
	v_xor_b32_e32 v5, s24, v5
	v_and_b32_e32 v7, v7, v5
	v_lshlrev_b32_e32 v5, 24, v6
	v_cmp_gt_i64_e64 s[24:25], 0, v[4:5]
	v_not_b32_e32 v4, v5
	v_ashrrev_i32_e32 v4, 31, v4
	v_xor_b32_e32 v5, s25, v4
	v_xor_b32_e32 v4, s24, v4
	; wave barrier
	ds_read_b32 v34, v41 offset:16
	v_and_b32_e32 v42, v42, v43
	v_and_b32_e32 v4, v7, v4
	;; [unrolled: 1-line block ×3, first 2 shown]
	v_mbcnt_lo_u32_b32 v6, v4, 0
	v_mbcnt_hi_u32_b32 v50, v5, v6
	v_cmp_eq_u32_e64 s[24:25], 0, v50
	v_cmp_ne_u64_e64 s[26:27], 0, v[4:5]
	s_and_b64 s[26:27], s[26:27], s[24:25]
	; wave barrier
	s_and_saveexec_b64 s[24:25], s[26:27]
	s_cbranch_execz .LBB199_41
; %bb.40:
	v_bcnt_u32_b32 v4, v4, 0
	v_bcnt_u32_b32 v4, v5, v4
	s_waitcnt lgkmcnt(0)
	v_add_u32_e32 v4, v34, v4
	ds_write_b32 v41, v4 offset:16
.LBB199_41:
	s_or_b64 exec, exec, s[24:25]
	v_mov_b32_e32 v43, 0xffff8000
	v_cmp_lt_i16_e64 s[24:25], -1, v31
	v_cndmask_b32_e64 v4, -1, v43, s[24:25]
	v_xor_b32_e32 v31, v4, v31
	v_cmp_ne_u16_e64 s[24:25], s28, v31
	v_cndmask_b32_e64 v4, v43, v31, s[24:25]
	v_lshrrev_b32_sdwa v4, s68, v4 dst_sel:DWORD dst_unused:UNUSED_PAD src0_sel:DWORD src1_sel:WORD_0
	v_and_b32_e32 v6, s74, v4
	v_and_b32_e32 v5, 1, v6
	v_add_co_u32_e64 v7, s[24:25], -1, v5
	v_addc_co_u32_e64 v44, s[24:25], 0, -1, s[24:25]
	v_cmp_ne_u32_e64 s[24:25], 0, v5
	v_mul_u32_u24_e32 v4, 5, v6
	v_xor_b32_e32 v5, s25, v44
	v_add_lshl_u32 v42, v23, v4, 2
	v_mov_b32_e32 v4, 0
	v_and_b32_e32 v44, exec_hi, v5
	v_lshlrev_b32_e32 v5, 30, v6
	v_xor_b32_e32 v7, s24, v7
	v_cmp_gt_i64_e64 s[24:25], 0, v[4:5]
	v_not_b32_e32 v5, v5
	v_ashrrev_i32_e32 v5, 31, v5
	v_and_b32_e32 v7, exec_lo, v7
	v_xor_b32_e32 v45, s25, v5
	v_xor_b32_e32 v5, s24, v5
	v_and_b32_e32 v7, v7, v5
	v_lshlrev_b32_e32 v5, 29, v6
	v_cmp_gt_i64_e64 s[24:25], 0, v[4:5]
	v_not_b32_e32 v5, v5
	v_ashrrev_i32_e32 v5, 31, v5
	v_and_b32_e32 v44, v44, v45
	v_xor_b32_e32 v45, s25, v5
	v_xor_b32_e32 v5, s24, v5
	v_and_b32_e32 v7, v7, v5
	v_lshlrev_b32_e32 v5, 28, v6
	v_cmp_gt_i64_e64 s[24:25], 0, v[4:5]
	v_not_b32_e32 v5, v5
	v_ashrrev_i32_e32 v5, 31, v5
	v_and_b32_e32 v44, v44, v45
	;; [unrolled: 8-line block ×5, first 2 shown]
	v_xor_b32_e32 v45, s25, v5
	v_xor_b32_e32 v5, s24, v5
	v_and_b32_e32 v44, v44, v45
	v_and_b32_e32 v45, v7, v5
	v_lshlrev_b32_e32 v5, 24, v6
	v_cmp_gt_i64_e64 s[24:25], 0, v[4:5]
	v_not_b32_e32 v5, v5
	v_ashrrev_i32_e32 v5, 31, v5
	v_xor_b32_e32 v6, s25, v5
	v_xor_b32_e32 v5, s24, v5
	; wave barrier
	ds_read_b32 v51, v42 offset:16
	v_and_b32_e32 v7, v44, v6
	v_and_b32_e32 v6, v45, v5
	v_mbcnt_lo_u32_b32 v5, v6, 0
	v_mbcnt_hi_u32_b32 v52, v7, v5
	v_cmp_eq_u32_e64 s[24:25], 0, v52
	v_cmp_ne_u64_e64 s[26:27], 0, v[6:7]
	s_and_b64 s[26:27], s[26:27], s[24:25]
	; wave barrier
	s_and_saveexec_b64 s[24:25], s[26:27]
	s_cbranch_execz .LBB199_43
; %bb.42:
	v_bcnt_u32_b32 v5, v6, 0
	v_bcnt_u32_b32 v5, v7, v5
	s_waitcnt lgkmcnt(0)
	v_add_u32_e32 v5, v51, v5
	ds_write_b32 v42, v5 offset:16
.LBB199_43:
	s_or_b64 exec, exec, s[24:25]
	v_cmp_lt_i16_e64 s[24:25], -1, v26
	v_cndmask_b32_e64 v5, -1, v43, s[24:25]
	v_xor_b32_e32 v26, v5, v26
	v_cmp_ne_u16_e64 s[24:25], s28, v26
	v_cndmask_b32_e64 v5, v43, v26, s[24:25]
	v_lshrrev_b32_sdwa v5, s68, v5 dst_sel:DWORD dst_unused:UNUSED_PAD src0_sel:DWORD src1_sel:WORD_0
	v_and_b32_e32 v6, s74, v5
	v_mul_u32_u24_e32 v5, 5, v6
	v_add_lshl_u32 v43, v23, v5, 2
	v_and_b32_e32 v5, 1, v6
	v_add_co_u32_e64 v7, s[24:25], -1, v5
	v_addc_co_u32_e64 v44, s[24:25], 0, -1, s[24:25]
	v_cmp_ne_u32_e64 s[24:25], 0, v5
	v_xor_b32_e32 v5, s25, v44
	v_and_b32_e32 v44, exec_hi, v5
	v_lshlrev_b32_e32 v5, 30, v6
	v_xor_b32_e32 v7, s24, v7
	v_cmp_gt_i64_e64 s[24:25], 0, v[4:5]
	v_not_b32_e32 v5, v5
	v_ashrrev_i32_e32 v5, 31, v5
	v_and_b32_e32 v7, exec_lo, v7
	v_xor_b32_e32 v45, s25, v5
	v_xor_b32_e32 v5, s24, v5
	v_and_b32_e32 v7, v7, v5
	v_lshlrev_b32_e32 v5, 29, v6
	v_cmp_gt_i64_e64 s[24:25], 0, v[4:5]
	v_not_b32_e32 v5, v5
	v_ashrrev_i32_e32 v5, 31, v5
	v_and_b32_e32 v44, v44, v45
	v_xor_b32_e32 v45, s25, v5
	v_xor_b32_e32 v5, s24, v5
	v_and_b32_e32 v7, v7, v5
	v_lshlrev_b32_e32 v5, 28, v6
	v_cmp_gt_i64_e64 s[24:25], 0, v[4:5]
	v_not_b32_e32 v5, v5
	v_ashrrev_i32_e32 v5, 31, v5
	v_and_b32_e32 v44, v44, v45
	;; [unrolled: 8-line block ×5, first 2 shown]
	v_xor_b32_e32 v45, s25, v5
	v_xor_b32_e32 v5, s24, v5
	v_and_b32_e32 v7, v7, v5
	v_lshlrev_b32_e32 v5, 24, v6
	v_cmp_gt_i64_e64 s[24:25], 0, v[4:5]
	v_not_b32_e32 v4, v5
	v_ashrrev_i32_e32 v4, 31, v4
	v_xor_b32_e32 v5, s25, v4
	v_xor_b32_e32 v4, s24, v4
	; wave barrier
	ds_read_b32 v53, v43 offset:16
	v_and_b32_e32 v44, v44, v45
	v_and_b32_e32 v4, v7, v4
	;; [unrolled: 1-line block ×3, first 2 shown]
	v_mbcnt_lo_u32_b32 v6, v4, 0
	v_mbcnt_hi_u32_b32 v54, v5, v6
	v_cmp_eq_u32_e64 s[24:25], 0, v54
	v_cmp_ne_u64_e64 s[26:27], 0, v[4:5]
	s_and_b64 s[26:27], s[26:27], s[24:25]
	; wave barrier
	s_and_saveexec_b64 s[24:25], s[26:27]
	s_cbranch_execz .LBB199_45
; %bb.44:
	v_bcnt_u32_b32 v4, v4, 0
	v_bcnt_u32_b32 v4, v5, v4
	s_waitcnt lgkmcnt(0)
	v_add_u32_e32 v4, v53, v4
	ds_write_b32 v43, v4 offset:16
.LBB199_45:
	s_or_b64 exec, exec, s[24:25]
	v_mov_b32_e32 v45, 0xffff8000
	v_cmp_lt_i16_e64 s[24:25], -1, v21
	v_cndmask_b32_e64 v4, -1, v45, s[24:25]
	v_xor_b32_e32 v21, v4, v21
	v_cmp_ne_u16_e64 s[24:25], s28, v21
	v_cndmask_b32_e64 v4, v45, v21, s[24:25]
	v_lshrrev_b32_sdwa v4, s68, v4 dst_sel:DWORD dst_unused:UNUSED_PAD src0_sel:DWORD src1_sel:WORD_0
	v_and_b32_e32 v6, s74, v4
	v_and_b32_e32 v5, 1, v6
	v_add_co_u32_e64 v7, s[24:25], -1, v5
	v_addc_co_u32_e64 v56, s[24:25], 0, -1, s[24:25]
	v_cmp_ne_u32_e64 s[24:25], 0, v5
	v_mul_u32_u24_e32 v4, 5, v6
	v_xor_b32_e32 v5, s25, v56
	v_add_lshl_u32 v44, v23, v4, 2
	v_mov_b32_e32 v4, 0
	v_and_b32_e32 v56, exec_hi, v5
	v_lshlrev_b32_e32 v5, 30, v6
	v_xor_b32_e32 v7, s24, v7
	v_cmp_gt_i64_e64 s[24:25], 0, v[4:5]
	v_not_b32_e32 v5, v5
	v_ashrrev_i32_e32 v5, 31, v5
	v_and_b32_e32 v7, exec_lo, v7
	v_xor_b32_e32 v57, s25, v5
	v_xor_b32_e32 v5, s24, v5
	v_and_b32_e32 v7, v7, v5
	v_lshlrev_b32_e32 v5, 29, v6
	v_cmp_gt_i64_e64 s[24:25], 0, v[4:5]
	v_not_b32_e32 v5, v5
	v_ashrrev_i32_e32 v5, 31, v5
	v_and_b32_e32 v56, v56, v57
	v_xor_b32_e32 v57, s25, v5
	v_xor_b32_e32 v5, s24, v5
	v_and_b32_e32 v7, v7, v5
	v_lshlrev_b32_e32 v5, 28, v6
	v_cmp_gt_i64_e64 s[24:25], 0, v[4:5]
	v_not_b32_e32 v5, v5
	v_ashrrev_i32_e32 v5, 31, v5
	v_and_b32_e32 v56, v56, v57
	;; [unrolled: 8-line block ×5, first 2 shown]
	v_xor_b32_e32 v57, s25, v5
	v_xor_b32_e32 v5, s24, v5
	v_and_b32_e32 v56, v56, v57
	v_and_b32_e32 v57, v7, v5
	v_lshlrev_b32_e32 v5, 24, v6
	v_cmp_gt_i64_e64 s[24:25], 0, v[4:5]
	v_not_b32_e32 v5, v5
	v_ashrrev_i32_e32 v5, 31, v5
	v_xor_b32_e32 v6, s25, v5
	v_xor_b32_e32 v5, s24, v5
	; wave barrier
	ds_read_b32 v55, v44 offset:16
	v_and_b32_e32 v7, v56, v6
	v_and_b32_e32 v6, v57, v5
	v_mbcnt_lo_u32_b32 v5, v6, 0
	v_mbcnt_hi_u32_b32 v56, v7, v5
	v_cmp_eq_u32_e64 s[24:25], 0, v56
	v_cmp_ne_u64_e64 s[26:27], 0, v[6:7]
	s_and_b64 s[26:27], s[26:27], s[24:25]
	; wave barrier
	s_and_saveexec_b64 s[24:25], s[26:27]
	s_cbranch_execz .LBB199_47
; %bb.46:
	v_bcnt_u32_b32 v5, v6, 0
	v_bcnt_u32_b32 v5, v7, v5
	s_waitcnt lgkmcnt(0)
	v_add_u32_e32 v5, v55, v5
	ds_write_b32 v44, v5 offset:16
.LBB199_47:
	s_or_b64 exec, exec, s[24:25]
	v_cmp_lt_i16_e64 s[24:25], -1, v16
	v_cndmask_b32_e64 v5, -1, v45, s[24:25]
	v_xor_b32_e32 v16, v5, v16
	v_cmp_ne_u16_e64 s[24:25], s28, v16
	v_cndmask_b32_e64 v5, v45, v16, s[24:25]
	v_lshrrev_b32_sdwa v5, s68, v5 dst_sel:DWORD dst_unused:UNUSED_PAD src0_sel:DWORD src1_sel:WORD_0
	v_and_b32_e32 v6, s74, v5
	v_mul_u32_u24_e32 v5, 5, v6
	v_add_lshl_u32 v45, v5, v23, 2
	v_and_b32_e32 v5, 1, v6
	v_add_co_u32_e64 v7, s[24:25], -1, v5
	v_addc_co_u32_e64 v58, s[24:25], 0, -1, s[24:25]
	v_cmp_ne_u32_e64 s[24:25], 0, v5
	v_xor_b32_e32 v5, s25, v58
	v_and_b32_e32 v58, exec_hi, v5
	v_lshlrev_b32_e32 v5, 30, v6
	v_xor_b32_e32 v7, s24, v7
	v_cmp_gt_i64_e64 s[24:25], 0, v[4:5]
	v_not_b32_e32 v5, v5
	v_ashrrev_i32_e32 v5, 31, v5
	v_and_b32_e32 v7, exec_lo, v7
	v_xor_b32_e32 v59, s25, v5
	v_xor_b32_e32 v5, s24, v5
	v_and_b32_e32 v7, v7, v5
	v_lshlrev_b32_e32 v5, 29, v6
	v_cmp_gt_i64_e64 s[24:25], 0, v[4:5]
	v_not_b32_e32 v5, v5
	v_ashrrev_i32_e32 v5, 31, v5
	v_and_b32_e32 v58, v58, v59
	v_xor_b32_e32 v59, s25, v5
	v_xor_b32_e32 v5, s24, v5
	v_and_b32_e32 v7, v7, v5
	v_lshlrev_b32_e32 v5, 28, v6
	v_cmp_gt_i64_e64 s[24:25], 0, v[4:5]
	v_not_b32_e32 v5, v5
	v_ashrrev_i32_e32 v5, 31, v5
	v_and_b32_e32 v58, v58, v59
	;; [unrolled: 8-line block ×5, first 2 shown]
	v_xor_b32_e32 v59, s25, v5
	v_xor_b32_e32 v5, s24, v5
	v_and_b32_e32 v7, v7, v5
	v_lshlrev_b32_e32 v5, 24, v6
	v_cmp_gt_i64_e64 s[24:25], 0, v[4:5]
	v_not_b32_e32 v4, v5
	v_ashrrev_i32_e32 v4, 31, v4
	v_xor_b32_e32 v5, s25, v4
	v_xor_b32_e32 v4, s24, v4
	; wave barrier
	ds_read_b32 v23, v45 offset:16
	v_and_b32_e32 v58, v58, v59
	v_and_b32_e32 v4, v7, v4
	;; [unrolled: 1-line block ×3, first 2 shown]
	v_mbcnt_lo_u32_b32 v6, v4, 0
	v_mbcnt_hi_u32_b32 v58, v5, v6
	v_cmp_eq_u32_e64 s[24:25], 0, v58
	v_cmp_ne_u64_e64 s[26:27], 0, v[4:5]
	v_add_u32_e32 v57, 16, v9
	s_and_b64 s[26:27], s[26:27], s[24:25]
	; wave barrier
	s_and_saveexec_b64 s[24:25], s[26:27]
	s_cbranch_execz .LBB199_49
; %bb.48:
	v_bcnt_u32_b32 v4, v4, 0
	v_bcnt_u32_b32 v4, v5, v4
	s_waitcnt lgkmcnt(0)
	v_add_u32_e32 v4, v23, v4
	ds_write_b32 v45, v4 offset:16
.LBB199_49:
	s_or_b64 exec, exec, s[24:25]
	; wave barrier
	s_waitcnt lgkmcnt(0)
	s_barrier
	ds_read2_b32 v[6:7], v9 offset0:4 offset1:5
	ds_read2_b32 v[4:5], v57 offset0:2 offset1:3
	ds_read_b32 v59, v57 offset:16
	v_min_u32_e32 v3, 0xc0, v3
	v_or_b32_e32 v3, 63, v3
	s_waitcnt lgkmcnt(1)
	v_add3_u32 v60, v7, v6, v4
	s_waitcnt lgkmcnt(0)
	v_add3_u32 v59, v60, v5, v59
	v_and_b32_e32 v60, 15, v13
	v_cmp_ne_u32_e64 s[24:25], 0, v60
	v_mov_b32_dpp v61, v59 row_shr:1 row_mask:0xf bank_mask:0xf
	v_cndmask_b32_e64 v61, 0, v61, s[24:25]
	v_add_u32_e32 v59, v61, v59
	v_cmp_lt_u32_e64 s[24:25], 1, v60
	s_nop 0
	v_mov_b32_dpp v61, v59 row_shr:2 row_mask:0xf bank_mask:0xf
	v_cndmask_b32_e64 v61, 0, v61, s[24:25]
	v_add_u32_e32 v59, v59, v61
	v_cmp_lt_u32_e64 s[24:25], 3, v60
	s_nop 0
	v_mov_b32_dpp v61, v59 row_shr:4 row_mask:0xf bank_mask:0xf
	v_cndmask_b32_e64 v61, 0, v61, s[24:25]
	v_add_u32_e32 v59, v59, v61
	v_cmp_lt_u32_e64 s[24:25], 7, v60
	s_nop 0
	v_mov_b32_dpp v61, v59 row_shr:8 row_mask:0xf bank_mask:0xf
	v_cndmask_b32_e64 v60, 0, v61, s[24:25]
	v_add_u32_e32 v59, v59, v60
	v_bfe_i32 v61, v13, 4, 1
	v_cmp_lt_u32_e64 s[24:25], 31, v13
	v_mov_b32_dpp v60, v59 row_bcast:15 row_mask:0xf bank_mask:0xf
	v_and_b32_e32 v60, v61, v60
	v_add_u32_e32 v59, v59, v60
	s_nop 1
	v_mov_b32_dpp v60, v59 row_bcast:31 row_mask:0xf bank_mask:0xf
	v_cndmask_b32_e64 v60, 0, v60, s[24:25]
	v_add_u32_e32 v59, v59, v60
	v_lshrrev_b32_e32 v60, 6, v2
	v_cmp_eq_u32_e64 s[24:25], v3, v2
	s_and_saveexec_b64 s[26:27], s[24:25]
	s_cbranch_execz .LBB199_51
; %bb.50:
	v_lshlrev_b32_e32 v3, 2, v60
	ds_write_b32 v3, v59
.LBB199_51:
	s_or_b64 exec, exec, s[26:27]
	v_cmp_gt_u32_e64 s[24:25], 4, v2
	s_waitcnt lgkmcnt(0)
	s_barrier
	s_and_saveexec_b64 s[26:27], s[24:25]
	s_cbranch_execz .LBB199_53
; %bb.52:
	v_lshlrev_b32_e32 v3, 2, v2
	ds_read_b32 v61, v3
	v_and_b32_e32 v62, 3, v13
	v_cmp_ne_u32_e64 s[24:25], 0, v62
	s_waitcnt lgkmcnt(0)
	v_mov_b32_dpp v63, v61 row_shr:1 row_mask:0xf bank_mask:0xf
	v_cndmask_b32_e64 v63, 0, v63, s[24:25]
	v_add_u32_e32 v61, v63, v61
	v_cmp_lt_u32_e64 s[24:25], 1, v62
	s_nop 0
	v_mov_b32_dpp v63, v61 row_shr:2 row_mask:0xf bank_mask:0xf
	v_cndmask_b32_e64 v62, 0, v63, s[24:25]
	v_add_u32_e32 v61, v61, v62
	ds_write_b32 v3, v61
.LBB199_53:
	s_or_b64 exec, exec, s[26:27]
	v_cmp_lt_u32_e64 s[24:25], 63, v2
	v_mov_b32_e32 v3, 0
	s_waitcnt lgkmcnt(0)
	s_barrier
	s_and_saveexec_b64 s[26:27], s[24:25]
	s_cbranch_execz .LBB199_55
; %bb.54:
	v_lshl_add_u32 v3, v60, 2, -4
	ds_read_b32 v3, v3
.LBB199_55:
	s_or_b64 exec, exec, s[26:27]
	v_add_u32_e32 v60, -1, v13
	v_and_b32_e32 v61, 64, v13
	v_cmp_lt_i32_e64 s[24:25], v60, v61
	v_cndmask_b32_e64 v60, v60, v13, s[24:25]
	s_waitcnt lgkmcnt(0)
	v_add_u32_e32 v59, v3, v59
	v_lshlrev_b32_e32 v60, 2, v60
	ds_bpermute_b32 v59, v60, v59
	v_cmp_eq_u32_e64 s[24:25], 0, v13
	s_waitcnt lgkmcnt(0)
	v_cndmask_b32_e64 v3, v59, v3, s[24:25]
	v_cmp_ne_u32_e64 s[24:25], 0, v2
	v_cndmask_b32_e64 v3, 0, v3, s[24:25]
	v_add_u32_e32 v6, v3, v6
	v_add_u32_e32 v7, v6, v7
	v_add_u32_e32 v4, v7, v4
	v_add_u32_e32 v5, v4, v5
	ds_write2_b32 v9, v3, v6 offset0:4 offset1:5
	ds_write2_b32 v57, v7, v4 offset0:2 offset1:3
	ds_write_b32 v57, v5 offset:16
	s_waitcnt lgkmcnt(0)
	s_barrier
	ds_read_b32 v5, v17 offset:16
	ds_read_b32 v6, v22 offset:16
	ds_read_b32 v7, v28 offset:16
	ds_read_b32 v17, v33 offset:16
	ds_read_b32 v22, v37 offset:16
	ds_read_b32 v28, v40 offset:16
	ds_read_b32 v33, v41 offset:16
	ds_read_b32 v37, v42 offset:16
	ds_read_b32 v57, v43 offset:16
	ds_read_b32 v59, v44 offset:16
	ds_read_b32 v60, v45 offset:16
	ds_read_b32 v11, v11 offset:16
	ds_read_b32 v4, v9 offset:16
	v_add_u32_e32 v9, 1, v2
	s_movk_i32 s24, 0x100
	v_cmp_ne_u32_e64 s[24:25], s24, v9
	v_mov_b32_e32 v3, 0xc00
	s_and_saveexec_b64 s[26:27], s[24:25]
	s_cbranch_execz .LBB199_57
; %bb.56:
	v_mul_u32_u24_e32 v3, 5, v9
	v_lshlrev_b32_e32 v3, 2, v3
	ds_read_b32 v3, v3 offset:16
.LBB199_57:
	s_or_b64 exec, exec, s[26:27]
	s_waitcnt lgkmcnt(1)
	v_add_u32_e32 v45, v11, v14
	v_add3_u32 v44, v18, v15, v5
	v_lshlrev_b32_e32 v5, 1, v45
	v_add3_u32 v43, v25, v20, v6
	s_waitcnt lgkmcnt(0)
	s_barrier
	ds_write_b16 v5, v8 offset:2048
	v_lshlrev_b32_e32 v5, 1, v44
	v_add3_u32 v42, v30, v27, v7
	ds_write_b16 v5, v10 offset:2048
	v_lshlrev_b32_e32 v5, 1, v43
	v_add3_u32 v41, v35, v32, v17
	;; [unrolled: 3-line block ×8, first 2 shown]
	ds_write_b16 v5, v31 offset:2048
	v_lshlrev_b32_e32 v5, 1, v36
	v_lshl_add_u32 v6, s6, 8, v2
	v_mov_b32_e32 v7, 0
	v_add3_u32 v34, v58, v23, v60
	ds_write_b16 v5, v26 offset:2048
	v_lshlrev_b32_e32 v5, 1, v35
	v_lshlrev_b64 v[8:9], 2, v[6:7]
	ds_write_b16 v5, v21 offset:2048
	v_lshlrev_b32_e32 v5, 1, v34
	v_sub_u32_e32 v32, v3, v4
	v_mov_b32_e32 v3, s73
	v_add_co_u32_e64 v8, s[24:25], s72, v8
	ds_write_b16 v5, v16 offset:2048
	v_addc_co_u32_e64 v9, s[24:25], v3, v9, s[24:25]
	v_or_b32_e32 v5, 2.0, v32
	s_waitcnt lgkmcnt(0)
	s_barrier
	global_store_dword v[8:9], v5, off
	s_mov_b64 s[26:27], 0
	s_brev_b32 s34, 1
	s_mov_b32 s35, s7
	v_mov_b32_e32 v5, 0
                                        ; implicit-def: $sgpr24_sgpr25
	s_branch .LBB199_59
.LBB199_58:                             ;   in Loop: Header=BB199_59 Depth=1
	s_or_b64 exec, exec, s[28:29]
	v_and_b32_e32 v10, 0x3fffffff, v14
	v_add_u32_e32 v5, v10, v5
	v_cmp_eq_u32_e64 s[24:25], s34, v6
	s_and_b64 s[28:29], exec, s[24:25]
	s_or_b64 s[26:27], s[28:29], s[26:27]
	s_andn2_b64 exec, exec, s[26:27]
	s_cbranch_execz .LBB199_65
.LBB199_59:                             ; =>This Loop Header: Depth=1
                                        ;     Child Loop BB199_62 Depth 2
	s_or_b64 s[24:25], s[24:25], exec
	s_cmp_eq_u32 s35, 0
	s_cbranch_scc1 .LBB199_64
; %bb.60:                               ;   in Loop: Header=BB199_59 Depth=1
	s_add_i32 s35, s35, -1
	v_lshl_add_u32 v6, s35, 8, v2
	v_lshlrev_b64 v[10:11], 2, v[6:7]
	v_add_co_u32_e64 v10, s[24:25], s72, v10
	v_addc_co_u32_e64 v11, s[24:25], v3, v11, s[24:25]
	global_load_dword v14, v[10:11], off glc
	s_waitcnt vmcnt(0)
	v_and_b32_e32 v6, -2.0, v14
	v_cmp_eq_u32_e64 s[24:25], 0, v6
	s_and_saveexec_b64 s[28:29], s[24:25]
	s_cbranch_execz .LBB199_58
; %bb.61:                               ;   in Loop: Header=BB199_59 Depth=1
	s_mov_b64 s[30:31], 0
.LBB199_62:                             ;   Parent Loop BB199_59 Depth=1
                                        ; =>  This Inner Loop Header: Depth=2
	global_load_dword v14, v[10:11], off glc
	s_waitcnt vmcnt(0)
	v_and_b32_e32 v6, -2.0, v14
	v_cmp_ne_u32_e64 s[24:25], 0, v6
	s_or_b64 s[30:31], s[24:25], s[30:31]
	s_andn2_b64 exec, exec, s[30:31]
	s_cbranch_execnz .LBB199_62
; %bb.63:                               ;   in Loop: Header=BB199_59 Depth=1
	s_or_b64 exec, exec, s[30:31]
	s_branch .LBB199_58
.LBB199_64:                             ;   in Loop: Header=BB199_59 Depth=1
                                        ; implicit-def: $sgpr35
	s_and_b64 s[28:29], exec, s[24:25]
	s_or_b64 s[26:27], s[28:29], s[26:27]
	s_andn2_b64 exec, exec, s[26:27]
	s_cbranch_execnz .LBB199_59
.LBB199_65:
	s_or_b64 exec, exec, s[26:27]
	v_add_u32_e32 v3, v5, v32
	v_or_b32_e32 v3, 0x80000000, v3
	global_store_dword v[8:9], v3, off
	v_lshlrev_b32_e32 v33, 3, v2
	global_load_dwordx2 v[6:7], v33, s[64:65]
	v_sub_co_u32_e64 v8, s[24:25], v5, v4
	v_subb_co_u32_e64 v9, s[24:25], 0, 0, s[24:25]
	v_mov_b32_e32 v3, 0
	v_mov_b32_e32 v5, v3
	s_waitcnt vmcnt(0)
	v_add_co_u32_e64 v6, s[24:25], v8, v6
	v_addc_co_u32_e64 v7, s[24:25], v9, v7, s[24:25]
	v_cmp_gt_u32_e64 s[24:25], s70, v2
	ds_write_b64 v33, v[6:7]
	s_waitcnt lgkmcnt(0)
	s_barrier
	s_and_saveexec_b64 s[28:29], s[24:25]
	s_cbranch_execz .LBB199_67
; %bb.66:
	v_mad_i32_i24 v6, v2, -6, v33
	ds_read_u16 v8, v6 offset:2048
	s_movk_i32 s26, 0x7fff
	v_mov_b32_e32 v9, 0xffff8000
	v_mov_b32_e32 v10, s59
	s_waitcnt lgkmcnt(0)
	v_cmp_ne_u16_e64 s[26:27], s26, v8
	v_cndmask_b32_e64 v6, v9, v8, s[26:27]
	v_lshrrev_b32_sdwa v6, s68, v6 dst_sel:DWORD dst_unused:UNUSED_PAD src0_sel:DWORD src1_sel:WORD_0
	v_and_b32_e32 v6, s74, v6
	v_lshlrev_b32_e32 v6, 3, v6
	ds_read_b64 v[6:7], v6
	v_cmp_lt_i16_e64 s[26:27], -1, v8
	v_cndmask_b32_e64 v9, v9, -1, s[26:27]
	v_xor_b32_e32 v8, v9, v8
	v_lshlrev_b32_e32 v9, 1, v2
	s_waitcnt lgkmcnt(0)
	v_lshlrev_b64 v[6:7], 1, v[6:7]
	v_add_co_u32_e64 v6, s[26:27], s58, v6
	v_addc_co_u32_e64 v7, s[26:27], v10, v7, s[26:27]
	v_add_co_u32_e64 v6, s[26:27], v6, v9
	v_addc_co_u32_e64 v7, s[26:27], 0, v7, s[26:27]
	global_store_short v[6:7], v8, off
.LBB199_67:
	s_or_b64 exec, exec, s[28:29]
	v_add_u32_e32 v6, 0x100, v2
	v_cmp_gt_u32_e64 s[26:27], s70, v6
	s_and_saveexec_b64 s[30:31], s[26:27]
	s_cbranch_execz .LBB199_69
; %bb.68:
	v_lshlrev_b32_e32 v8, 1, v2
	ds_read_u16 v9, v8 offset:2560
	s_movk_i32 s28, 0x7fff
	v_mov_b32_e32 v10, 0xffff8000
	v_mov_b32_e32 v11, s59
	s_waitcnt lgkmcnt(0)
	v_cmp_ne_u16_e64 s[28:29], s28, v9
	v_cndmask_b32_e64 v6, v10, v9, s[28:29]
	v_lshrrev_b32_sdwa v6, s68, v6 dst_sel:DWORD dst_unused:UNUSED_PAD src0_sel:DWORD src1_sel:WORD_0
	v_and_b32_e32 v6, s74, v6
	v_lshlrev_b32_e32 v6, 3, v6
	ds_read_b64 v[6:7], v6
	v_cmp_lt_i16_e64 s[28:29], -1, v9
	v_cndmask_b32_e64 v10, v10, -1, s[28:29]
	v_xor_b32_e32 v9, v10, v9
	s_waitcnt lgkmcnt(0)
	v_lshlrev_b64 v[6:7], 1, v[6:7]
	v_add_co_u32_e64 v6, s[28:29], s58, v6
	v_addc_co_u32_e64 v7, s[28:29], v11, v7, s[28:29]
	v_add_co_u32_e64 v6, s[28:29], v6, v8
	v_addc_co_u32_e64 v7, s[28:29], 0, v7, s[28:29]
	global_store_short v[6:7], v9, off offset:512
.LBB199_69:
	s_or_b64 exec, exec, s[30:31]
	v_add_u32_e32 v46, 0x200, v2
	v_cmp_gt_u32_e64 s[28:29], s70, v46
	s_and_saveexec_b64 s[34:35], s[28:29]
	s_cbranch_execz .LBB199_71
; %bb.70:
	v_lshlrev_b32_e32 v8, 1, v2
	ds_read_u16 v9, v8 offset:3072
	s_movk_i32 s30, 0x7fff
	v_mov_b32_e32 v10, 0xffff8000
	v_mov_b32_e32 v11, s59
	s_waitcnt lgkmcnt(0)
	v_cmp_ne_u16_e64 s[30:31], s30, v9
	v_cndmask_b32_e64 v6, v10, v9, s[30:31]
	v_lshrrev_b32_sdwa v6, s68, v6 dst_sel:DWORD dst_unused:UNUSED_PAD src0_sel:DWORD src1_sel:WORD_0
	v_and_b32_e32 v6, s74, v6
	v_lshlrev_b32_e32 v6, 3, v6
	ds_read_b64 v[6:7], v6
	v_cmp_lt_i16_e64 s[30:31], -1, v9
	v_cndmask_b32_e64 v10, v10, -1, s[30:31]
	v_xor_b32_e32 v9, v10, v9
	s_waitcnt lgkmcnt(0)
	v_lshlrev_b64 v[6:7], 1, v[6:7]
	v_add_co_u32_e64 v6, s[30:31], s58, v6
	v_addc_co_u32_e64 v7, s[30:31], v11, v7, s[30:31]
	v_add_co_u32_e64 v6, s[30:31], v6, v8
	v_addc_co_u32_e64 v7, s[30:31], 0, v7, s[30:31]
	global_store_short v[6:7], v9, off offset:1024
.LBB199_71:
	;; [unrolled: 29-line block ×3, first 2 shown]
	s_or_b64 exec, exec, s[36:37]
	v_or_b32_e32 v48, 0x400, v2
	v_cmp_gt_u32_e64 s[34:35], s70, v48
	s_and_saveexec_b64 s[38:39], s[34:35]
	s_cbranch_execz .LBB199_75
; %bb.74:
	v_lshlrev_b32_e32 v8, 1, v2
	ds_read_u16 v9, v8 offset:4096
	s_movk_i32 s36, 0x7fff
	v_mov_b32_e32 v10, 0xffff8000
	v_mov_b32_e32 v11, s59
	s_waitcnt lgkmcnt(0)
	v_cmp_ne_u16_e64 s[36:37], s36, v9
	v_cndmask_b32_e64 v6, v10, v9, s[36:37]
	v_lshrrev_b32_sdwa v6, s68, v6 dst_sel:DWORD dst_unused:UNUSED_PAD src0_sel:DWORD src1_sel:WORD_0
	v_and_b32_e32 v6, s74, v6
	v_lshlrev_b32_e32 v6, 3, v6
	ds_read_b64 v[6:7], v6
	v_cmp_lt_i16_e64 s[36:37], -1, v9
	v_cndmask_b32_e64 v10, v10, -1, s[36:37]
	v_xor_b32_e32 v9, v10, v9
	s_waitcnt lgkmcnt(0)
	v_lshlrev_b64 v[6:7], 1, v[6:7]
	v_add_co_u32_e64 v6, s[36:37], s58, v6
	v_addc_co_u32_e64 v7, s[36:37], v11, v7, s[36:37]
	v_add_co_u32_e64 v6, s[36:37], v6, v8
	v_addc_co_u32_e64 v7, s[36:37], 0, v7, s[36:37]
	global_store_short v[6:7], v9, off offset:2048
.LBB199_75:
	s_or_b64 exec, exec, s[38:39]
	v_add_u32_e32 v49, 0x500, v2
	v_cmp_gt_u32_e64 s[36:37], s70, v49
	s_and_saveexec_b64 s[40:41], s[36:37]
	s_cbranch_execz .LBB199_77
; %bb.76:
	v_lshlrev_b32_e32 v8, 1, v2
	ds_read_u16 v9, v8 offset:4608
	s_movk_i32 s38, 0x7fff
	v_mov_b32_e32 v10, 0xffff8000
	v_mov_b32_e32 v11, s59
	s_waitcnt lgkmcnt(0)
	v_cmp_ne_u16_e64 s[38:39], s38, v9
	v_cndmask_b32_e64 v6, v10, v9, s[38:39]
	v_lshrrev_b32_sdwa v6, s68, v6 dst_sel:DWORD dst_unused:UNUSED_PAD src0_sel:DWORD src1_sel:WORD_0
	v_and_b32_e32 v6, s74, v6
	v_lshlrev_b32_e32 v6, 3, v6
	ds_read_b64 v[6:7], v6
	v_cmp_lt_i16_e64 s[38:39], -1, v9
	v_cndmask_b32_e64 v10, v10, -1, s[38:39]
	v_xor_b32_e32 v9, v10, v9
	s_waitcnt lgkmcnt(0)
	v_lshlrev_b64 v[6:7], 1, v[6:7]
	v_add_co_u32_e64 v6, s[38:39], s58, v6
	v_addc_co_u32_e64 v7, s[38:39], v11, v7, s[38:39]
	v_add_co_u32_e64 v6, s[38:39], v6, v8
	v_addc_co_u32_e64 v7, s[38:39], 0, v7, s[38:39]
	global_store_short v[6:7], v9, off offset:2560
.LBB199_77:
	s_or_b64 exec, exec, s[40:41]
	v_add_u32_e32 v50, 0x600, v2
	;; [unrolled: 29-line block ×3, first 2 shown]
	v_cmp_gt_u32_e64 s[40:41], s70, v51
	s_and_saveexec_b64 s[44:45], s[40:41]
	s_cbranch_execz .LBB199_81
; %bb.80:
	v_lshlrev_b32_e32 v8, 1, v2
	ds_read_u16 v9, v8 offset:5632
	s_movk_i32 s42, 0x7fff
	v_mov_b32_e32 v10, 0xffff8000
	v_mov_b32_e32 v11, s59
	s_waitcnt lgkmcnt(0)
	v_cmp_ne_u16_e64 s[42:43], s42, v9
	v_cndmask_b32_e64 v6, v10, v9, s[42:43]
	v_lshrrev_b32_sdwa v6, s68, v6 dst_sel:DWORD dst_unused:UNUSED_PAD src0_sel:DWORD src1_sel:WORD_0
	v_and_b32_e32 v6, s74, v6
	v_lshlrev_b32_e32 v6, 3, v6
	ds_read_b64 v[6:7], v6
	v_cmp_lt_i16_e64 s[42:43], -1, v9
	v_cndmask_b32_e64 v10, v10, -1, s[42:43]
	v_xor_b32_e32 v9, v10, v9
	s_waitcnt lgkmcnt(0)
	v_lshlrev_b64 v[6:7], 1, v[6:7]
	v_add_co_u32_e64 v6, s[42:43], s58, v6
	v_addc_co_u32_e64 v7, s[42:43], v11, v7, s[42:43]
	v_add_co_u32_e64 v6, s[42:43], v6, v8
	v_addc_co_u32_e64 v7, s[42:43], 0, v7, s[42:43]
	global_store_short v[6:7], v9, off offset:3584
.LBB199_81:
	s_or_b64 exec, exec, s[44:45]
	v_or_b32_e32 v52, 0x800, v2
	v_cmp_gt_u32_e64 s[42:43], s70, v52
	s_and_saveexec_b64 s[46:47], s[42:43]
	s_cbranch_execz .LBB199_83
; %bb.82:
	v_lshlrev_b32_e32 v6, 1, v2
	ds_read_u16 v8, v6 offset:6144
	s_movk_i32 s44, 0x7fff
	v_mov_b32_e32 v9, 0xffff8000
	v_mov_b32_e32 v10, s59
	s_waitcnt lgkmcnt(0)
	v_cmp_ne_u16_e64 s[44:45], s44, v8
	v_cndmask_b32_e64 v6, v9, v8, s[44:45]
	v_lshrrev_b32_sdwa v6, s68, v6 dst_sel:DWORD dst_unused:UNUSED_PAD src0_sel:DWORD src1_sel:WORD_0
	v_and_b32_e32 v6, s74, v6
	v_lshlrev_b32_e32 v6, 3, v6
	ds_read_b64 v[6:7], v6
	v_cmp_lt_i16_e64 s[44:45], -1, v8
	v_cndmask_b32_e64 v9, v9, -1, s[44:45]
	v_xor_b32_e32 v8, v9, v8
	v_lshlrev_b32_e32 v9, 1, v52
	s_waitcnt lgkmcnt(0)
	v_lshlrev_b64 v[6:7], 1, v[6:7]
	v_add_co_u32_e64 v6, s[44:45], s58, v6
	v_addc_co_u32_e64 v7, s[44:45], v10, v7, s[44:45]
	v_add_co_u32_e64 v6, s[44:45], v6, v9
	v_addc_co_u32_e64 v7, s[44:45], 0, v7, s[44:45]
	global_store_short v[6:7], v8, off
.LBB199_83:
	s_or_b64 exec, exec, s[46:47]
	v_add_u32_e32 v53, 0x900, v2
	v_cmp_gt_u32_e64 s[44:45], s70, v53
	s_and_saveexec_b64 s[48:49], s[44:45]
	s_cbranch_execz .LBB199_85
; %bb.84:
	v_lshlrev_b32_e32 v6, 1, v2
	ds_read_u16 v8, v6 offset:6656
	s_movk_i32 s46, 0x7fff
	v_mov_b32_e32 v9, 0xffff8000
	v_mov_b32_e32 v10, s59
	s_waitcnt lgkmcnt(0)
	v_cmp_ne_u16_e64 s[46:47], s46, v8
	v_cndmask_b32_e64 v6, v9, v8, s[46:47]
	v_lshrrev_b32_sdwa v6, s68, v6 dst_sel:DWORD dst_unused:UNUSED_PAD src0_sel:DWORD src1_sel:WORD_0
	v_and_b32_e32 v6, s74, v6
	v_lshlrev_b32_e32 v6, 3, v6
	ds_read_b64 v[6:7], v6
	v_cmp_lt_i16_e64 s[46:47], -1, v8
	v_cndmask_b32_e64 v9, v9, -1, s[46:47]
	v_xor_b32_e32 v8, v9, v8
	v_lshlrev_b32_e32 v9, 1, v53
	s_waitcnt lgkmcnt(0)
	v_lshlrev_b64 v[6:7], 1, v[6:7]
	v_add_co_u32_e64 v6, s[46:47], s58, v6
	v_addc_co_u32_e64 v7, s[46:47], v10, v7, s[46:47]
	v_add_co_u32_e64 v6, s[46:47], v6, v9
	v_addc_co_u32_e64 v7, s[46:47], 0, v7, s[46:47]
	global_store_short v[6:7], v8, off
.LBB199_85:
	s_or_b64 exec, exec, s[48:49]
	v_add_u32_e32 v54, 0xa00, v2
	;; [unrolled: 30-line block ×3, first 2 shown]
	v_cmp_gt_u32_e64 s[48:49], s70, v55
	s_and_saveexec_b64 s[70:71], s[48:49]
	s_cbranch_execz .LBB199_89
; %bb.88:
	v_lshlrev_b32_e32 v6, 1, v2
	ds_read_u16 v8, v6 offset:7680
	s_movk_i32 s52, 0x7fff
	v_mov_b32_e32 v9, 0xffff8000
	v_mov_b32_e32 v10, s59
	s_waitcnt lgkmcnt(0)
	v_cmp_ne_u16_e64 s[52:53], s52, v8
	v_cndmask_b32_e64 v6, v9, v8, s[52:53]
	v_lshrrev_b32_sdwa v6, s68, v6 dst_sel:DWORD dst_unused:UNUSED_PAD src0_sel:DWORD src1_sel:WORD_0
	v_and_b32_e32 v6, s74, v6
	v_lshlrev_b32_e32 v6, 3, v6
	ds_read_b64 v[6:7], v6
	v_cmp_lt_i16_e64 s[52:53], -1, v8
	v_cndmask_b32_e64 v9, v9, -1, s[52:53]
	v_xor_b32_e32 v8, v9, v8
	v_lshlrev_b32_e32 v9, 1, v55
	s_waitcnt lgkmcnt(0)
	v_lshlrev_b64 v[6:7], 1, v[6:7]
	v_add_co_u32_e64 v6, s[52:53], s58, v6
	v_addc_co_u32_e64 v7, s[52:53], v10, v7, s[52:53]
	v_add_co_u32_e64 v6, s[52:53], v6, v9
	v_addc_co_u32_e64 v7, s[52:53], 0, v7, s[52:53]
	global_store_short v[6:7], v8, off
.LBB199_89:
	s_or_b64 exec, exec, s[70:71]
	s_lshl_b64 s[52:53], s[54:55], 3
	s_add_u32 s52, s60, s52
	s_addc_u32 s53, s61, s53
	v_lshlrev_b32_e32 v6, 3, v13
	v_mov_b32_e32 v7, s53
	v_add_co_u32_e64 v6, s[52:53], s52, v6
	v_addc_co_u32_e64 v7, s[52:53], 0, v7, s[52:53]
	v_lshlrev_b32_e32 v8, 3, v12
	v_add_co_u32_e64 v30, s[52:53], v6, v8
	v_addc_co_u32_e64 v31, s[52:53], 0, v7, s[52:53]
                                        ; implicit-def: $vgpr6_vgpr7
	s_and_saveexec_b64 s[52:53], vcc
	s_xor_b64 s[52:53], exec, s[52:53]
	s_cbranch_execnz .LBB199_174
; %bb.90:
	s_or_b64 exec, exec, s[52:53]
                                        ; implicit-def: $vgpr8_vgpr9
	s_and_saveexec_b64 s[52:53], s[0:1]
	s_cbranch_execnz .LBB199_175
.LBB199_91:
	s_or_b64 exec, exec, s[52:53]
                                        ; implicit-def: $vgpr10_vgpr11
	s_and_saveexec_b64 s[0:1], s[2:3]
	s_cbranch_execnz .LBB199_176
.LBB199_92:
	s_or_b64 exec, exec, s[0:1]
                                        ; implicit-def: $vgpr12_vgpr13
	s_and_saveexec_b64 s[0:1], s[50:51]
	s_cbranch_execnz .LBB199_177
.LBB199_93:
	s_or_b64 exec, exec, s[0:1]
                                        ; implicit-def: $vgpr14_vgpr15
	s_and_saveexec_b64 s[0:1], s[8:9]
	s_cbranch_execnz .LBB199_178
.LBB199_94:
	s_or_b64 exec, exec, s[0:1]
                                        ; implicit-def: $vgpr16_vgpr17
	s_and_saveexec_b64 s[0:1], s[12:13]
	s_cbranch_execnz .LBB199_179
.LBB199_95:
	s_or_b64 exec, exec, s[0:1]
                                        ; implicit-def: $vgpr18_vgpr19
	s_and_saveexec_b64 s[0:1], s[16:17]
	s_cbranch_execnz .LBB199_180
.LBB199_96:
	s_or_b64 exec, exec, s[0:1]
                                        ; implicit-def: $vgpr20_vgpr21
	s_and_saveexec_b64 s[0:1], s[20:21]
	s_cbranch_execnz .LBB199_181
.LBB199_97:
	s_or_b64 exec, exec, s[0:1]
                                        ; implicit-def: $vgpr22_vgpr23
	s_and_saveexec_b64 s[0:1], s[22:23]
	s_cbranch_execnz .LBB199_182
.LBB199_98:
	s_or_b64 exec, exec, s[0:1]
                                        ; implicit-def: $vgpr24_vgpr25
	s_and_saveexec_b64 s[0:1], s[18:19]
	s_cbranch_execnz .LBB199_183
.LBB199_99:
	s_or_b64 exec, exec, s[0:1]
                                        ; implicit-def: $vgpr26_vgpr27
	s_and_saveexec_b64 s[0:1], s[14:15]
	s_cbranch_execnz .LBB199_184
.LBB199_100:
	s_or_b64 exec, exec, s[0:1]
                                        ; implicit-def: $vgpr28_vgpr29
	s_and_saveexec_b64 s[0:1], s[10:11]
	s_cbranch_execnz .LBB199_185
.LBB199_101:
	s_or_b64 exec, exec, s[0:1]
                                        ; implicit-def: $vgpr65
	s_and_saveexec_b64 s[0:1], s[24:25]
	s_cbranch_execnz .LBB199_186
.LBB199_102:
	s_or_b64 exec, exec, s[0:1]
                                        ; implicit-def: $vgpr64
	s_and_saveexec_b64 s[0:1], s[26:27]
	s_cbranch_execnz .LBB199_187
.LBB199_103:
	s_or_b64 exec, exec, s[0:1]
                                        ; implicit-def: $vgpr63
	s_and_saveexec_b64 s[0:1], s[28:29]
	s_cbranch_execnz .LBB199_188
.LBB199_104:
	s_or_b64 exec, exec, s[0:1]
                                        ; implicit-def: $vgpr62
	s_and_saveexec_b64 s[0:1], s[30:31]
	s_cbranch_execnz .LBB199_189
.LBB199_105:
	s_or_b64 exec, exec, s[0:1]
                                        ; implicit-def: $vgpr61
	s_and_saveexec_b64 s[0:1], s[34:35]
	s_cbranch_execnz .LBB199_190
.LBB199_106:
	s_or_b64 exec, exec, s[0:1]
                                        ; implicit-def: $vgpr60
	s_and_saveexec_b64 s[0:1], s[36:37]
	s_cbranch_execnz .LBB199_191
.LBB199_107:
	s_or_b64 exec, exec, s[0:1]
                                        ; implicit-def: $vgpr59
	s_and_saveexec_b64 s[0:1], s[38:39]
	s_cbranch_execnz .LBB199_192
.LBB199_108:
	s_or_b64 exec, exec, s[0:1]
                                        ; implicit-def: $vgpr58
	s_and_saveexec_b64 s[0:1], s[40:41]
	s_cbranch_execnz .LBB199_193
.LBB199_109:
	s_or_b64 exec, exec, s[0:1]
                                        ; implicit-def: $vgpr57
	s_and_saveexec_b64 s[0:1], s[42:43]
	s_cbranch_execz .LBB199_111
.LBB199_110:
	v_lshlrev_b32_e32 v30, 1, v2
	ds_read_u16 v30, v30 offset:6144
	s_movk_i32 s2, 0x7fff
	v_mov_b32_e32 v31, 0xffff8000
	s_waitcnt lgkmcnt(0)
	v_cmp_ne_u16_e32 vcc, s2, v30
	v_cndmask_b32_e32 v30, v31, v30, vcc
	v_lshrrev_b32_sdwa v30, s68, v30 dst_sel:DWORD dst_unused:UNUSED_PAD src0_sel:DWORD src1_sel:WORD_0
	v_and_b32_e32 v57, s74, v30
.LBB199_111:
	s_or_b64 exec, exec, s[0:1]
	v_mov_b32_e32 v30, 0
	v_mov_b32_e32 v56, 0
	s_and_saveexec_b64 s[0:1], s[44:45]
	s_cbranch_execnz .LBB199_194
; %bb.112:
	s_or_b64 exec, exec, s[0:1]
	s_and_saveexec_b64 s[0:1], s[46:47]
	s_cbranch_execnz .LBB199_195
.LBB199_113:
	s_or_b64 exec, exec, s[0:1]
	v_mov_b32_e32 v31, 0
	s_and_saveexec_b64 s[0:1], s[48:49]
	s_cbranch_execz .LBB199_115
.LBB199_114:
	v_lshlrev_b32_e32 v31, 1, v2
	ds_read_u16 v31, v31 offset:7680
	s_movk_i32 s2, 0x7fff
	v_mov_b32_e32 v66, 0xffff8000
	s_waitcnt lgkmcnt(0)
	v_cmp_ne_u16_e32 vcc, s2, v31
	v_cndmask_b32_e32 v31, v66, v31, vcc
	v_lshrrev_b32_sdwa v31, s68, v31 dst_sel:DWORD dst_unused:UNUSED_PAD src0_sel:DWORD src1_sel:WORD_0
	v_and_b32_e32 v31, s74, v31
.LBB199_115:
	s_or_b64 exec, exec, s[0:1]
	v_lshlrev_b32_e32 v45, 3, v45
	s_barrier
	s_waitcnt vmcnt(0)
	ds_write_b64 v45, v[6:7] offset:2048
	v_lshlrev_b32_e32 v6, 3, v44
	ds_write_b64 v6, v[8:9] offset:2048
	v_lshlrev_b32_e32 v6, 3, v43
	;; [unrolled: 2-line block ×11, first 2 shown]
	ds_write_b64 v6, v[28:29] offset:2048
	s_waitcnt lgkmcnt(0)
	s_barrier
	s_and_saveexec_b64 s[0:1], s[24:25]
	s_cbranch_execnz .LBB199_196
; %bb.116:
	s_or_b64 exec, exec, s[0:1]
	s_and_saveexec_b64 s[0:1], s[26:27]
	s_cbranch_execnz .LBB199_197
.LBB199_117:
	s_or_b64 exec, exec, s[0:1]
	s_and_saveexec_b64 s[0:1], s[28:29]
	s_cbranch_execnz .LBB199_198
.LBB199_118:
	s_or_b64 exec, exec, s[0:1]
	s_and_saveexec_b64 s[0:1], s[30:31]
	s_cbranch_execnz .LBB199_199
.LBB199_119:
	s_or_b64 exec, exec, s[0:1]
	s_and_saveexec_b64 s[0:1], s[34:35]
	s_cbranch_execnz .LBB199_200
.LBB199_120:
	s_or_b64 exec, exec, s[0:1]
	s_and_saveexec_b64 s[0:1], s[36:37]
	s_cbranch_execnz .LBB199_201
.LBB199_121:
	s_or_b64 exec, exec, s[0:1]
	s_and_saveexec_b64 s[0:1], s[38:39]
	s_cbranch_execnz .LBB199_202
.LBB199_122:
	s_or_b64 exec, exec, s[0:1]
	s_and_saveexec_b64 s[0:1], s[40:41]
	s_cbranch_execnz .LBB199_203
.LBB199_123:
	s_or_b64 exec, exec, s[0:1]
	s_and_saveexec_b64 s[0:1], s[42:43]
	s_cbranch_execnz .LBB199_204
.LBB199_124:
	s_or_b64 exec, exec, s[0:1]
	s_and_saveexec_b64 s[0:1], s[44:45]
	s_cbranch_execnz .LBB199_205
.LBB199_125:
	s_or_b64 exec, exec, s[0:1]
	s_and_saveexec_b64 s[0:1], s[46:47]
	s_cbranch_execnz .LBB199_206
.LBB199_126:
	s_or_b64 exec, exec, s[0:1]
	s_and_saveexec_b64 s[0:1], s[48:49]
	s_cbranch_execz .LBB199_128
.LBB199_127:
	v_lshlrev_b32_e32 v6, 3, v31
	ds_read_b64 v[6:7], v6
	v_lshlrev_b32_e32 v8, 3, v2
	ds_read_b64 v[8:9], v8 offset:24576
	v_mov_b32_e32 v10, s63
	s_waitcnt lgkmcnt(1)
	v_lshlrev_b64 v[6:7], 3, v[6:7]
	v_add_co_u32_e32 v6, vcc, s62, v6
	v_addc_co_u32_e32 v7, vcc, v10, v7, vcc
	v_lshlrev_b32_e32 v10, 3, v55
	v_add_co_u32_e32 v6, vcc, v6, v10
	v_addc_co_u32_e32 v7, vcc, 0, v7, vcc
	s_waitcnt lgkmcnt(0)
	global_store_dwordx2 v[6:7], v[8:9], off
.LBB199_128:
	s_or_b64 exec, exec, s[0:1]
	s_add_i32 s33, s33, -1
	s_cmp_eq_u32 s6, s33
	s_cselect_b64 s[0:1], -1, 0
	s_branch .LBB199_171
.LBB199_129:
	s_mov_b64 s[0:1], 0
                                        ; implicit-def: $vgpr33
                                        ; implicit-def: $vgpr2_vgpr3
                                        ; implicit-def: $vgpr4_vgpr5
                                        ; implicit-def: $vgpr32
	s_cbranch_execz .LBB199_171
; %bb.130:
	s_mov_b32 s55, 0
	s_lshl_b64 s[0:1], s[54:55], 1
	v_mbcnt_hi_u32_b32 v10, -1, v1
	s_add_u32 s0, s56, s0
	v_lshlrev_b32_e32 v1, 1, v10
	v_and_b32_e32 v2, 0x3ff, v0
	v_add_co_u32_e32 v1, vcc, s0, v1
	s_load_dword s8, s[4:5], 0x50
	s_load_dword s0, s[4:5], 0x5c
	s_addc_u32 s1, s57, s1
	v_and_b32_e32 v8, 0xc0, v2
	v_mul_u32_u24_e32 v3, 12, v8
	v_mov_b32_e32 v5, s1
	v_addc_co_u32_e32 v5, vcc, 0, v5, vcc
	v_lshlrev_b32_e32 v6, 1, v3
	v_add_co_u32_e32 v14, vcc, v1, v6
	s_add_u32 s1, s4, 0x50
	v_addc_co_u32_e32 v15, vcc, 0, v5, vcc
	s_addc_u32 s2, s5, 0
	s_waitcnt lgkmcnt(0)
	s_lshr_b32 s3, s0, 16
	global_load_ushort v1, v[14:15], off
	s_cmp_lt_u32 s6, s8
	s_cselect_b32 s0, 12, 18
	s_add_u32 s0, s1, s0
	v_mov_b32_e32 v4, 0
	s_addc_u32 s1, s2, 0
	global_load_ushort v5, v4, s[0:1]
	v_mul_u32_u24_e32 v7, 5, v2
	v_lshlrev_b32_e32 v7, 2, v7
	ds_write2_b32 v7, v4, v4 offset0:4 offset1:5
	ds_write2_b32 v7, v4, v4 offset0:6 offset1:7
	ds_write_b32 v7, v4 offset:32
	global_load_ushort v12, v[14:15], off offset:128
	global_load_ushort v16, v[14:15], off offset:256
	;; [unrolled: 1-line block ×11, first 2 shown]
	v_mov_b32_e32 v13, 0xffff8000
	v_bfe_u32 v6, v0, 10, 10
	v_bfe_u32 v0, v0, 20, 10
	v_mad_u32_u24 v0, v0, s3, v6
	s_movk_i32 s2, 0x7fff
	s_lshl_b32 s0, -1, s69
	s_not_b32 s9, s0
	s_waitcnt lgkmcnt(0)
	s_barrier
	s_waitcnt lgkmcnt(0)
	; wave barrier
	s_waitcnt vmcnt(12)
	v_cmp_lt_i16_e32 vcc, -1, v1
	v_cndmask_b32_e32 v6, -1, v13, vcc
	v_xor_b32_e32 v6, v6, v1
	v_cmp_ne_u16_e32 vcc, s2, v6
	v_cndmask_b32_e32 v9, v13, v6, vcc
	s_waitcnt vmcnt(11)
	v_mad_u64_u32 v[0:1], s[0:1], v0, v5, v[2:3]
	v_lshrrev_b32_sdwa v1, s68, v9 dst_sel:DWORD dst_unused:UNUSED_PAD src0_sel:DWORD src1_sel:WORD_0
	v_lshrrev_b32_e32 v18, 6, v0
	v_and_b32_e32 v0, s9, v1
	v_mul_u32_u24_e32 v1, 5, v0
	v_and_b32_e32 v11, 1, v0
	v_add_lshl_u32 v9, v18, v1, 2
	v_add_co_u32_e32 v1, vcc, -1, v11
	v_lshlrev_b32_e32 v5, 30, v0
	v_addc_co_u32_e64 v14, s[0:1], 0, -1, vcc
	v_cmp_ne_u32_e32 vcc, 0, v11
	v_cmp_gt_i64_e64 s[0:1], 0, v[4:5]
	v_not_b32_e32 v11, v5
	v_lshlrev_b32_e32 v5, 29, v0
	v_xor_b32_e32 v14, vcc_hi, v14
	v_xor_b32_e32 v1, vcc_lo, v1
	v_ashrrev_i32_e32 v11, 31, v11
	v_cmp_gt_i64_e32 vcc, 0, v[4:5]
	v_not_b32_e32 v15, v5
	v_lshlrev_b32_e32 v5, 28, v0
	v_and_b32_e32 v14, exec_hi, v14
	v_and_b32_e32 v1, exec_lo, v1
	v_xor_b32_e32 v19, s1, v11
	v_xor_b32_e32 v11, s0, v11
	v_ashrrev_i32_e32 v15, 31, v15
	v_cmp_gt_i64_e64 s[0:1], 0, v[4:5]
	v_not_b32_e32 v5, v5
	v_and_b32_e32 v14, v14, v19
	v_and_b32_e32 v1, v1, v11
	v_xor_b32_e32 v11, vcc_hi, v15
	v_xor_b32_e32 v15, vcc_lo, v15
	v_ashrrev_i32_e32 v5, 31, v5
	v_and_b32_e32 v11, v14, v11
	v_and_b32_e32 v1, v1, v15
	v_xor_b32_e32 v14, s1, v5
	v_xor_b32_e32 v5, s0, v5
	v_and_b32_e32 v1, v1, v5
	v_lshlrev_b32_e32 v5, 27, v0
	v_cmp_gt_i64_e32 vcc, 0, v[4:5]
	v_not_b32_e32 v5, v5
	v_ashrrev_i32_e32 v5, 31, v5
	v_and_b32_e32 v11, v11, v14
	v_xor_b32_e32 v14, vcc_hi, v5
	v_xor_b32_e32 v5, vcc_lo, v5
	v_and_b32_e32 v1, v1, v5
	v_lshlrev_b32_e32 v5, 26, v0
	v_cmp_gt_i64_e32 vcc, 0, v[4:5]
	v_not_b32_e32 v5, v5
	v_ashrrev_i32_e32 v5, 31, v5
	v_and_b32_e32 v11, v11, v14
	v_xor_b32_e32 v14, vcc_hi, v5
	v_xor_b32_e32 v5, vcc_lo, v5
	;; [unrolled: 8-line block ×3, first 2 shown]
	v_and_b32_e32 v11, v11, v14
	v_and_b32_e32 v14, v1, v5
	v_lshlrev_b32_e32 v5, 24, v0
	v_not_b32_e32 v0, v5
	v_cmp_gt_i64_e32 vcc, 0, v[4:5]
	v_ashrrev_i32_e32 v0, 31, v0
	v_xor_b32_e32 v1, vcc_hi, v0
	v_xor_b32_e32 v0, vcc_lo, v0
	v_and_b32_e32 v0, v14, v0
	v_and_b32_e32 v1, v11, v1
	v_mbcnt_lo_u32_b32 v5, v0, 0
	v_mbcnt_hi_u32_b32 v11, v1, v5
	v_cmp_eq_u32_e32 vcc, 0, v11
	v_cmp_ne_u64_e64 s[0:1], 0, v[0:1]
	s_and_b64 s[4:5], s[0:1], vcc
	s_and_saveexec_b64 s[0:1], s[4:5]
	s_cbranch_execz .LBB199_132
; %bb.131:
	v_bcnt_u32_b32 v0, v0, 0
	v_bcnt_u32_b32 v0, v1, v0
	ds_write_b32 v9, v0 offset:16
.LBB199_132:
	s_or_b64 exec, exec, s[0:1]
	s_waitcnt vmcnt(10)
	v_cmp_lt_i16_e32 vcc, -1, v12
	v_cndmask_b32_e32 v0, -1, v13, vcc
	v_xor_b32_e32 v12, v0, v12
	v_cmp_ne_u16_e32 vcc, s2, v12
	v_cndmask_b32_e32 v0, v13, v12, vcc
	v_lshrrev_b32_sdwa v0, s68, v0 dst_sel:DWORD dst_unused:UNUSED_PAD src0_sel:DWORD src1_sel:WORD_0
	v_and_b32_e32 v0, s9, v0
	v_mul_u32_u24_e32 v1, 5, v0
	v_add_lshl_u32 v14, v18, v1, 2
	v_and_b32_e32 v1, 1, v0
	v_add_co_u32_e32 v5, vcc, -1, v1
	v_addc_co_u32_e64 v15, s[0:1], 0, -1, vcc
	v_cmp_ne_u32_e32 vcc, 0, v1
	v_xor_b32_e32 v5, vcc_lo, v5
	v_xor_b32_e32 v1, vcc_hi, v15
	v_and_b32_e32 v15, exec_lo, v5
	v_lshlrev_b32_e32 v5, 30, v0
	v_cmp_gt_i64_e32 vcc, 0, v[4:5]
	v_not_b32_e32 v5, v5
	v_ashrrev_i32_e32 v5, 31, v5
	v_xor_b32_e32 v19, vcc_hi, v5
	v_xor_b32_e32 v5, vcc_lo, v5
	v_and_b32_e32 v15, v15, v5
	v_lshlrev_b32_e32 v5, 29, v0
	v_cmp_gt_i64_e32 vcc, 0, v[4:5]
	v_not_b32_e32 v5, v5
	v_and_b32_e32 v1, exec_hi, v1
	v_ashrrev_i32_e32 v5, 31, v5
	v_and_b32_e32 v1, v1, v19
	v_xor_b32_e32 v19, vcc_hi, v5
	v_xor_b32_e32 v5, vcc_lo, v5
	v_and_b32_e32 v15, v15, v5
	v_lshlrev_b32_e32 v5, 28, v0
	v_cmp_gt_i64_e32 vcc, 0, v[4:5]
	v_not_b32_e32 v5, v5
	v_ashrrev_i32_e32 v5, 31, v5
	v_and_b32_e32 v1, v1, v19
	v_xor_b32_e32 v19, vcc_hi, v5
	v_xor_b32_e32 v5, vcc_lo, v5
	v_and_b32_e32 v15, v15, v5
	v_lshlrev_b32_e32 v5, 27, v0
	v_cmp_gt_i64_e32 vcc, 0, v[4:5]
	v_not_b32_e32 v5, v5
	;; [unrolled: 8-line block ×4, first 2 shown]
	v_ashrrev_i32_e32 v5, 31, v5
	v_and_b32_e32 v1, v1, v19
	v_xor_b32_e32 v19, vcc_hi, v5
	v_xor_b32_e32 v5, vcc_lo, v5
	v_and_b32_e32 v15, v15, v5
	v_lshlrev_b32_e32 v5, 24, v0
	v_not_b32_e32 v0, v5
	v_cmp_gt_i64_e32 vcc, 0, v[4:5]
	v_ashrrev_i32_e32 v0, 31, v0
	v_xor_b32_e32 v4, vcc_hi, v0
	v_xor_b32_e32 v0, vcc_lo, v0
	; wave barrier
	ds_read_b32 v13, v14 offset:16
	v_and_b32_e32 v1, v1, v19
	v_and_b32_e32 v0, v15, v0
	;; [unrolled: 1-line block ×3, first 2 shown]
	v_mbcnt_lo_u32_b32 v4, v0, 0
	v_mbcnt_hi_u32_b32 v15, v1, v4
	v_cmp_eq_u32_e32 vcc, 0, v15
	v_cmp_ne_u64_e64 s[0:1], 0, v[0:1]
	s_and_b64 s[2:3], s[0:1], vcc
	; wave barrier
	s_and_saveexec_b64 s[0:1], s[2:3]
	s_cbranch_execz .LBB199_134
; %bb.133:
	v_bcnt_u32_b32 v0, v0, 0
	v_bcnt_u32_b32 v0, v1, v0
	s_waitcnt lgkmcnt(0)
	v_add_u32_e32 v0, v13, v0
	ds_write_b32 v14, v0 offset:16
.LBB199_134:
	s_or_b64 exec, exec, s[0:1]
	v_mov_b32_e32 v24, 0xffff8000
	s_waitcnt vmcnt(9)
	v_cmp_lt_i16_e32 vcc, -1, v16
	v_cndmask_b32_e32 v0, -1, v24, vcc
	v_xor_b32_e32 v16, v0, v16
	s_movk_i32 s2, 0x7fff
	v_cmp_ne_u16_e32 vcc, s2, v16
	v_cndmask_b32_e32 v0, v24, v16, vcc
	v_lshrrev_b32_sdwa v0, s68, v0 dst_sel:DWORD dst_unused:UNUSED_PAD src0_sel:DWORD src1_sel:WORD_0
	v_and_b32_e32 v4, s9, v0
	v_and_b32_e32 v1, 1, v4
	v_add_co_u32_e32 v5, vcc, -1, v1
	v_addc_co_u32_e64 v22, s[0:1], 0, -1, vcc
	v_cmp_ne_u32_e32 vcc, 0, v1
	v_mul_u32_u24_e32 v0, 5, v4
	v_xor_b32_e32 v1, vcc_hi, v22
	v_add_lshl_u32 v20, v18, v0, 2
	v_mov_b32_e32 v0, 0
	v_and_b32_e32 v22, exec_hi, v1
	v_lshlrev_b32_e32 v1, 30, v4
	v_xor_b32_e32 v5, vcc_lo, v5
	v_cmp_gt_i64_e32 vcc, 0, v[0:1]
	v_not_b32_e32 v1, v1
	v_ashrrev_i32_e32 v1, 31, v1
	v_and_b32_e32 v5, exec_lo, v5
	v_xor_b32_e32 v25, vcc_hi, v1
	v_xor_b32_e32 v1, vcc_lo, v1
	v_and_b32_e32 v5, v5, v1
	v_lshlrev_b32_e32 v1, 29, v4
	v_cmp_gt_i64_e32 vcc, 0, v[0:1]
	v_not_b32_e32 v1, v1
	v_ashrrev_i32_e32 v1, 31, v1
	v_and_b32_e32 v22, v22, v25
	v_xor_b32_e32 v25, vcc_hi, v1
	v_xor_b32_e32 v1, vcc_lo, v1
	v_and_b32_e32 v5, v5, v1
	v_lshlrev_b32_e32 v1, 28, v4
	v_cmp_gt_i64_e32 vcc, 0, v[0:1]
	v_not_b32_e32 v1, v1
	v_ashrrev_i32_e32 v1, 31, v1
	v_and_b32_e32 v22, v22, v25
	;; [unrolled: 8-line block ×5, first 2 shown]
	v_xor_b32_e32 v25, vcc_hi, v1
	v_xor_b32_e32 v1, vcc_lo, v1
	v_and_b32_e32 v22, v22, v25
	v_and_b32_e32 v25, v5, v1
	v_lshlrev_b32_e32 v1, 24, v4
	v_cmp_gt_i64_e32 vcc, 0, v[0:1]
	v_not_b32_e32 v1, v1
	v_ashrrev_i32_e32 v1, 31, v1
	v_xor_b32_e32 v4, vcc_hi, v1
	v_xor_b32_e32 v1, vcc_lo, v1
	; wave barrier
	ds_read_b32 v19, v20 offset:16
	v_and_b32_e32 v5, v22, v4
	v_and_b32_e32 v4, v25, v1
	v_mbcnt_lo_u32_b32 v1, v4, 0
	v_mbcnt_hi_u32_b32 v22, v5, v1
	v_cmp_eq_u32_e32 vcc, 0, v22
	v_cmp_ne_u64_e64 s[0:1], 0, v[4:5]
	s_and_b64 s[4:5], s[0:1], vcc
	; wave barrier
	s_and_saveexec_b64 s[0:1], s[4:5]
	s_cbranch_execz .LBB199_136
; %bb.135:
	v_bcnt_u32_b32 v1, v4, 0
	v_bcnt_u32_b32 v1, v5, v1
	s_waitcnt lgkmcnt(0)
	v_add_u32_e32 v1, v19, v1
	ds_write_b32 v20, v1 offset:16
.LBB199_136:
	s_or_b64 exec, exec, s[0:1]
	s_waitcnt vmcnt(8)
	v_cmp_lt_i16_e32 vcc, -1, v21
	v_cndmask_b32_e32 v1, -1, v24, vcc
	v_xor_b32_e32 v21, v1, v21
	v_cmp_ne_u16_e32 vcc, s2, v21
	v_cndmask_b32_e32 v1, v24, v21, vcc
	v_lshrrev_b32_sdwa v1, s68, v1 dst_sel:DWORD dst_unused:UNUSED_PAD src0_sel:DWORD src1_sel:WORD_0
	v_and_b32_e32 v4, s9, v1
	v_mul_u32_u24_e32 v1, 5, v4
	v_add_lshl_u32 v25, v18, v1, 2
	v_and_b32_e32 v1, 1, v4
	v_add_co_u32_e32 v5, vcc, -1, v1
	v_addc_co_u32_e64 v27, s[0:1], 0, -1, vcc
	v_cmp_ne_u32_e32 vcc, 0, v1
	v_xor_b32_e32 v1, vcc_hi, v27
	v_and_b32_e32 v27, exec_hi, v1
	v_lshlrev_b32_e32 v1, 30, v4
	v_xor_b32_e32 v5, vcc_lo, v5
	v_cmp_gt_i64_e32 vcc, 0, v[0:1]
	v_not_b32_e32 v1, v1
	v_ashrrev_i32_e32 v1, 31, v1
	v_and_b32_e32 v5, exec_lo, v5
	v_xor_b32_e32 v29, vcc_hi, v1
	v_xor_b32_e32 v1, vcc_lo, v1
	v_and_b32_e32 v5, v5, v1
	v_lshlrev_b32_e32 v1, 29, v4
	v_cmp_gt_i64_e32 vcc, 0, v[0:1]
	v_not_b32_e32 v1, v1
	v_ashrrev_i32_e32 v1, 31, v1
	v_and_b32_e32 v27, v27, v29
	v_xor_b32_e32 v29, vcc_hi, v1
	v_xor_b32_e32 v1, vcc_lo, v1
	v_and_b32_e32 v5, v5, v1
	v_lshlrev_b32_e32 v1, 28, v4
	v_cmp_gt_i64_e32 vcc, 0, v[0:1]
	v_not_b32_e32 v1, v1
	v_ashrrev_i32_e32 v1, 31, v1
	v_and_b32_e32 v27, v27, v29
	;; [unrolled: 8-line block ×5, first 2 shown]
	v_xor_b32_e32 v29, vcc_hi, v1
	v_xor_b32_e32 v1, vcc_lo, v1
	v_and_b32_e32 v5, v5, v1
	v_lshlrev_b32_e32 v1, 24, v4
	v_cmp_gt_i64_e32 vcc, 0, v[0:1]
	v_not_b32_e32 v0, v1
	v_ashrrev_i32_e32 v0, 31, v0
	v_xor_b32_e32 v1, vcc_hi, v0
	v_xor_b32_e32 v0, vcc_lo, v0
	; wave barrier
	ds_read_b32 v24, v25 offset:16
	v_and_b32_e32 v27, v27, v29
	v_and_b32_e32 v0, v5, v0
	;; [unrolled: 1-line block ×3, first 2 shown]
	v_mbcnt_lo_u32_b32 v4, v0, 0
	v_mbcnt_hi_u32_b32 v27, v1, v4
	v_cmp_eq_u32_e32 vcc, 0, v27
	v_cmp_ne_u64_e64 s[0:1], 0, v[0:1]
	s_and_b64 s[2:3], s[0:1], vcc
	; wave barrier
	s_and_saveexec_b64 s[0:1], s[2:3]
	s_cbranch_execz .LBB199_138
; %bb.137:
	v_bcnt_u32_b32 v0, v0, 0
	v_bcnt_u32_b32 v0, v1, v0
	s_waitcnt lgkmcnt(0)
	v_add_u32_e32 v0, v24, v0
	ds_write_b32 v25, v0 offset:16
.LBB199_138:
	s_or_b64 exec, exec, s[0:1]
	v_mov_b32_e32 v34, 0xffff8000
	s_waitcnt vmcnt(7)
	v_cmp_lt_i16_e32 vcc, -1, v26
	v_cndmask_b32_e32 v0, -1, v34, vcc
	v_xor_b32_e32 v26, v0, v26
	s_movk_i32 s2, 0x7fff
	v_cmp_ne_u16_e32 vcc, s2, v26
	v_cndmask_b32_e32 v0, v34, v26, vcc
	v_lshrrev_b32_sdwa v0, s68, v0 dst_sel:DWORD dst_unused:UNUSED_PAD src0_sel:DWORD src1_sel:WORD_0
	v_and_b32_e32 v4, s9, v0
	v_and_b32_e32 v1, 1, v4
	v_add_co_u32_e32 v5, vcc, -1, v1
	v_addc_co_u32_e64 v32, s[0:1], 0, -1, vcc
	v_cmp_ne_u32_e32 vcc, 0, v1
	v_mul_u32_u24_e32 v0, 5, v4
	v_xor_b32_e32 v1, vcc_hi, v32
	v_add_lshl_u32 v30, v18, v0, 2
	v_mov_b32_e32 v0, 0
	v_and_b32_e32 v32, exec_hi, v1
	v_lshlrev_b32_e32 v1, 30, v4
	v_xor_b32_e32 v5, vcc_lo, v5
	v_cmp_gt_i64_e32 vcc, 0, v[0:1]
	v_not_b32_e32 v1, v1
	v_ashrrev_i32_e32 v1, 31, v1
	v_and_b32_e32 v5, exec_lo, v5
	v_xor_b32_e32 v35, vcc_hi, v1
	v_xor_b32_e32 v1, vcc_lo, v1
	v_and_b32_e32 v5, v5, v1
	v_lshlrev_b32_e32 v1, 29, v4
	v_cmp_gt_i64_e32 vcc, 0, v[0:1]
	v_not_b32_e32 v1, v1
	v_ashrrev_i32_e32 v1, 31, v1
	v_and_b32_e32 v32, v32, v35
	v_xor_b32_e32 v35, vcc_hi, v1
	v_xor_b32_e32 v1, vcc_lo, v1
	v_and_b32_e32 v5, v5, v1
	v_lshlrev_b32_e32 v1, 28, v4
	v_cmp_gt_i64_e32 vcc, 0, v[0:1]
	v_not_b32_e32 v1, v1
	v_ashrrev_i32_e32 v1, 31, v1
	v_and_b32_e32 v32, v32, v35
	;; [unrolled: 8-line block ×5, first 2 shown]
	v_xor_b32_e32 v35, vcc_hi, v1
	v_xor_b32_e32 v1, vcc_lo, v1
	v_and_b32_e32 v32, v32, v35
	v_and_b32_e32 v35, v5, v1
	v_lshlrev_b32_e32 v1, 24, v4
	v_cmp_gt_i64_e32 vcc, 0, v[0:1]
	v_not_b32_e32 v1, v1
	v_ashrrev_i32_e32 v1, 31, v1
	v_xor_b32_e32 v4, vcc_hi, v1
	v_xor_b32_e32 v1, vcc_lo, v1
	; wave barrier
	ds_read_b32 v29, v30 offset:16
	v_and_b32_e32 v5, v32, v4
	v_and_b32_e32 v4, v35, v1
	v_mbcnt_lo_u32_b32 v1, v4, 0
	v_mbcnt_hi_u32_b32 v32, v5, v1
	v_cmp_eq_u32_e32 vcc, 0, v32
	v_cmp_ne_u64_e64 s[0:1], 0, v[4:5]
	s_and_b64 s[4:5], s[0:1], vcc
	; wave barrier
	s_and_saveexec_b64 s[0:1], s[4:5]
	s_cbranch_execz .LBB199_140
; %bb.139:
	v_bcnt_u32_b32 v1, v4, 0
	v_bcnt_u32_b32 v1, v5, v1
	s_waitcnt lgkmcnt(0)
	v_add_u32_e32 v1, v29, v1
	ds_write_b32 v30, v1 offset:16
.LBB199_140:
	s_or_b64 exec, exec, s[0:1]
	s_waitcnt vmcnt(6)
	v_cmp_lt_i16_e32 vcc, -1, v31
	v_cndmask_b32_e32 v1, -1, v34, vcc
	v_xor_b32_e32 v31, v1, v31
	v_cmp_ne_u16_e32 vcc, s2, v31
	v_cndmask_b32_e32 v1, v34, v31, vcc
	v_lshrrev_b32_sdwa v1, s68, v1 dst_sel:DWORD dst_unused:UNUSED_PAD src0_sel:DWORD src1_sel:WORD_0
	v_and_b32_e32 v4, s9, v1
	v_mul_u32_u24_e32 v1, 5, v4
	v_add_lshl_u32 v35, v18, v1, 2
	v_and_b32_e32 v1, 1, v4
	v_add_co_u32_e32 v5, vcc, -1, v1
	v_addc_co_u32_e64 v37, s[0:1], 0, -1, vcc
	v_cmp_ne_u32_e32 vcc, 0, v1
	v_xor_b32_e32 v1, vcc_hi, v37
	v_and_b32_e32 v37, exec_hi, v1
	v_lshlrev_b32_e32 v1, 30, v4
	v_xor_b32_e32 v5, vcc_lo, v5
	v_cmp_gt_i64_e32 vcc, 0, v[0:1]
	v_not_b32_e32 v1, v1
	v_ashrrev_i32_e32 v1, 31, v1
	v_and_b32_e32 v5, exec_lo, v5
	v_xor_b32_e32 v39, vcc_hi, v1
	v_xor_b32_e32 v1, vcc_lo, v1
	v_and_b32_e32 v5, v5, v1
	v_lshlrev_b32_e32 v1, 29, v4
	v_cmp_gt_i64_e32 vcc, 0, v[0:1]
	v_not_b32_e32 v1, v1
	v_ashrrev_i32_e32 v1, 31, v1
	v_and_b32_e32 v37, v37, v39
	v_xor_b32_e32 v39, vcc_hi, v1
	v_xor_b32_e32 v1, vcc_lo, v1
	v_and_b32_e32 v5, v5, v1
	v_lshlrev_b32_e32 v1, 28, v4
	v_cmp_gt_i64_e32 vcc, 0, v[0:1]
	v_not_b32_e32 v1, v1
	v_ashrrev_i32_e32 v1, 31, v1
	v_and_b32_e32 v37, v37, v39
	;; [unrolled: 8-line block ×5, first 2 shown]
	v_xor_b32_e32 v39, vcc_hi, v1
	v_xor_b32_e32 v1, vcc_lo, v1
	v_and_b32_e32 v5, v5, v1
	v_lshlrev_b32_e32 v1, 24, v4
	v_cmp_gt_i64_e32 vcc, 0, v[0:1]
	v_not_b32_e32 v0, v1
	v_ashrrev_i32_e32 v0, 31, v0
	v_xor_b32_e32 v1, vcc_hi, v0
	v_xor_b32_e32 v0, vcc_lo, v0
	; wave barrier
	ds_read_b32 v34, v35 offset:16
	v_and_b32_e32 v37, v37, v39
	v_and_b32_e32 v0, v5, v0
	;; [unrolled: 1-line block ×3, first 2 shown]
	v_mbcnt_lo_u32_b32 v4, v0, 0
	v_mbcnt_hi_u32_b32 v37, v1, v4
	v_cmp_eq_u32_e32 vcc, 0, v37
	v_cmp_ne_u64_e64 s[0:1], 0, v[0:1]
	s_and_b64 s[2:3], s[0:1], vcc
	; wave barrier
	s_and_saveexec_b64 s[0:1], s[2:3]
	s_cbranch_execz .LBB199_142
; %bb.141:
	v_bcnt_u32_b32 v0, v0, 0
	v_bcnt_u32_b32 v0, v1, v0
	s_waitcnt lgkmcnt(0)
	v_add_u32_e32 v0, v34, v0
	ds_write_b32 v35, v0 offset:16
.LBB199_142:
	s_or_b64 exec, exec, s[0:1]
	v_mov_b32_e32 v42, 0xffff8000
	s_waitcnt vmcnt(5)
	v_cmp_lt_i16_e32 vcc, -1, v36
	v_cndmask_b32_e32 v0, -1, v42, vcc
	v_xor_b32_e32 v36, v0, v36
	s_movk_i32 s2, 0x7fff
	v_cmp_ne_u16_e32 vcc, s2, v36
	v_cndmask_b32_e32 v0, v42, v36, vcc
	v_lshrrev_b32_sdwa v0, s68, v0 dst_sel:DWORD dst_unused:UNUSED_PAD src0_sel:DWORD src1_sel:WORD_0
	v_and_b32_e32 v4, s9, v0
	v_and_b32_e32 v1, 1, v4
	v_add_co_u32_e32 v5, vcc, -1, v1
	v_addc_co_u32_e64 v41, s[0:1], 0, -1, vcc
	v_cmp_ne_u32_e32 vcc, 0, v1
	v_mul_u32_u24_e32 v0, 5, v4
	v_xor_b32_e32 v1, vcc_hi, v41
	v_add_lshl_u32 v40, v18, v0, 2
	v_mov_b32_e32 v0, 0
	v_and_b32_e32 v41, exec_hi, v1
	v_lshlrev_b32_e32 v1, 30, v4
	v_xor_b32_e32 v5, vcc_lo, v5
	v_cmp_gt_i64_e32 vcc, 0, v[0:1]
	v_not_b32_e32 v1, v1
	v_ashrrev_i32_e32 v1, 31, v1
	v_and_b32_e32 v5, exec_lo, v5
	v_xor_b32_e32 v43, vcc_hi, v1
	v_xor_b32_e32 v1, vcc_lo, v1
	v_and_b32_e32 v5, v5, v1
	v_lshlrev_b32_e32 v1, 29, v4
	v_cmp_gt_i64_e32 vcc, 0, v[0:1]
	v_not_b32_e32 v1, v1
	v_ashrrev_i32_e32 v1, 31, v1
	v_and_b32_e32 v41, v41, v43
	v_xor_b32_e32 v43, vcc_hi, v1
	v_xor_b32_e32 v1, vcc_lo, v1
	v_and_b32_e32 v5, v5, v1
	v_lshlrev_b32_e32 v1, 28, v4
	v_cmp_gt_i64_e32 vcc, 0, v[0:1]
	v_not_b32_e32 v1, v1
	v_ashrrev_i32_e32 v1, 31, v1
	v_and_b32_e32 v41, v41, v43
	;; [unrolled: 8-line block ×5, first 2 shown]
	v_xor_b32_e32 v43, vcc_hi, v1
	v_xor_b32_e32 v1, vcc_lo, v1
	v_and_b32_e32 v41, v41, v43
	v_and_b32_e32 v43, v5, v1
	v_lshlrev_b32_e32 v1, 24, v4
	v_cmp_gt_i64_e32 vcc, 0, v[0:1]
	v_not_b32_e32 v1, v1
	v_ashrrev_i32_e32 v1, 31, v1
	v_xor_b32_e32 v4, vcc_hi, v1
	v_xor_b32_e32 v1, vcc_lo, v1
	; wave barrier
	ds_read_b32 v39, v40 offset:16
	v_and_b32_e32 v5, v41, v4
	v_and_b32_e32 v4, v43, v1
	v_mbcnt_lo_u32_b32 v1, v4, 0
	v_mbcnt_hi_u32_b32 v41, v5, v1
	v_cmp_eq_u32_e32 vcc, 0, v41
	v_cmp_ne_u64_e64 s[0:1], 0, v[4:5]
	s_and_b64 s[4:5], s[0:1], vcc
	; wave barrier
	s_and_saveexec_b64 s[0:1], s[4:5]
	s_cbranch_execz .LBB199_144
; %bb.143:
	v_bcnt_u32_b32 v1, v4, 0
	v_bcnt_u32_b32 v1, v5, v1
	s_waitcnt lgkmcnt(0)
	v_add_u32_e32 v1, v39, v1
	ds_write_b32 v40, v1 offset:16
.LBB199_144:
	s_or_b64 exec, exec, s[0:1]
	s_waitcnt vmcnt(4)
	v_cmp_lt_i16_e32 vcc, -1, v38
	v_cndmask_b32_e32 v1, -1, v42, vcc
	v_xor_b32_e32 v38, v1, v38
	v_cmp_ne_u16_e32 vcc, s2, v38
	v_cndmask_b32_e32 v1, v42, v38, vcc
	v_lshrrev_b32_sdwa v1, s68, v1 dst_sel:DWORD dst_unused:UNUSED_PAD src0_sel:DWORD src1_sel:WORD_0
	v_and_b32_e32 v4, s9, v1
	v_mul_u32_u24_e32 v1, 5, v4
	v_add_lshl_u32 v43, v18, v1, 2
	v_and_b32_e32 v1, 1, v4
	v_add_co_u32_e32 v5, vcc, -1, v1
	v_addc_co_u32_e64 v44, s[0:1], 0, -1, vcc
	v_cmp_ne_u32_e32 vcc, 0, v1
	v_xor_b32_e32 v1, vcc_hi, v44
	v_and_b32_e32 v44, exec_hi, v1
	v_lshlrev_b32_e32 v1, 30, v4
	v_xor_b32_e32 v5, vcc_lo, v5
	v_cmp_gt_i64_e32 vcc, 0, v[0:1]
	v_not_b32_e32 v1, v1
	v_ashrrev_i32_e32 v1, 31, v1
	v_and_b32_e32 v5, exec_lo, v5
	v_xor_b32_e32 v45, vcc_hi, v1
	v_xor_b32_e32 v1, vcc_lo, v1
	v_and_b32_e32 v5, v5, v1
	v_lshlrev_b32_e32 v1, 29, v4
	v_cmp_gt_i64_e32 vcc, 0, v[0:1]
	v_not_b32_e32 v1, v1
	v_ashrrev_i32_e32 v1, 31, v1
	v_and_b32_e32 v44, v44, v45
	v_xor_b32_e32 v45, vcc_hi, v1
	v_xor_b32_e32 v1, vcc_lo, v1
	v_and_b32_e32 v5, v5, v1
	v_lshlrev_b32_e32 v1, 28, v4
	v_cmp_gt_i64_e32 vcc, 0, v[0:1]
	v_not_b32_e32 v1, v1
	v_ashrrev_i32_e32 v1, 31, v1
	v_and_b32_e32 v44, v44, v45
	;; [unrolled: 8-line block ×5, first 2 shown]
	v_xor_b32_e32 v45, vcc_hi, v1
	v_xor_b32_e32 v1, vcc_lo, v1
	v_and_b32_e32 v5, v5, v1
	v_lshlrev_b32_e32 v1, 24, v4
	v_cmp_gt_i64_e32 vcc, 0, v[0:1]
	v_not_b32_e32 v0, v1
	v_ashrrev_i32_e32 v0, 31, v0
	v_xor_b32_e32 v1, vcc_hi, v0
	v_xor_b32_e32 v0, vcc_lo, v0
	; wave barrier
	ds_read_b32 v42, v43 offset:16
	v_and_b32_e32 v44, v44, v45
	v_and_b32_e32 v0, v5, v0
	;; [unrolled: 1-line block ×3, first 2 shown]
	v_mbcnt_lo_u32_b32 v4, v0, 0
	v_mbcnt_hi_u32_b32 v44, v1, v4
	v_cmp_eq_u32_e32 vcc, 0, v44
	v_cmp_ne_u64_e64 s[0:1], 0, v[0:1]
	s_and_b64 s[2:3], s[0:1], vcc
	; wave barrier
	s_and_saveexec_b64 s[0:1], s[2:3]
	s_cbranch_execz .LBB199_146
; %bb.145:
	v_bcnt_u32_b32 v0, v0, 0
	v_bcnt_u32_b32 v0, v1, v0
	s_waitcnt lgkmcnt(0)
	v_add_u32_e32 v0, v42, v0
	ds_write_b32 v43, v0 offset:16
.LBB199_146:
	s_or_b64 exec, exec, s[0:1]
	v_mov_b32_e32 v49, 0xffff8000
	s_waitcnt vmcnt(3)
	v_cmp_lt_i16_e32 vcc, -1, v33
	v_cndmask_b32_e32 v0, -1, v49, vcc
	v_xor_b32_e32 v33, v0, v33
	s_movk_i32 s2, 0x7fff
	v_cmp_ne_u16_e32 vcc, s2, v33
	v_cndmask_b32_e32 v0, v49, v33, vcc
	v_lshrrev_b32_sdwa v0, s68, v0 dst_sel:DWORD dst_unused:UNUSED_PAD src0_sel:DWORD src1_sel:WORD_0
	v_and_b32_e32 v4, s9, v0
	v_and_b32_e32 v1, 1, v4
	v_add_co_u32_e32 v5, vcc, -1, v1
	v_addc_co_u32_e64 v47, s[0:1], 0, -1, vcc
	v_cmp_ne_u32_e32 vcc, 0, v1
	v_mul_u32_u24_e32 v0, 5, v4
	v_xor_b32_e32 v1, vcc_hi, v47
	v_add_lshl_u32 v46, v18, v0, 2
	v_mov_b32_e32 v0, 0
	v_and_b32_e32 v47, exec_hi, v1
	v_lshlrev_b32_e32 v1, 30, v4
	v_xor_b32_e32 v5, vcc_lo, v5
	v_cmp_gt_i64_e32 vcc, 0, v[0:1]
	v_not_b32_e32 v1, v1
	v_ashrrev_i32_e32 v1, 31, v1
	v_and_b32_e32 v5, exec_lo, v5
	v_xor_b32_e32 v48, vcc_hi, v1
	v_xor_b32_e32 v1, vcc_lo, v1
	v_and_b32_e32 v5, v5, v1
	v_lshlrev_b32_e32 v1, 29, v4
	v_cmp_gt_i64_e32 vcc, 0, v[0:1]
	v_not_b32_e32 v1, v1
	v_ashrrev_i32_e32 v1, 31, v1
	v_and_b32_e32 v47, v47, v48
	v_xor_b32_e32 v48, vcc_hi, v1
	v_xor_b32_e32 v1, vcc_lo, v1
	v_and_b32_e32 v5, v5, v1
	v_lshlrev_b32_e32 v1, 28, v4
	v_cmp_gt_i64_e32 vcc, 0, v[0:1]
	v_not_b32_e32 v1, v1
	v_ashrrev_i32_e32 v1, 31, v1
	v_and_b32_e32 v47, v47, v48
	;; [unrolled: 8-line block ×5, first 2 shown]
	v_xor_b32_e32 v48, vcc_hi, v1
	v_xor_b32_e32 v1, vcc_lo, v1
	v_and_b32_e32 v47, v47, v48
	v_and_b32_e32 v48, v5, v1
	v_lshlrev_b32_e32 v1, 24, v4
	v_cmp_gt_i64_e32 vcc, 0, v[0:1]
	v_not_b32_e32 v1, v1
	v_ashrrev_i32_e32 v1, 31, v1
	v_xor_b32_e32 v4, vcc_hi, v1
	v_xor_b32_e32 v1, vcc_lo, v1
	; wave barrier
	ds_read_b32 v45, v46 offset:16
	v_and_b32_e32 v5, v47, v4
	v_and_b32_e32 v4, v48, v1
	v_mbcnt_lo_u32_b32 v1, v4, 0
	v_mbcnt_hi_u32_b32 v48, v5, v1
	v_cmp_eq_u32_e32 vcc, 0, v48
	v_cmp_ne_u64_e64 s[0:1], 0, v[4:5]
	s_and_b64 s[4:5], s[0:1], vcc
	; wave barrier
	s_and_saveexec_b64 s[0:1], s[4:5]
	s_cbranch_execz .LBB199_148
; %bb.147:
	v_bcnt_u32_b32 v1, v4, 0
	v_bcnt_u32_b32 v1, v5, v1
	s_waitcnt lgkmcnt(0)
	v_add_u32_e32 v1, v45, v1
	ds_write_b32 v46, v1 offset:16
.LBB199_148:
	s_or_b64 exec, exec, s[0:1]
	s_waitcnt vmcnt(2)
	v_cmp_lt_i16_e32 vcc, -1, v28
	v_cndmask_b32_e32 v1, -1, v49, vcc
	v_xor_b32_e32 v47, v1, v28
	v_cmp_ne_u16_e32 vcc, s2, v47
	v_cndmask_b32_e32 v1, v49, v47, vcc
	v_lshrrev_b32_sdwa v1, s68, v1 dst_sel:DWORD dst_unused:UNUSED_PAD src0_sel:DWORD src1_sel:WORD_0
	v_and_b32_e32 v4, s9, v1
	v_mul_u32_u24_e32 v1, 5, v4
	v_add_lshl_u32 v28, v18, v1, 2
	v_and_b32_e32 v1, 1, v4
	v_add_co_u32_e32 v5, vcc, -1, v1
	v_addc_co_u32_e64 v50, s[0:1], 0, -1, vcc
	v_cmp_ne_u32_e32 vcc, 0, v1
	v_xor_b32_e32 v1, vcc_hi, v50
	v_and_b32_e32 v50, exec_hi, v1
	v_lshlrev_b32_e32 v1, 30, v4
	v_xor_b32_e32 v5, vcc_lo, v5
	v_cmp_gt_i64_e32 vcc, 0, v[0:1]
	v_not_b32_e32 v1, v1
	v_ashrrev_i32_e32 v1, 31, v1
	v_and_b32_e32 v5, exec_lo, v5
	v_xor_b32_e32 v51, vcc_hi, v1
	v_xor_b32_e32 v1, vcc_lo, v1
	v_and_b32_e32 v5, v5, v1
	v_lshlrev_b32_e32 v1, 29, v4
	v_cmp_gt_i64_e32 vcc, 0, v[0:1]
	v_not_b32_e32 v1, v1
	v_ashrrev_i32_e32 v1, 31, v1
	v_and_b32_e32 v50, v50, v51
	v_xor_b32_e32 v51, vcc_hi, v1
	v_xor_b32_e32 v1, vcc_lo, v1
	v_and_b32_e32 v5, v5, v1
	v_lshlrev_b32_e32 v1, 28, v4
	v_cmp_gt_i64_e32 vcc, 0, v[0:1]
	v_not_b32_e32 v1, v1
	v_ashrrev_i32_e32 v1, 31, v1
	v_and_b32_e32 v50, v50, v51
	;; [unrolled: 8-line block ×5, first 2 shown]
	v_xor_b32_e32 v51, vcc_hi, v1
	v_xor_b32_e32 v1, vcc_lo, v1
	v_and_b32_e32 v5, v5, v1
	v_lshlrev_b32_e32 v1, 24, v4
	v_cmp_gt_i64_e32 vcc, 0, v[0:1]
	v_not_b32_e32 v0, v1
	v_ashrrev_i32_e32 v0, 31, v0
	v_xor_b32_e32 v1, vcc_hi, v0
	v_xor_b32_e32 v0, vcc_lo, v0
	; wave barrier
	ds_read_b32 v49, v28 offset:16
	v_and_b32_e32 v50, v50, v51
	v_and_b32_e32 v0, v5, v0
	v_and_b32_e32 v1, v50, v1
	v_mbcnt_lo_u32_b32 v4, v0, 0
	v_mbcnt_hi_u32_b32 v51, v1, v4
	v_cmp_eq_u32_e32 vcc, 0, v51
	v_cmp_ne_u64_e64 s[0:1], 0, v[0:1]
	s_and_b64 s[2:3], s[0:1], vcc
	; wave barrier
	s_and_saveexec_b64 s[0:1], s[2:3]
	s_cbranch_execz .LBB199_150
; %bb.149:
	v_bcnt_u32_b32 v0, v0, 0
	v_bcnt_u32_b32 v0, v1, v0
	s_waitcnt lgkmcnt(0)
	v_add_u32_e32 v0, v49, v0
	ds_write_b32 v28, v0 offset:16
.LBB199_150:
	s_or_b64 exec, exec, s[0:1]
	v_mov_b32_e32 v55, 0xffff8000
	s_waitcnt vmcnt(1)
	v_cmp_lt_i16_e32 vcc, -1, v23
	v_cndmask_b32_e32 v0, -1, v55, vcc
	v_xor_b32_e32 v50, v0, v23
	s_movk_i32 s2, 0x7fff
	v_cmp_ne_u16_e32 vcc, s2, v50
	v_cndmask_b32_e32 v0, v55, v50, vcc
	v_lshrrev_b32_sdwa v0, s68, v0 dst_sel:DWORD dst_unused:UNUSED_PAD src0_sel:DWORD src1_sel:WORD_0
	v_and_b32_e32 v4, s9, v0
	v_and_b32_e32 v1, 1, v4
	v_add_co_u32_e32 v5, vcc, -1, v1
	v_addc_co_u32_e64 v53, s[0:1], 0, -1, vcc
	v_cmp_ne_u32_e32 vcc, 0, v1
	v_mul_u32_u24_e32 v0, 5, v4
	v_xor_b32_e32 v1, vcc_hi, v53
	v_add_lshl_u32 v23, v0, v18, 2
	v_mov_b32_e32 v0, 0
	v_and_b32_e32 v53, exec_hi, v1
	v_lshlrev_b32_e32 v1, 30, v4
	v_xor_b32_e32 v5, vcc_lo, v5
	v_cmp_gt_i64_e32 vcc, 0, v[0:1]
	v_not_b32_e32 v1, v1
	v_ashrrev_i32_e32 v1, 31, v1
	v_and_b32_e32 v5, exec_lo, v5
	v_xor_b32_e32 v54, vcc_hi, v1
	v_xor_b32_e32 v1, vcc_lo, v1
	v_and_b32_e32 v5, v5, v1
	v_lshlrev_b32_e32 v1, 29, v4
	v_cmp_gt_i64_e32 vcc, 0, v[0:1]
	v_not_b32_e32 v1, v1
	v_ashrrev_i32_e32 v1, 31, v1
	v_and_b32_e32 v53, v53, v54
	v_xor_b32_e32 v54, vcc_hi, v1
	v_xor_b32_e32 v1, vcc_lo, v1
	v_and_b32_e32 v5, v5, v1
	v_lshlrev_b32_e32 v1, 28, v4
	v_cmp_gt_i64_e32 vcc, 0, v[0:1]
	v_not_b32_e32 v1, v1
	v_ashrrev_i32_e32 v1, 31, v1
	v_and_b32_e32 v53, v53, v54
	;; [unrolled: 8-line block ×5, first 2 shown]
	v_xor_b32_e32 v54, vcc_hi, v1
	v_xor_b32_e32 v1, vcc_lo, v1
	v_and_b32_e32 v53, v53, v54
	v_and_b32_e32 v54, v5, v1
	v_lshlrev_b32_e32 v1, 24, v4
	v_cmp_gt_i64_e32 vcc, 0, v[0:1]
	v_not_b32_e32 v1, v1
	v_ashrrev_i32_e32 v1, 31, v1
	v_xor_b32_e32 v4, vcc_hi, v1
	v_xor_b32_e32 v1, vcc_lo, v1
	; wave barrier
	ds_read_b32 v52, v23 offset:16
	v_and_b32_e32 v5, v53, v4
	v_and_b32_e32 v4, v54, v1
	v_mbcnt_lo_u32_b32 v1, v4, 0
	v_mbcnt_hi_u32_b32 v54, v5, v1
	v_cmp_eq_u32_e32 vcc, 0, v54
	v_cmp_ne_u64_e64 s[0:1], 0, v[4:5]
	s_and_b64 s[4:5], s[0:1], vcc
	; wave barrier
	s_and_saveexec_b64 s[0:1], s[4:5]
	s_cbranch_execz .LBB199_152
; %bb.151:
	v_bcnt_u32_b32 v1, v4, 0
	v_bcnt_u32_b32 v1, v5, v1
	s_waitcnt lgkmcnt(0)
	v_add_u32_e32 v1, v52, v1
	ds_write_b32 v23, v1 offset:16
.LBB199_152:
	s_or_b64 exec, exec, s[0:1]
	s_waitcnt vmcnt(0)
	v_cmp_lt_i16_e32 vcc, -1, v17
	v_cndmask_b32_e32 v1, -1, v55, vcc
	v_xor_b32_e32 v53, v1, v17
	v_cmp_ne_u16_e32 vcc, s2, v53
	v_cndmask_b32_e32 v1, v55, v53, vcc
	v_lshrrev_b32_sdwa v1, s68, v1 dst_sel:DWORD dst_unused:UNUSED_PAD src0_sel:DWORD src1_sel:WORD_0
	v_and_b32_e32 v4, s9, v1
	v_mul_u32_u24_e32 v1, 5, v4
	v_add_lshl_u32 v17, v1, v18, 2
	v_and_b32_e32 v1, 1, v4
	v_add_co_u32_e32 v5, vcc, -1, v1
	v_addc_co_u32_e64 v18, s[0:1], 0, -1, vcc
	v_cmp_ne_u32_e32 vcc, 0, v1
	v_xor_b32_e32 v1, vcc_hi, v18
	v_and_b32_e32 v18, exec_hi, v1
	v_lshlrev_b32_e32 v1, 30, v4
	v_xor_b32_e32 v5, vcc_lo, v5
	v_cmp_gt_i64_e32 vcc, 0, v[0:1]
	v_not_b32_e32 v1, v1
	v_ashrrev_i32_e32 v1, 31, v1
	v_and_b32_e32 v5, exec_lo, v5
	v_xor_b32_e32 v57, vcc_hi, v1
	v_xor_b32_e32 v1, vcc_lo, v1
	v_and_b32_e32 v5, v5, v1
	v_lshlrev_b32_e32 v1, 29, v4
	v_cmp_gt_i64_e32 vcc, 0, v[0:1]
	v_not_b32_e32 v1, v1
	v_ashrrev_i32_e32 v1, 31, v1
	v_and_b32_e32 v18, v18, v57
	v_xor_b32_e32 v57, vcc_hi, v1
	v_xor_b32_e32 v1, vcc_lo, v1
	v_and_b32_e32 v5, v5, v1
	v_lshlrev_b32_e32 v1, 28, v4
	v_cmp_gt_i64_e32 vcc, 0, v[0:1]
	v_not_b32_e32 v1, v1
	v_ashrrev_i32_e32 v1, 31, v1
	v_and_b32_e32 v18, v18, v57
	v_xor_b32_e32 v57, vcc_hi, v1
	v_xor_b32_e32 v1, vcc_lo, v1
	v_and_b32_e32 v5, v5, v1
	v_lshlrev_b32_e32 v1, 27, v4
	v_cmp_gt_i64_e32 vcc, 0, v[0:1]
	v_not_b32_e32 v1, v1
	v_ashrrev_i32_e32 v1, 31, v1
	v_and_b32_e32 v18, v18, v57
	v_xor_b32_e32 v57, vcc_hi, v1
	v_xor_b32_e32 v1, vcc_lo, v1
	v_and_b32_e32 v5, v5, v1
	v_lshlrev_b32_e32 v1, 26, v4
	v_cmp_gt_i64_e32 vcc, 0, v[0:1]
	v_not_b32_e32 v1, v1
	v_ashrrev_i32_e32 v1, 31, v1
	v_and_b32_e32 v18, v18, v57
	v_xor_b32_e32 v57, vcc_hi, v1
	v_xor_b32_e32 v1, vcc_lo, v1
	v_and_b32_e32 v5, v5, v1
	v_lshlrev_b32_e32 v1, 25, v4
	v_cmp_gt_i64_e32 vcc, 0, v[0:1]
	v_not_b32_e32 v1, v1
	v_ashrrev_i32_e32 v1, 31, v1
	v_and_b32_e32 v18, v18, v57
	v_xor_b32_e32 v57, vcc_hi, v1
	v_xor_b32_e32 v1, vcc_lo, v1
	v_and_b32_e32 v5, v5, v1
	v_lshlrev_b32_e32 v1, 24, v4
	v_cmp_gt_i64_e32 vcc, 0, v[0:1]
	v_not_b32_e32 v0, v1
	v_ashrrev_i32_e32 v0, 31, v0
	v_xor_b32_e32 v1, vcc_hi, v0
	v_xor_b32_e32 v0, vcc_lo, v0
	; wave barrier
	ds_read_b32 v55, v17 offset:16
	v_and_b32_e32 v18, v18, v57
	v_and_b32_e32 v0, v5, v0
	;; [unrolled: 1-line block ×3, first 2 shown]
	v_mbcnt_lo_u32_b32 v4, v0, 0
	v_mbcnt_hi_u32_b32 v57, v1, v4
	v_cmp_eq_u32_e32 vcc, 0, v57
	v_cmp_ne_u64_e64 s[0:1], 0, v[0:1]
	v_add_u32_e32 v56, 16, v7
	s_and_b64 s[2:3], s[0:1], vcc
	; wave barrier
	s_and_saveexec_b64 s[0:1], s[2:3]
	s_cbranch_execz .LBB199_154
; %bb.153:
	v_bcnt_u32_b32 v0, v0, 0
	v_bcnt_u32_b32 v0, v1, v0
	s_waitcnt lgkmcnt(0)
	v_add_u32_e32 v0, v55, v0
	ds_write_b32 v17, v0 offset:16
.LBB199_154:
	s_or_b64 exec, exec, s[0:1]
	; wave barrier
	s_waitcnt lgkmcnt(0)
	s_barrier
	ds_read2_b32 v[4:5], v7 offset0:4 offset1:5
	ds_read2_b32 v[0:1], v56 offset0:2 offset1:3
	ds_read_b32 v18, v56 offset:16
	v_min_u32_e32 v8, 0xc0, v8
	v_or_b32_e32 v8, 63, v8
	s_waitcnt lgkmcnt(1)
	v_add3_u32 v58, v5, v4, v0
	s_waitcnt lgkmcnt(0)
	v_add3_u32 v18, v58, v1, v18
	v_and_b32_e32 v58, 15, v10
	v_cmp_ne_u32_e32 vcc, 0, v58
	v_mov_b32_dpp v59, v18 row_shr:1 row_mask:0xf bank_mask:0xf
	v_cndmask_b32_e32 v59, 0, v59, vcc
	v_add_u32_e32 v18, v59, v18
	v_cmp_lt_u32_e32 vcc, 1, v58
	s_nop 0
	v_mov_b32_dpp v59, v18 row_shr:2 row_mask:0xf bank_mask:0xf
	v_cndmask_b32_e32 v59, 0, v59, vcc
	v_add_u32_e32 v18, v18, v59
	v_cmp_lt_u32_e32 vcc, 3, v58
	s_nop 0
	;; [unrolled: 5-line block ×3, first 2 shown]
	v_mov_b32_dpp v59, v18 row_shr:8 row_mask:0xf bank_mask:0xf
	v_cndmask_b32_e32 v58, 0, v59, vcc
	v_add_u32_e32 v18, v18, v58
	v_bfe_i32 v59, v10, 4, 1
	v_cmp_lt_u32_e32 vcc, 31, v10
	v_mov_b32_dpp v58, v18 row_bcast:15 row_mask:0xf bank_mask:0xf
	v_and_b32_e32 v58, v59, v58
	v_add_u32_e32 v18, v18, v58
	s_nop 1
	v_mov_b32_dpp v58, v18 row_bcast:31 row_mask:0xf bank_mask:0xf
	v_cndmask_b32_e32 v58, 0, v58, vcc
	v_add_u32_e32 v18, v18, v58
	v_lshrrev_b32_e32 v58, 6, v2
	v_cmp_eq_u32_e32 vcc, v8, v2
	s_and_saveexec_b64 s[0:1], vcc
	s_cbranch_execz .LBB199_156
; %bb.155:
	v_lshlrev_b32_e32 v8, 2, v58
	ds_write_b32 v8, v18
.LBB199_156:
	s_or_b64 exec, exec, s[0:1]
	v_cmp_gt_u32_e32 vcc, 4, v2
	s_waitcnt lgkmcnt(0)
	s_barrier
	s_and_saveexec_b64 s[0:1], vcc
	s_cbranch_execz .LBB199_158
; %bb.157:
	v_lshlrev_b32_e32 v8, 2, v2
	ds_read_b32 v59, v8
	v_and_b32_e32 v60, 3, v10
	v_cmp_ne_u32_e32 vcc, 0, v60
	s_waitcnt lgkmcnt(0)
	v_mov_b32_dpp v61, v59 row_shr:1 row_mask:0xf bank_mask:0xf
	v_cndmask_b32_e32 v61, 0, v61, vcc
	v_add_u32_e32 v59, v61, v59
	v_cmp_lt_u32_e32 vcc, 1, v60
	s_nop 0
	v_mov_b32_dpp v61, v59 row_shr:2 row_mask:0xf bank_mask:0xf
	v_cndmask_b32_e32 v60, 0, v61, vcc
	v_add_u32_e32 v59, v59, v60
	ds_write_b32 v8, v59
.LBB199_158:
	s_or_b64 exec, exec, s[0:1]
	v_cmp_lt_u32_e32 vcc, 63, v2
	v_mov_b32_e32 v8, 0
	s_waitcnt lgkmcnt(0)
	s_barrier
	s_and_saveexec_b64 s[0:1], vcc
	s_cbranch_execz .LBB199_160
; %bb.159:
	v_lshl_add_u32 v8, v58, 2, -4
	ds_read_b32 v8, v8
.LBB199_160:
	s_or_b64 exec, exec, s[0:1]
	v_add_u32_e32 v58, -1, v10
	v_and_b32_e32 v59, 64, v10
	v_cmp_lt_i32_e32 vcc, v58, v59
	v_cndmask_b32_e32 v58, v58, v10, vcc
	s_waitcnt lgkmcnt(0)
	v_add_u32_e32 v18, v8, v18
	v_lshlrev_b32_e32 v58, 2, v58
	ds_bpermute_b32 v18, v58, v18
	v_cmp_eq_u32_e32 vcc, 0, v10
	s_movk_i32 s0, 0x100
	s_waitcnt lgkmcnt(0)
	v_cndmask_b32_e32 v8, v18, v8, vcc
	v_cmp_ne_u32_e32 vcc, 0, v2
	v_cndmask_b32_e32 v8, 0, v8, vcc
	v_add_u32_e32 v4, v8, v4
	v_add_u32_e32 v5, v4, v5
	;; [unrolled: 1-line block ×4, first 2 shown]
	ds_write2_b32 v7, v8, v4 offset0:4 offset1:5
	ds_write2_b32 v56, v5, v0 offset0:2 offset1:3
	ds_write_b32 v56, v1 offset:16
	s_waitcnt lgkmcnt(0)
	s_barrier
	ds_read_b32 v1, v14 offset:16
	ds_read_b32 v5, v20 offset:16
	;; [unrolled: 1-line block ×13, first 2 shown]
	v_add_u32_e32 v7, 1, v2
	v_cmp_ne_u32_e32 vcc, s0, v7
	v_mov_b32_e32 v0, 0xc00
	s_and_saveexec_b64 s[0:1], vcc
	s_cbranch_execz .LBB199_162
; %bb.161:
	v_mul_u32_u24_e32 v0, 5, v7
	v_lshlrev_b32_e32 v0, 2, v0
	ds_read_b32 v0, v0 offset:16
.LBB199_162:
	s_or_b64 exec, exec, s[0:1]
	s_waitcnt lgkmcnt(1)
	v_add_u32_e32 v28, v9, v11
	v_add3_u32 v25, v15, v13, v1
	v_lshlrev_b32_e32 v1, 1, v28
	v_add3_u32 v23, v22, v19, v5
	s_waitcnt lgkmcnt(0)
	s_barrier
	ds_write_b16 v1, v6 offset:2048
	v_lshlrev_b32_e32 v1, 1, v25
	v_add3_u32 v22, v27, v24, v8
	ds_write_b16 v1, v12 offset:2048
	v_lshlrev_b32_e32 v1, 1, v23
	v_add3_u32 v20, v32, v29, v14
	;; [unrolled: 3-line block ×9, first 2 shown]
	ds_write_b16 v1, v47 offset:2048
	v_lshlrev_b32_e32 v1, 1, v13
	ds_write_b16 v1, v50 offset:2048
	v_lshlrev_b32_e32 v1, 1, v11
	ds_write_b16 v1, v53 offset:2048
	v_sub_u32_e32 v32, v0, v4
	v_lshl_add_u32 v0, s6, 8, v2
	v_mov_b32_e32 v1, 0
	v_lshlrev_b64 v[6:7], 2, v[0:1]
	v_mov_b32_e32 v12, s73
	v_add_co_u32_e32 v6, vcc, s72, v6
	v_addc_co_u32_e32 v7, vcc, v12, v7, vcc
	v_or_b32_e32 v0, 2.0, v32
	s_mov_b64 s[0:1], 0
	s_brev_b32 s10, 1
	v_mov_b32_e32 v5, 0
	s_waitcnt lgkmcnt(0)
	s_barrier
	global_store_dword v[6:7], v0, off
                                        ; implicit-def: $sgpr2_sgpr3
	s_branch .LBB199_165
.LBB199_163:                            ;   in Loop: Header=BB199_165 Depth=1
	s_or_b64 exec, exec, s[4:5]
.LBB199_164:                            ;   in Loop: Header=BB199_165 Depth=1
	s_or_b64 exec, exec, s[2:3]
	v_and_b32_e32 v8, 0x3fffffff, v16
	v_add_u32_e32 v5, v8, v5
	v_cmp_eq_u32_e64 s[2:3], s10, v0
	s_and_b64 s[4:5], exec, s[2:3]
	s_or_b64 s[0:1], s[4:5], s[0:1]
	s_andn2_b64 exec, exec, s[0:1]
	s_cbranch_execz .LBB199_170
.LBB199_165:                            ; =>This Loop Header: Depth=1
                                        ;     Child Loop BB199_168 Depth 2
	s_or_b64 s[2:3], s[2:3], exec
	s_cmp_eq_u32 s7, 0
	s_cbranch_scc1 .LBB199_169
; %bb.166:                              ;   in Loop: Header=BB199_165 Depth=1
	s_add_i32 s7, s7, -1
	v_lshl_add_u32 v0, s7, 8, v2
	v_lshlrev_b64 v[8:9], 2, v[0:1]
	v_add_co_u32_e32 v8, vcc, s72, v8
	v_addc_co_u32_e32 v9, vcc, v12, v9, vcc
	global_load_dword v16, v[8:9], off glc
	s_waitcnt vmcnt(0)
	v_and_b32_e32 v0, -2.0, v16
	v_cmp_eq_u32_e32 vcc, 0, v0
	s_and_saveexec_b64 s[2:3], vcc
	s_cbranch_execz .LBB199_164
; %bb.167:                              ;   in Loop: Header=BB199_165 Depth=1
	s_mov_b64 s[4:5], 0
.LBB199_168:                            ;   Parent Loop BB199_165 Depth=1
                                        ; =>  This Inner Loop Header: Depth=2
	global_load_dword v16, v[8:9], off glc
	s_waitcnt vmcnt(0)
	v_and_b32_e32 v0, -2.0, v16
	v_cmp_ne_u32_e32 vcc, 0, v0
	s_or_b64 s[4:5], vcc, s[4:5]
	s_andn2_b64 exec, exec, s[4:5]
	s_cbranch_execnz .LBB199_168
	s_branch .LBB199_163
.LBB199_169:                            ;   in Loop: Header=BB199_165 Depth=1
                                        ; implicit-def: $sgpr7
	s_and_b64 s[4:5], exec, s[2:3]
	s_or_b64 s[0:1], s[4:5], s[0:1]
	s_andn2_b64 exec, exec, s[0:1]
	s_cbranch_execnz .LBB199_165
.LBB199_170:
	s_or_b64 exec, exec, s[0:1]
	v_add_u32_e32 v0, v5, v32
	v_or_b32_e32 v0, 0x80000000, v0
	global_store_dword v[6:7], v0, off
	v_lshlrev_b32_e32 v33, 3, v2
	global_load_dwordx2 v[0:1], v33, s[64:65]
	v_sub_co_u32_e32 v5, vcc, v5, v4
	v_subb_co_u32_e64 v6, s[0:1], 0, 0, vcc
	s_movk_i32 s0, 0x7fff
	v_mad_i32_i24 v8, v2, -6, v33
	v_mov_b32_e32 v12, 0xffff8000
	v_lshlrev_b32_e32 v16, 1, v2
	v_mov_b32_e32 v7, s59
	v_mov_b32_e32 v21, s59
	;; [unrolled: 1-line block ×4, first 2 shown]
	v_add_u32_e32 v56, 0x900, v2
	v_add_u32_e32 v60, 0xa00, v2
	;; [unrolled: 1-line block ×3, first 2 shown]
	v_lshlrev_b32_e32 v3, 3, v3
	s_waitcnt vmcnt(0)
	v_add_co_u32_e32 v0, vcc, v5, v0
	v_addc_co_u32_e32 v1, vcc, v6, v1, vcc
	ds_write_b64 v33, v[0:1]
	s_waitcnt lgkmcnt(0)
	s_barrier
	ds_read_u16 v0, v8 offset:2048
	ds_read_u16 v1, v16 offset:2560
	;; [unrolled: 1-line block ×7, first 2 shown]
	s_waitcnt lgkmcnt(6)
	v_cmp_ne_u16_e32 vcc, s0, v0
	v_cndmask_b32_e32 v6, v12, v0, vcc
	v_cmp_lt_i16_e32 vcc, -1, v0
	v_cndmask_b32_e64 v8, v12, -1, vcc
	s_waitcnt lgkmcnt(5)
	v_cmp_ne_u16_e32 vcc, s0, v1
	v_cndmask_b32_e32 v9, v12, v1, vcc
	v_cmp_lt_i16_e32 vcc, -1, v1
	v_cndmask_b32_e64 v26, v12, -1, vcc
	s_waitcnt lgkmcnt(4)
	v_cmp_ne_u16_e32 vcc, s0, v5
	v_cndmask_b32_e32 v27, v12, v5, vcc
	v_lshrrev_b32_sdwa v6, s68, v6 dst_sel:DWORD dst_unused:UNUSED_PAD src0_sel:DWORD src1_sel:WORD_0
	v_cmp_lt_i16_e32 vcc, -1, v5
	v_xor_b32_e32 v8, v8, v0
	v_lshrrev_b32_sdwa v0, s68, v9 dst_sel:DWORD dst_unused:UNUSED_PAD src0_sel:DWORD src1_sel:WORD_0
	v_xor_b32_e32 v37, v26, v1
	v_lshrrev_b32_sdwa v1, s68, v27 dst_sel:DWORD dst_unused:UNUSED_PAD src0_sel:DWORD src1_sel:WORD_0
	v_and_b32_e32 v6, s9, v6
	v_cndmask_b32_e64 v36, v12, -1, vcc
	v_and_b32_e32 v0, s9, v0
	v_and_b32_e32 v1, s9, v1
	v_lshlrev_b32_e32 v50, 3, v6
	v_xor_b32_e32 v5, v36, v5
	v_lshlrev_b32_e32 v51, 3, v0
	v_lshlrev_b32_e32 v52, 3, v1
	ds_read_b64 v[0:1], v50
	ds_read_u16 v6, v16 offset:3072
	ds_read_u16 v36, v16 offset:4096
	;; [unrolled: 1-line block ×5, first 2 shown]
	s_waitcnt lgkmcnt(4)
	v_cmp_ne_u16_e32 vcc, s0, v6
	v_cndmask_b32_e32 v9, v12, v6, vcc
	v_cmp_lt_i16_e32 vcc, -1, v6
	v_lshlrev_b64 v[0:1], 1, v[0:1]
	v_cndmask_b32_e64 v26, v12, -1, vcc
	s_waitcnt lgkmcnt(3)
	v_cmp_ne_u16_e32 vcc, s0, v36
	v_cndmask_b32_e32 v27, v12, v36, vcc
	v_add_co_u32_e32 v0, vcc, s58, v0
	v_addc_co_u32_e32 v1, vcc, v7, v1, vcc
	v_add_co_u32_e32 v0, vcc, v0, v16
	v_addc_co_u32_e32 v1, vcc, 0, v1, vcc
	global_store_short v[0:1], v8, off
	ds_read_b64 v[0:1], v51
	v_lshrrev_b32_sdwa v7, s68, v9 dst_sel:DWORD dst_unused:UNUSED_PAD src0_sel:DWORD src1_sel:WORD_0
	v_xor_b32_e32 v41, v26, v6
	v_lshrrev_b32_sdwa v6, s68, v27 dst_sel:DWORD dst_unused:UNUSED_PAD src0_sel:DWORD src1_sel:WORD_0
	v_and_b32_e32 v7, s9, v7
	s_waitcnt lgkmcnt(0)
	v_lshlrev_b64 v[0:1], 1, v[0:1]
	v_and_b32_e32 v6, s9, v6
	v_lshlrev_b32_e32 v53, 3, v7
	v_add_co_u32_e32 v0, vcc, s58, v0
	v_lshlrev_b32_e32 v54, 3, v6
	ds_read_b64 v[6:7], v53
	ds_read_b64 v[8:9], v52
	;; [unrolled: 1-line block ×3, first 2 shown]
	v_addc_co_u32_e32 v1, vcc, v21, v1, vcc
	v_add_co_u32_e32 v0, vcc, v0, v16
	v_addc_co_u32_e32 v1, vcc, 0, v1, vcc
	global_store_short v[0:1], v37, off offset:512
	s_waitcnt lgkmcnt(2)
	v_lshlrev_b64 v[0:1], 1, v[6:7]
	v_add_co_u32_e32 v0, vcc, s58, v0
	v_addc_co_u32_e32 v1, vcc, v24, v1, vcc
	v_add_co_u32_e32 v0, vcc, v0, v16
	s_waitcnt lgkmcnt(1)
	v_lshlrev_b64 v[6:7], 1, v[8:9]
	v_addc_co_u32_e32 v1, vcc, 0, v1, vcc
	global_store_short v[0:1], v41, off offset:1024
	v_add_co_u32_e32 v0, vcc, s58, v6
	v_addc_co_u32_e32 v1, vcc, v29, v7, vcc
	v_add_co_u32_e32 v0, vcc, v0, v16
	v_addc_co_u32_e32 v1, vcc, 0, v1, vcc
	v_cmp_lt_i16_e32 vcc, -1, v36
	global_store_short v[0:1], v5, off offset:1536
	v_cndmask_b32_e64 v0, v12, -1, vcc
	v_xor_b32_e32 v5, v0, v36
	s_waitcnt lgkmcnt(0)
	v_lshlrev_b64 v[0:1], 1, v[26:27]
	v_mov_b32_e32 v6, s59
	v_add_co_u32_e32 v0, vcc, s58, v0
	v_addc_co_u32_e32 v1, vcc, v6, v1, vcc
	v_add_co_u32_e32 v0, vcc, v0, v16
	v_addc_co_u32_e32 v1, vcc, 0, v1, vcc
	v_cmp_ne_u16_e32 vcc, s0, v30
	global_store_short v[0:1], v5, off offset:2048
	v_cndmask_b32_e32 v0, v12, v30, vcc
	v_lshrrev_b32_sdwa v0, s68, v0 dst_sel:DWORD dst_unused:UNUSED_PAD src0_sel:DWORD src1_sel:WORD_0
	v_cmp_lt_i16_e32 vcc, -1, v30
	v_and_b32_e32 v0, s9, v0
	v_cndmask_b32_e64 v1, v12, -1, vcc
	v_cmp_ne_u16_e32 vcc, s0, v38
	v_lshlrev_b32_e32 v21, 3, v0
	v_cndmask_b32_e32 v0, v12, v38, vcc
	v_lshrrev_b32_sdwa v0, s68, v0 dst_sel:DWORD dst_unused:UNUSED_PAD src0_sel:DWORD src1_sel:WORD_0
	v_and_b32_e32 v0, s9, v0
	v_cmp_ne_u16_e32 vcc, s0, v31
	v_lshlrev_b32_e32 v24, 3, v0
	v_cndmask_b32_e32 v0, v12, v31, vcc
	v_lshrrev_b32_sdwa v0, s68, v0 dst_sel:DWORD dst_unused:UNUSED_PAD src0_sel:DWORD src1_sel:WORD_0
	v_and_b32_e32 v0, s9, v0
	v_cmp_ne_u16_e32 vcc, s0, v39
	v_lshlrev_b32_e32 v29, 3, v0
	v_cndmask_b32_e32 v0, v12, v39, vcc
	v_lshrrev_b32_sdwa v0, s68, v0 dst_sel:DWORD dst_unused:UNUSED_PAD src0_sel:DWORD src1_sel:WORD_0
	v_xor_b32_e32 v5, v1, v30
	v_and_b32_e32 v6, s9, v0
	ds_read_b64 v[0:1], v21
	v_mov_b32_e32 v30, s59
	v_lshlrev_b32_e32 v55, 3, v6
	ds_read_b64 v[6:7], v24
	ds_read_b64 v[8:9], v29
	;; [unrolled: 1-line block ×3, first 2 shown]
	s_waitcnt lgkmcnt(3)
	v_lshlrev_b64 v[0:1], 1, v[0:1]
	v_add_co_u32_e32 v0, vcc, s58, v0
	v_addc_co_u32_e32 v1, vcc, v30, v1, vcc
	v_add_co_u32_e32 v0, vcc, v0, v16
	v_addc_co_u32_e32 v1, vcc, 0, v1, vcc
	v_cmp_lt_i16_e32 vcc, -1, v38
	global_store_short v[0:1], v5, off offset:2560
	v_cndmask_b32_e64 v0, v12, -1, vcc
	v_xor_b32_e32 v5, v0, v38
	s_waitcnt lgkmcnt(2)
	v_lshlrev_b64 v[0:1], 1, v[6:7]
	v_mov_b32_e32 v6, s59
	v_add_co_u32_e32 v0, vcc, s58, v0
	v_addc_co_u32_e32 v1, vcc, v6, v1, vcc
	v_add_co_u32_e32 v0, vcc, v0, v16
	v_addc_co_u32_e32 v1, vcc, 0, v1, vcc
	v_cmp_lt_i16_e32 vcc, -1, v31
	global_store_short v[0:1], v5, off offset:3072
	v_cndmask_b32_e64 v0, v12, -1, vcc
	v_xor_b32_e32 v5, v0, v31
	s_waitcnt lgkmcnt(1)
	v_lshlrev_b64 v[0:1], 1, v[8:9]
	v_add_co_u32_e32 v0, vcc, s58, v0
	v_addc_co_u32_e32 v1, vcc, v6, v1, vcc
	v_add_co_u32_e32 v0, vcc, v0, v16
	v_addc_co_u32_e32 v1, vcc, 0, v1, vcc
	v_cmp_lt_i16_e32 vcc, -1, v39
	global_store_short v[0:1], v5, off offset:3584
	v_cndmask_b32_e64 v0, v12, -1, vcc
	v_xor_b32_e32 v5, v0, v39
	s_waitcnt lgkmcnt(0)
	v_lshlrev_b64 v[0:1], 1, v[26:27]
	v_or_b32_e32 v16, 0x800, v2
	v_add_co_u32_e32 v0, vcc, s58, v0
	v_addc_co_u32_e32 v1, vcc, v6, v1, vcc
	v_lshlrev_b32_e32 v6, 1, v16
	v_add_co_u32_e32 v0, vcc, v0, v6
	v_addc_co_u32_e32 v1, vcc, 0, v1, vcc
	v_cmp_ne_u16_e32 vcc, s0, v34
	global_store_short v[0:1], v5, off
	v_cndmask_b32_e32 v0, v12, v34, vcc
	v_lshrrev_b32_sdwa v0, s68, v0 dst_sel:DWORD dst_unused:UNUSED_PAD src0_sel:DWORD src1_sel:WORD_0
	v_cmp_lt_i16_e32 vcc, -1, v34
	v_and_b32_e32 v0, s9, v0
	v_cndmask_b32_e64 v1, v12, -1, vcc
	v_cmp_ne_u16_e32 vcc, s0, v40
	v_lshlrev_b32_e32 v57, 3, v0
	v_cndmask_b32_e32 v0, v12, v40, vcc
	v_lshrrev_b32_sdwa v0, s68, v0 dst_sel:DWORD dst_unused:UNUSED_PAD src0_sel:DWORD src1_sel:WORD_0
	v_and_b32_e32 v0, s9, v0
	v_cmp_ne_u16_e32 vcc, s0, v35
	v_lshlrev_b32_e32 v58, 3, v0
	v_cndmask_b32_e32 v0, v12, v35, vcc
	v_xor_b32_e32 v5, v1, v34
	v_lshrrev_b32_sdwa v6, s68, v0 dst_sel:DWORD dst_unused:UNUSED_PAD src0_sel:DWORD src1_sel:WORD_0
	ds_read_b64 v[0:1], v57
	v_mov_b32_e32 v26, s59
	v_and_b32_e32 v6, s9, v6
	v_lshlrev_b32_e32 v59, 3, v6
	ds_read_b64 v[6:7], v58
	ds_read_b64 v[8:9], v59
	s_waitcnt lgkmcnt(2)
	v_lshlrev_b64 v[0:1], 1, v[0:1]
	v_add_co_u32_e32 v0, vcc, s58, v0
	v_addc_co_u32_e32 v1, vcc, v26, v1, vcc
	v_lshlrev_b32_e32 v26, 1, v56
	v_add_co_u32_e32 v0, vcc, v0, v26
	v_addc_co_u32_e32 v1, vcc, 0, v1, vcc
	v_cmp_lt_i16_e32 vcc, -1, v40
	global_store_short v[0:1], v5, off
	v_cndmask_b32_e64 v0, v12, -1, vcc
	v_xor_b32_e32 v5, v0, v40
	s_waitcnt lgkmcnt(1)
	v_lshlrev_b64 v[0:1], 1, v[6:7]
	v_mov_b32_e32 v6, s59
	v_add_co_u32_e32 v0, vcc, s58, v0
	v_addc_co_u32_e32 v1, vcc, v6, v1, vcc
	v_lshlrev_b32_e32 v6, 1, v60
	v_add_co_u32_e32 v0, vcc, v0, v6
	v_addc_co_u32_e32 v1, vcc, 0, v1, vcc
	v_cmp_lt_i16_e32 vcc, -1, v35
	global_store_short v[0:1], v5, off
	v_cndmask_b32_e64 v0, v12, -1, vcc
	v_xor_b32_e32 v5, v0, v35
	s_waitcnt lgkmcnt(0)
	v_lshlrev_b64 v[0:1], 1, v[8:9]
	v_mov_b32_e32 v6, s59
	v_add_co_u32_e32 v0, vcc, s58, v0
	v_addc_co_u32_e32 v1, vcc, v6, v1, vcc
	v_lshlrev_b32_e32 v6, 1, v61
	v_add_co_u32_e32 v0, vcc, v0, v6
	s_lshl_b64 s[0:1], s[54:55], 3
	v_addc_co_u32_e32 v1, vcc, 0, v1, vcc
	s_add_u32 s0, s60, s0
	global_store_short v[0:1], v5, off
	s_addc_u32 s1, s61, s1
	v_lshlrev_b32_e32 v0, 3, v10
	v_mov_b32_e32 v1, s1
	v_add_co_u32_e32 v0, vcc, s0, v0
	v_addc_co_u32_e32 v1, vcc, 0, v1, vcc
	v_add_co_u32_e32 v0, vcc, v0, v3
	v_addc_co_u32_e32 v1, vcc, 0, v1, vcc
	global_load_dwordx2 v[6:7], v[0:1], off
	global_load_dwordx2 v[8:9], v[0:1], off offset:512
	global_load_dwordx2 v[26:27], v[0:1], off offset:1024
	global_load_dwordx2 v[30:31], v[0:1], off offset:1536
	global_load_dwordx2 v[34:35], v[0:1], off offset:2048
	global_load_dwordx2 v[36:37], v[0:1], off offset:2560
	global_load_dwordx2 v[38:39], v[0:1], off offset:3072
	global_load_dwordx2 v[40:41], v[0:1], off offset:3584
	s_movk_i32 s0, 0x1000
	v_add_co_u32_e32 v0, vcc, s0, v0
	v_addc_co_u32_e32 v1, vcc, 0, v1, vcc
	global_load_dwordx2 v[42:43], v[0:1], off
	global_load_dwordx2 v[44:45], v[0:1], off offset:512
	global_load_dwordx2 v[46:47], v[0:1], off offset:1024
	;; [unrolled: 1-line block ×3, first 2 shown]
	v_lshlrev_b32_e32 v0, 3, v28
	s_barrier
	v_lshlrev_b32_e32 v16, 3, v16
	s_add_i32 s8, s8, -1
	v_mov_b32_e32 v3, 0
	s_cmp_eq_u32 s6, s8
	v_mov_b32_e32 v5, v3
	s_cselect_b64 s[0:1], -1, 0
	s_waitcnt vmcnt(11)
	ds_write_b64 v0, v[6:7] offset:2048
	v_lshlrev_b32_e32 v0, 3, v25
	s_waitcnt vmcnt(10)
	ds_write_b64 v0, v[8:9] offset:2048
	v_lshlrev_b32_e32 v0, 3, v23
	s_waitcnt vmcnt(9)
	ds_write_b64 v0, v[26:27] offset:2048
	v_lshlrev_b32_e32 v0, 3, v22
	s_waitcnt vmcnt(8)
	ds_write_b64 v0, v[30:31] offset:2048
	v_lshlrev_b32_e32 v0, 3, v20
	s_waitcnt vmcnt(7)
	ds_write_b64 v0, v[34:35] offset:2048
	v_lshlrev_b32_e32 v0, 3, v19
	s_waitcnt vmcnt(6)
	ds_write_b64 v0, v[36:37] offset:2048
	v_lshlrev_b32_e32 v0, 3, v18
	s_waitcnt vmcnt(5)
	ds_write_b64 v0, v[38:39] offset:2048
	v_lshlrev_b32_e32 v0, 3, v17
	s_waitcnt vmcnt(4)
	ds_write_b64 v0, v[40:41] offset:2048
	v_lshlrev_b32_e32 v0, 3, v15
	s_waitcnt vmcnt(3)
	ds_write_b64 v0, v[42:43] offset:2048
	v_lshlrev_b32_e32 v0, 3, v14
	s_waitcnt vmcnt(2)
	ds_write_b64 v0, v[44:45] offset:2048
	v_lshlrev_b32_e32 v0, 3, v13
	s_waitcnt vmcnt(1)
	ds_write_b64 v0, v[46:47] offset:2048
	v_lshlrev_b32_e32 v0, 3, v11
	s_waitcnt vmcnt(0)
	ds_write_b64 v0, v[48:49] offset:2048
	s_waitcnt lgkmcnt(0)
	s_barrier
	ds_read_b64 v[0:1], v50
	ds_read2st64_b64 v[6:9], v33 offset0:4 offset1:8
	ds_read_b64 v[10:11], v51
	ds_read_b64 v[12:13], v53
	;; [unrolled: 1-line block ×3, first 2 shown]
	s_waitcnt lgkmcnt(4)
	v_lshlrev_b64 v[0:1], 3, v[0:1]
	v_mov_b32_e32 v17, s63
	v_add_co_u32_e32 v0, vcc, s62, v0
	v_addc_co_u32_e32 v1, vcc, v17, v1, vcc
	v_add_co_u32_e32 v0, vcc, v0, v33
	v_addc_co_u32_e32 v1, vcc, 0, v1, vcc
	s_waitcnt lgkmcnt(3)
	global_store_dwordx2 v[0:1], v[6:7], off
	s_waitcnt lgkmcnt(2)
	v_lshlrev_b64 v[0:1], 3, v[10:11]
	v_mov_b32_e32 v6, s63
	v_add_co_u32_e32 v0, vcc, s62, v0
	v_addc_co_u32_e32 v1, vcc, v6, v1, vcc
	v_add_co_u32_e32 v0, vcc, v0, v33
	v_addc_co_u32_e32 v1, vcc, 0, v1, vcc
	global_store_dwordx2 v[0:1], v[8:9], off offset:2048
	ds_read2st64_b64 v[6:9], v33 offset0:12 offset1:16
	s_waitcnt lgkmcnt(2)
	v_lshlrev_b64 v[0:1], 3, v[12:13]
	v_mov_b32_e32 v10, s63
	v_add_co_u32_e32 v0, vcc, s62, v0
	v_addc_co_u32_e32 v1, vcc, v10, v1, vcc
	v_add_u32_e32 v10, 0x1000, v33
	v_add_co_u32_e32 v0, vcc, v0, v10
	v_addc_co_u32_e32 v1, vcc, 0, v1, vcc
	s_waitcnt lgkmcnt(0)
	global_store_dwordx2 v[0:1], v[6:7], off
	v_lshlrev_b64 v[0:1], 3, v[14:15]
	v_mov_b32_e32 v6, s63
	v_add_co_u32_e32 v0, vcc, s62, v0
	v_addc_co_u32_e32 v1, vcc, v6, v1, vcc
	v_add_u32_e32 v6, 0x1800, v33
	v_add_co_u32_e32 v0, vcc, v0, v6
	v_addc_co_u32_e32 v1, vcc, 0, v1, vcc
	global_store_dwordx2 v[0:1], v[8:9], off
	ds_read_b64 v[0:1], v54
	ds_read2st64_b64 v[6:9], v33 offset0:20 offset1:24
	ds_read_b64 v[10:11], v21
	ds_read_b64 v[12:13], v24
	;; [unrolled: 1-line block ×3, first 2 shown]
	s_waitcnt lgkmcnt(4)
	v_lshlrev_b64 v[0:1], 3, v[0:1]
	v_add_co_u32_e32 v0, vcc, s62, v0
	v_addc_co_u32_e32 v1, vcc, v17, v1, vcc
	v_or_b32_e32 v17, 0x2000, v33
	v_add_co_u32_e32 v0, vcc, v0, v17
	v_addc_co_u32_e32 v1, vcc, 0, v1, vcc
	s_waitcnt lgkmcnt(3)
	global_store_dwordx2 v[0:1], v[6:7], off
	s_waitcnt lgkmcnt(2)
	v_lshlrev_b64 v[0:1], 3, v[10:11]
	v_mov_b32_e32 v6, s63
	v_add_co_u32_e32 v0, vcc, s62, v0
	v_addc_co_u32_e32 v1, vcc, v6, v1, vcc
	v_add_u32_e32 v6, 0x2800, v33
	v_add_co_u32_e32 v0, vcc, v0, v6
	v_addc_co_u32_e32 v1, vcc, 0, v1, vcc
	global_store_dwordx2 v[0:1], v[8:9], off
	ds_read2st64_b64 v[6:9], v33 offset0:28 offset1:32
	s_waitcnt lgkmcnt(2)
	v_lshlrev_b64 v[0:1], 3, v[12:13]
	v_mov_b32_e32 v10, s63
	v_add_co_u32_e32 v0, vcc, s62, v0
	v_addc_co_u32_e32 v1, vcc, v10, v1, vcc
	v_add_u32_e32 v10, 0x3000, v33
	v_add_co_u32_e32 v0, vcc, v0, v10
	v_addc_co_u32_e32 v1, vcc, 0, v1, vcc
	s_waitcnt lgkmcnt(0)
	global_store_dwordx2 v[0:1], v[6:7], off
	v_lshlrev_b64 v[0:1], 3, v[14:15]
	v_mov_b32_e32 v6, s63
	v_add_co_u32_e32 v0, vcc, s62, v0
	v_addc_co_u32_e32 v1, vcc, v6, v1, vcc
	v_add_u32_e32 v6, 0x3800, v33
	v_add_co_u32_e32 v0, vcc, v0, v6
	v_addc_co_u32_e32 v1, vcc, 0, v1, vcc
	global_store_dwordx2 v[0:1], v[8:9], off
	ds_read_b64 v[0:1], v55
	ds_read2st64_b64 v[6:9], v33 offset0:36 offset1:40
	ds_read_b64 v[10:11], v57
	ds_read_b64 v[12:13], v58
	;; [unrolled: 1-line block ×3, first 2 shown]
	s_waitcnt lgkmcnt(4)
	v_lshlrev_b64 v[0:1], 3, v[0:1]
	v_mov_b32_e32 v17, s63
	v_add_co_u32_e32 v0, vcc, s62, v0
	v_addc_co_u32_e32 v1, vcc, v17, v1, vcc
	v_add_co_u32_e32 v0, vcc, v0, v16
	v_addc_co_u32_e32 v1, vcc, 0, v1, vcc
	s_waitcnt lgkmcnt(3)
	global_store_dwordx2 v[0:1], v[6:7], off
	s_waitcnt lgkmcnt(2)
	v_lshlrev_b64 v[0:1], 3, v[10:11]
	v_mov_b32_e32 v6, s63
	v_add_co_u32_e32 v0, vcc, s62, v0
	v_addc_co_u32_e32 v1, vcc, v6, v1, vcc
	v_lshlrev_b32_e32 v6, 3, v56
	v_add_co_u32_e32 v0, vcc, v0, v6
	v_addc_co_u32_e32 v1, vcc, 0, v1, vcc
	global_store_dwordx2 v[0:1], v[8:9], off
	ds_read2st64_b64 v[6:9], v33 offset0:44 offset1:48
	s_waitcnt lgkmcnt(2)
	v_lshlrev_b64 v[0:1], 3, v[12:13]
	v_mov_b32_e32 v10, s63
	v_add_co_u32_e32 v0, vcc, s62, v0
	v_addc_co_u32_e32 v1, vcc, v10, v1, vcc
	v_lshlrev_b32_e32 v10, 3, v60
	v_add_co_u32_e32 v0, vcc, v0, v10
	v_addc_co_u32_e32 v1, vcc, 0, v1, vcc
	s_waitcnt lgkmcnt(0)
	global_store_dwordx2 v[0:1], v[6:7], off
	v_lshlrev_b64 v[0:1], 3, v[14:15]
	v_mov_b32_e32 v6, s63
	v_add_co_u32_e32 v0, vcc, s62, v0
	v_addc_co_u32_e32 v1, vcc, v6, v1, vcc
	v_lshlrev_b32_e32 v6, 3, v61
	v_add_co_u32_e32 v0, vcc, v0, v6
	v_addc_co_u32_e32 v1, vcc, 0, v1, vcc
	global_store_dwordx2 v[0:1], v[8:9], off
.LBB199_171:
	s_and_b64 vcc, exec, s[0:1]
	s_cbranch_vccnz .LBB199_173
; %bb.172:
	s_endpgm
.LBB199_173:
	v_lshlrev_b64 v[0:1], 3, v[2:3]
	ds_read_b64 v[2:3], v33
	v_add_co_u32_e32 v4, vcc, v4, v32
	v_addc_co_u32_e32 v5, vcc, 0, v5, vcc
	v_mov_b32_e32 v6, s67
	v_add_co_u32_e32 v0, vcc, s66, v0
	v_addc_co_u32_e32 v1, vcc, v6, v1, vcc
	s_waitcnt lgkmcnt(0)
	v_add_co_u32_e32 v2, vcc, v4, v2
	v_addc_co_u32_e32 v3, vcc, v5, v3, vcc
	global_store_dwordx2 v[0:1], v[2:3], off
	s_endpgm
.LBB199_174:
	global_load_dwordx2 v[6:7], v[30:31], off
	s_or_b64 exec, exec, s[52:53]
                                        ; implicit-def: $vgpr8_vgpr9
	s_and_saveexec_b64 s[52:53], s[0:1]
	s_cbranch_execz .LBB199_91
.LBB199_175:
	global_load_dwordx2 v[8:9], v[30:31], off offset:512
	s_or_b64 exec, exec, s[52:53]
                                        ; implicit-def: $vgpr10_vgpr11
	s_and_saveexec_b64 s[0:1], s[2:3]
	s_cbranch_execz .LBB199_92
.LBB199_176:
	global_load_dwordx2 v[10:11], v[30:31], off offset:1024
	s_or_b64 exec, exec, s[0:1]
                                        ; implicit-def: $vgpr12_vgpr13
	s_and_saveexec_b64 s[0:1], s[50:51]
	s_cbranch_execz .LBB199_93
.LBB199_177:
	global_load_dwordx2 v[12:13], v[30:31], off offset:1536
	s_or_b64 exec, exec, s[0:1]
                                        ; implicit-def: $vgpr14_vgpr15
	s_and_saveexec_b64 s[0:1], s[8:9]
	s_cbranch_execz .LBB199_94
.LBB199_178:
	global_load_dwordx2 v[14:15], v[30:31], off offset:2048
	s_or_b64 exec, exec, s[0:1]
                                        ; implicit-def: $vgpr16_vgpr17
	s_and_saveexec_b64 s[0:1], s[12:13]
	s_cbranch_execz .LBB199_95
.LBB199_179:
	global_load_dwordx2 v[16:17], v[30:31], off offset:2560
	s_or_b64 exec, exec, s[0:1]
                                        ; implicit-def: $vgpr18_vgpr19
	s_and_saveexec_b64 s[0:1], s[16:17]
	s_cbranch_execz .LBB199_96
.LBB199_180:
	global_load_dwordx2 v[18:19], v[30:31], off offset:3072
	s_or_b64 exec, exec, s[0:1]
                                        ; implicit-def: $vgpr20_vgpr21
	s_and_saveexec_b64 s[0:1], s[20:21]
	s_cbranch_execz .LBB199_97
.LBB199_181:
	global_load_dwordx2 v[20:21], v[30:31], off offset:3584
	s_or_b64 exec, exec, s[0:1]
                                        ; implicit-def: $vgpr22_vgpr23
	s_and_saveexec_b64 s[0:1], s[22:23]
	s_cbranch_execz .LBB199_98
.LBB199_182:
	v_add_co_u32_e32 v22, vcc, 0x1000, v30
	v_addc_co_u32_e32 v23, vcc, 0, v31, vcc
	global_load_dwordx2 v[22:23], v[22:23], off
	s_or_b64 exec, exec, s[0:1]
                                        ; implicit-def: $vgpr24_vgpr25
	s_and_saveexec_b64 s[0:1], s[18:19]
	s_cbranch_execz .LBB199_99
.LBB199_183:
	v_add_co_u32_e32 v24, vcc, 0x1000, v30
	v_addc_co_u32_e32 v25, vcc, 0, v31, vcc
	global_load_dwordx2 v[24:25], v[24:25], off offset:512
	s_or_b64 exec, exec, s[0:1]
                                        ; implicit-def: $vgpr26_vgpr27
	s_and_saveexec_b64 s[0:1], s[14:15]
	s_cbranch_execz .LBB199_100
.LBB199_184:
	v_add_co_u32_e32 v26, vcc, 0x1000, v30
	v_addc_co_u32_e32 v27, vcc, 0, v31, vcc
	global_load_dwordx2 v[26:27], v[26:27], off offset:1024
	s_or_b64 exec, exec, s[0:1]
                                        ; implicit-def: $vgpr28_vgpr29
	s_and_saveexec_b64 s[0:1], s[10:11]
	s_cbranch_execz .LBB199_101
.LBB199_185:
	v_add_co_u32_e32 v28, vcc, 0x1000, v30
	v_addc_co_u32_e32 v29, vcc, 0, v31, vcc
	global_load_dwordx2 v[28:29], v[28:29], off offset:1536
	s_or_b64 exec, exec, s[0:1]
                                        ; implicit-def: $vgpr65
	s_and_saveexec_b64 s[0:1], s[24:25]
	s_cbranch_execz .LBB199_102
.LBB199_186:
	v_lshlrev_b32_e32 v30, 1, v2
	ds_read_u16 v30, v30 offset:2048
	s_movk_i32 s2, 0x7fff
	v_mov_b32_e32 v31, 0xffff8000
	s_waitcnt lgkmcnt(0)
	v_cmp_ne_u16_e32 vcc, s2, v30
	v_cndmask_b32_e32 v30, v31, v30, vcc
	v_lshrrev_b32_sdwa v30, s68, v30 dst_sel:DWORD dst_unused:UNUSED_PAD src0_sel:DWORD src1_sel:WORD_0
	v_and_b32_e32 v65, s74, v30
	s_or_b64 exec, exec, s[0:1]
                                        ; implicit-def: $vgpr64
	s_and_saveexec_b64 s[0:1], s[26:27]
	s_cbranch_execz .LBB199_103
.LBB199_187:
	v_lshlrev_b32_e32 v30, 1, v2
	ds_read_u16 v30, v30 offset:2560
	s_movk_i32 s2, 0x7fff
	v_mov_b32_e32 v31, 0xffff8000
	s_waitcnt lgkmcnt(0)
	v_cmp_ne_u16_e32 vcc, s2, v30
	v_cndmask_b32_e32 v30, v31, v30, vcc
	v_lshrrev_b32_sdwa v30, s68, v30 dst_sel:DWORD dst_unused:UNUSED_PAD src0_sel:DWORD src1_sel:WORD_0
	v_and_b32_e32 v64, s74, v30
	s_or_b64 exec, exec, s[0:1]
                                        ; implicit-def: $vgpr63
	s_and_saveexec_b64 s[0:1], s[28:29]
	s_cbranch_execz .LBB199_104
.LBB199_188:
	v_lshlrev_b32_e32 v30, 1, v2
	ds_read_u16 v30, v30 offset:3072
	s_movk_i32 s2, 0x7fff
	v_mov_b32_e32 v31, 0xffff8000
	s_waitcnt lgkmcnt(0)
	v_cmp_ne_u16_e32 vcc, s2, v30
	v_cndmask_b32_e32 v30, v31, v30, vcc
	v_lshrrev_b32_sdwa v30, s68, v30 dst_sel:DWORD dst_unused:UNUSED_PAD src0_sel:DWORD src1_sel:WORD_0
	v_and_b32_e32 v63, s74, v30
	s_or_b64 exec, exec, s[0:1]
                                        ; implicit-def: $vgpr62
	s_and_saveexec_b64 s[0:1], s[30:31]
	s_cbranch_execz .LBB199_105
.LBB199_189:
	v_lshlrev_b32_e32 v30, 1, v2
	ds_read_u16 v30, v30 offset:3584
	s_movk_i32 s2, 0x7fff
	v_mov_b32_e32 v31, 0xffff8000
	s_waitcnt lgkmcnt(0)
	v_cmp_ne_u16_e32 vcc, s2, v30
	v_cndmask_b32_e32 v30, v31, v30, vcc
	v_lshrrev_b32_sdwa v30, s68, v30 dst_sel:DWORD dst_unused:UNUSED_PAD src0_sel:DWORD src1_sel:WORD_0
	v_and_b32_e32 v62, s74, v30
	s_or_b64 exec, exec, s[0:1]
                                        ; implicit-def: $vgpr61
	s_and_saveexec_b64 s[0:1], s[34:35]
	s_cbranch_execz .LBB199_106
.LBB199_190:
	v_lshlrev_b32_e32 v30, 1, v2
	ds_read_u16 v30, v30 offset:4096
	s_movk_i32 s2, 0x7fff
	v_mov_b32_e32 v31, 0xffff8000
	s_waitcnt lgkmcnt(0)
	v_cmp_ne_u16_e32 vcc, s2, v30
	v_cndmask_b32_e32 v30, v31, v30, vcc
	v_lshrrev_b32_sdwa v30, s68, v30 dst_sel:DWORD dst_unused:UNUSED_PAD src0_sel:DWORD src1_sel:WORD_0
	v_and_b32_e32 v61, s74, v30
	s_or_b64 exec, exec, s[0:1]
                                        ; implicit-def: $vgpr60
	s_and_saveexec_b64 s[0:1], s[36:37]
	s_cbranch_execz .LBB199_107
.LBB199_191:
	v_lshlrev_b32_e32 v30, 1, v2
	ds_read_u16 v30, v30 offset:4608
	s_movk_i32 s2, 0x7fff
	v_mov_b32_e32 v31, 0xffff8000
	s_waitcnt lgkmcnt(0)
	v_cmp_ne_u16_e32 vcc, s2, v30
	v_cndmask_b32_e32 v30, v31, v30, vcc
	v_lshrrev_b32_sdwa v30, s68, v30 dst_sel:DWORD dst_unused:UNUSED_PAD src0_sel:DWORD src1_sel:WORD_0
	v_and_b32_e32 v60, s74, v30
	s_or_b64 exec, exec, s[0:1]
                                        ; implicit-def: $vgpr59
	s_and_saveexec_b64 s[0:1], s[38:39]
	s_cbranch_execz .LBB199_108
.LBB199_192:
	v_lshlrev_b32_e32 v30, 1, v2
	ds_read_u16 v30, v30 offset:5120
	s_movk_i32 s2, 0x7fff
	v_mov_b32_e32 v31, 0xffff8000
	s_waitcnt lgkmcnt(0)
	v_cmp_ne_u16_e32 vcc, s2, v30
	v_cndmask_b32_e32 v30, v31, v30, vcc
	v_lshrrev_b32_sdwa v30, s68, v30 dst_sel:DWORD dst_unused:UNUSED_PAD src0_sel:DWORD src1_sel:WORD_0
	v_and_b32_e32 v59, s74, v30
	s_or_b64 exec, exec, s[0:1]
                                        ; implicit-def: $vgpr58
	s_and_saveexec_b64 s[0:1], s[40:41]
	s_cbranch_execz .LBB199_109
.LBB199_193:
	v_lshlrev_b32_e32 v30, 1, v2
	ds_read_u16 v30, v30 offset:5632
	s_movk_i32 s2, 0x7fff
	v_mov_b32_e32 v31, 0xffff8000
	s_waitcnt lgkmcnt(0)
	v_cmp_ne_u16_e32 vcc, s2, v30
	v_cndmask_b32_e32 v30, v31, v30, vcc
	v_lshrrev_b32_sdwa v30, s68, v30 dst_sel:DWORD dst_unused:UNUSED_PAD src0_sel:DWORD src1_sel:WORD_0
	v_and_b32_e32 v58, s74, v30
	s_or_b64 exec, exec, s[0:1]
                                        ; implicit-def: $vgpr57
	s_and_saveexec_b64 s[0:1], s[42:43]
	s_cbranch_execnz .LBB199_110
	s_branch .LBB199_111
.LBB199_194:
	v_lshlrev_b32_e32 v31, 1, v2
	ds_read_u16 v31, v31 offset:6656
	s_movk_i32 s2, 0x7fff
	v_mov_b32_e32 v56, 0xffff8000
	s_waitcnt lgkmcnt(0)
	v_cmp_ne_u16_e32 vcc, s2, v31
	v_cndmask_b32_e32 v31, v56, v31, vcc
	v_lshrrev_b32_sdwa v31, s68, v31 dst_sel:DWORD dst_unused:UNUSED_PAD src0_sel:DWORD src1_sel:WORD_0
	v_and_b32_e32 v56, s74, v31
	s_or_b64 exec, exec, s[0:1]
	s_and_saveexec_b64 s[0:1], s[46:47]
	s_cbranch_execz .LBB199_113
.LBB199_195:
	v_lshlrev_b32_e32 v30, 1, v2
	ds_read_u16 v30, v30 offset:7168
	s_movk_i32 s2, 0x7fff
	v_mov_b32_e32 v31, 0xffff8000
	s_waitcnt lgkmcnt(0)
	v_cmp_ne_u16_e32 vcc, s2, v30
	v_cndmask_b32_e32 v30, v31, v30, vcc
	v_lshrrev_b32_sdwa v30, s68, v30 dst_sel:DWORD dst_unused:UNUSED_PAD src0_sel:DWORD src1_sel:WORD_0
	v_and_b32_e32 v30, s74, v30
	s_or_b64 exec, exec, s[0:1]
	v_mov_b32_e32 v31, 0
	s_and_saveexec_b64 s[0:1], s[48:49]
	s_cbranch_execnz .LBB199_114
	s_branch .LBB199_115
.LBB199_196:
	v_lshlrev_b32_e32 v6, 3, v65
	ds_read_b64 v[6:7], v6
	ds_read_b64 v[8:9], v33 offset:2048
	v_mov_b32_e32 v10, s63
	s_waitcnt lgkmcnt(1)
	v_lshlrev_b64 v[6:7], 3, v[6:7]
	v_add_co_u32_e32 v6, vcc, s62, v6
	v_addc_co_u32_e32 v7, vcc, v10, v7, vcc
	v_add_co_u32_e32 v6, vcc, v6, v33
	v_addc_co_u32_e32 v7, vcc, 0, v7, vcc
	s_waitcnt lgkmcnt(0)
	global_store_dwordx2 v[6:7], v[8:9], off
	s_or_b64 exec, exec, s[0:1]
	s_and_saveexec_b64 s[0:1], s[26:27]
	s_cbranch_execz .LBB199_117
.LBB199_197:
	v_lshlrev_b32_e32 v6, 3, v64
	ds_read_b64 v[6:7], v6
	v_lshlrev_b32_e32 v10, 3, v2
	ds_read_b64 v[8:9], v10 offset:4096
	v_mov_b32_e32 v11, s63
	s_waitcnt lgkmcnt(1)
	v_lshlrev_b64 v[6:7], 3, v[6:7]
	v_add_co_u32_e32 v6, vcc, s62, v6
	v_addc_co_u32_e32 v7, vcc, v11, v7, vcc
	v_add_co_u32_e32 v6, vcc, v6, v10
	v_addc_co_u32_e32 v7, vcc, 0, v7, vcc
	s_waitcnt lgkmcnt(0)
	global_store_dwordx2 v[6:7], v[8:9], off offset:2048
	s_or_b64 exec, exec, s[0:1]
	s_and_saveexec_b64 s[0:1], s[28:29]
	s_cbranch_execz .LBB199_118
.LBB199_198:
	v_lshlrev_b32_e32 v6, 3, v63
	ds_read_b64 v[6:7], v6
	v_lshlrev_b32_e32 v8, 3, v2
	ds_read_b64 v[8:9], v8 offset:6144
	v_mov_b32_e32 v10, s63
	s_waitcnt lgkmcnt(1)
	v_lshlrev_b64 v[6:7], 3, v[6:7]
	v_add_co_u32_e32 v6, vcc, s62, v6
	v_addc_co_u32_e32 v7, vcc, v10, v7, vcc
	v_lshlrev_b32_e32 v10, 3, v46
	v_add_co_u32_e32 v6, vcc, v6, v10
	v_addc_co_u32_e32 v7, vcc, 0, v7, vcc
	s_waitcnt lgkmcnt(0)
	global_store_dwordx2 v[6:7], v[8:9], off
	s_or_b64 exec, exec, s[0:1]
	s_and_saveexec_b64 s[0:1], s[30:31]
	s_cbranch_execz .LBB199_119
.LBB199_199:
	v_lshlrev_b32_e32 v6, 3, v62
	ds_read_b64 v[6:7], v6
	v_lshlrev_b32_e32 v8, 3, v2
	ds_read_b64 v[8:9], v8 offset:8192
	v_mov_b32_e32 v10, s63
	s_waitcnt lgkmcnt(1)
	v_lshlrev_b64 v[6:7], 3, v[6:7]
	v_add_co_u32_e32 v6, vcc, s62, v6
	v_addc_co_u32_e32 v7, vcc, v10, v7, vcc
	v_lshlrev_b32_e32 v10, 3, v47
	v_add_co_u32_e32 v6, vcc, v6, v10
	v_addc_co_u32_e32 v7, vcc, 0, v7, vcc
	s_waitcnt lgkmcnt(0)
	global_store_dwordx2 v[6:7], v[8:9], off
	s_or_b64 exec, exec, s[0:1]
	s_and_saveexec_b64 s[0:1], s[34:35]
	s_cbranch_execz .LBB199_120
.LBB199_200:
	v_lshlrev_b32_e32 v6, 3, v61
	ds_read_b64 v[6:7], v6
	v_lshlrev_b32_e32 v8, 3, v2
	ds_read_b64 v[8:9], v8 offset:10240
	v_mov_b32_e32 v10, s63
	s_waitcnt lgkmcnt(1)
	v_lshlrev_b64 v[6:7], 3, v[6:7]
	v_add_co_u32_e32 v6, vcc, s62, v6
	v_addc_co_u32_e32 v7, vcc, v10, v7, vcc
	v_lshlrev_b32_e32 v10, 3, v48
	v_add_co_u32_e32 v6, vcc, v6, v10
	v_addc_co_u32_e32 v7, vcc, 0, v7, vcc
	s_waitcnt lgkmcnt(0)
	global_store_dwordx2 v[6:7], v[8:9], off
	s_or_b64 exec, exec, s[0:1]
	s_and_saveexec_b64 s[0:1], s[36:37]
	s_cbranch_execz .LBB199_121
.LBB199_201:
	v_lshlrev_b32_e32 v6, 3, v60
	ds_read_b64 v[6:7], v6
	v_lshlrev_b32_e32 v8, 3, v2
	ds_read_b64 v[8:9], v8 offset:12288
	v_mov_b32_e32 v10, s63
	s_waitcnt lgkmcnt(1)
	v_lshlrev_b64 v[6:7], 3, v[6:7]
	v_add_co_u32_e32 v6, vcc, s62, v6
	v_addc_co_u32_e32 v7, vcc, v10, v7, vcc
	v_lshlrev_b32_e32 v10, 3, v49
	v_add_co_u32_e32 v6, vcc, v6, v10
	v_addc_co_u32_e32 v7, vcc, 0, v7, vcc
	s_waitcnt lgkmcnt(0)
	global_store_dwordx2 v[6:7], v[8:9], off
	s_or_b64 exec, exec, s[0:1]
	s_and_saveexec_b64 s[0:1], s[38:39]
	s_cbranch_execz .LBB199_122
.LBB199_202:
	v_lshlrev_b32_e32 v6, 3, v59
	ds_read_b64 v[6:7], v6
	v_lshlrev_b32_e32 v8, 3, v2
	ds_read_b64 v[8:9], v8 offset:14336
	v_mov_b32_e32 v10, s63
	s_waitcnt lgkmcnt(1)
	v_lshlrev_b64 v[6:7], 3, v[6:7]
	v_add_co_u32_e32 v6, vcc, s62, v6
	v_addc_co_u32_e32 v7, vcc, v10, v7, vcc
	v_lshlrev_b32_e32 v10, 3, v50
	v_add_co_u32_e32 v6, vcc, v6, v10
	v_addc_co_u32_e32 v7, vcc, 0, v7, vcc
	s_waitcnt lgkmcnt(0)
	global_store_dwordx2 v[6:7], v[8:9], off
	s_or_b64 exec, exec, s[0:1]
	s_and_saveexec_b64 s[0:1], s[40:41]
	s_cbranch_execz .LBB199_123
.LBB199_203:
	v_lshlrev_b32_e32 v6, 3, v58
	ds_read_b64 v[6:7], v6
	v_lshlrev_b32_e32 v8, 3, v2
	ds_read_b64 v[8:9], v8 offset:16384
	v_mov_b32_e32 v10, s63
	s_waitcnt lgkmcnt(1)
	v_lshlrev_b64 v[6:7], 3, v[6:7]
	v_add_co_u32_e32 v6, vcc, s62, v6
	v_addc_co_u32_e32 v7, vcc, v10, v7, vcc
	v_lshlrev_b32_e32 v10, 3, v51
	v_add_co_u32_e32 v6, vcc, v6, v10
	v_addc_co_u32_e32 v7, vcc, 0, v7, vcc
	s_waitcnt lgkmcnt(0)
	global_store_dwordx2 v[6:7], v[8:9], off
	s_or_b64 exec, exec, s[0:1]
	s_and_saveexec_b64 s[0:1], s[42:43]
	s_cbranch_execz .LBB199_124
.LBB199_204:
	v_lshlrev_b32_e32 v6, 3, v57
	ds_read_b64 v[6:7], v6
	v_lshlrev_b32_e32 v8, 3, v2
	ds_read_b64 v[8:9], v8 offset:18432
	v_mov_b32_e32 v10, s63
	s_waitcnt lgkmcnt(1)
	v_lshlrev_b64 v[6:7], 3, v[6:7]
	v_add_co_u32_e32 v6, vcc, s62, v6
	v_addc_co_u32_e32 v7, vcc, v10, v7, vcc
	v_lshlrev_b32_e32 v10, 3, v52
	v_add_co_u32_e32 v6, vcc, v6, v10
	v_addc_co_u32_e32 v7, vcc, 0, v7, vcc
	s_waitcnt lgkmcnt(0)
	global_store_dwordx2 v[6:7], v[8:9], off
	s_or_b64 exec, exec, s[0:1]
	s_and_saveexec_b64 s[0:1], s[44:45]
	s_cbranch_execz .LBB199_125
.LBB199_205:
	v_lshlrev_b32_e32 v6, 3, v56
	ds_read_b64 v[6:7], v6
	v_lshlrev_b32_e32 v8, 3, v2
	ds_read_b64 v[8:9], v8 offset:20480
	v_mov_b32_e32 v10, s63
	s_waitcnt lgkmcnt(1)
	v_lshlrev_b64 v[6:7], 3, v[6:7]
	v_add_co_u32_e32 v6, vcc, s62, v6
	v_addc_co_u32_e32 v7, vcc, v10, v7, vcc
	v_lshlrev_b32_e32 v10, 3, v53
	v_add_co_u32_e32 v6, vcc, v6, v10
	v_addc_co_u32_e32 v7, vcc, 0, v7, vcc
	s_waitcnt lgkmcnt(0)
	global_store_dwordx2 v[6:7], v[8:9], off
	s_or_b64 exec, exec, s[0:1]
	s_and_saveexec_b64 s[0:1], s[46:47]
	s_cbranch_execz .LBB199_126
.LBB199_206:
	v_lshlrev_b32_e32 v6, 3, v30
	ds_read_b64 v[6:7], v6
	v_lshlrev_b32_e32 v8, 3, v2
	ds_read_b64 v[8:9], v8 offset:22528
	v_mov_b32_e32 v10, s63
	s_waitcnt lgkmcnt(1)
	v_lshlrev_b64 v[6:7], 3, v[6:7]
	v_add_co_u32_e32 v6, vcc, s62, v6
	v_addc_co_u32_e32 v7, vcc, v10, v7, vcc
	v_lshlrev_b32_e32 v10, 3, v54
	v_add_co_u32_e32 v6, vcc, v6, v10
	v_addc_co_u32_e32 v7, vcc, 0, v7, vcc
	s_waitcnt lgkmcnt(0)
	global_store_dwordx2 v[6:7], v[8:9], off
	s_or_b64 exec, exec, s[0:1]
	s_and_saveexec_b64 s[0:1], s[48:49]
	s_cbranch_execnz .LBB199_127
	s_branch .LBB199_128
	.section	.rodata,"a",@progbits
	.p2align	6, 0x0
	.amdhsa_kernel _ZN7rocprim17ROCPRIM_304000_NS6detail25onesweep_iteration_kernelINS1_34wrapped_radix_sort_onesweep_configINS0_14default_configE6__halfN2at4cuda3cub6detail10OpaqueTypeILi8EEEEELb0EPS5_SD_PSB_SE_mNS0_19identity_decomposerEEEvT1_T2_T3_T4_jPT5_SL_PNS1_23onesweep_lookback_stateET6_jjj
		.amdhsa_group_segment_fixed_size 26624
		.amdhsa_private_segment_fixed_size 0
		.amdhsa_kernarg_size 336
		.amdhsa_user_sgpr_count 6
		.amdhsa_user_sgpr_private_segment_buffer 1
		.amdhsa_user_sgpr_dispatch_ptr 0
		.amdhsa_user_sgpr_queue_ptr 0
		.amdhsa_user_sgpr_kernarg_segment_ptr 1
		.amdhsa_user_sgpr_dispatch_id 0
		.amdhsa_user_sgpr_flat_scratch_init 0
		.amdhsa_user_sgpr_kernarg_preload_length 0
		.amdhsa_user_sgpr_kernarg_preload_offset 0
		.amdhsa_user_sgpr_private_segment_size 0
		.amdhsa_uses_dynamic_stack 0
		.amdhsa_system_sgpr_private_segment_wavefront_offset 0
		.amdhsa_system_sgpr_workgroup_id_x 1
		.amdhsa_system_sgpr_workgroup_id_y 0
		.amdhsa_system_sgpr_workgroup_id_z 0
		.amdhsa_system_sgpr_workgroup_info 0
		.amdhsa_system_vgpr_workitem_id 2
		.amdhsa_next_free_vgpr 67
		.amdhsa_next_free_sgpr 75
		.amdhsa_accum_offset 68
		.amdhsa_reserve_vcc 1
		.amdhsa_reserve_flat_scratch 0
		.amdhsa_float_round_mode_32 0
		.amdhsa_float_round_mode_16_64 0
		.amdhsa_float_denorm_mode_32 3
		.amdhsa_float_denorm_mode_16_64 3
		.amdhsa_dx10_clamp 1
		.amdhsa_ieee_mode 1
		.amdhsa_fp16_overflow 0
		.amdhsa_tg_split 0
		.amdhsa_exception_fp_ieee_invalid_op 0
		.amdhsa_exception_fp_denorm_src 0
		.amdhsa_exception_fp_ieee_div_zero 0
		.amdhsa_exception_fp_ieee_overflow 0
		.amdhsa_exception_fp_ieee_underflow 0
		.amdhsa_exception_fp_ieee_inexact 0
		.amdhsa_exception_int_div_zero 0
	.end_amdhsa_kernel
	.section	.text._ZN7rocprim17ROCPRIM_304000_NS6detail25onesweep_iteration_kernelINS1_34wrapped_radix_sort_onesweep_configINS0_14default_configE6__halfN2at4cuda3cub6detail10OpaqueTypeILi8EEEEELb0EPS5_SD_PSB_SE_mNS0_19identity_decomposerEEEvT1_T2_T3_T4_jPT5_SL_PNS1_23onesweep_lookback_stateET6_jjj,"axG",@progbits,_ZN7rocprim17ROCPRIM_304000_NS6detail25onesweep_iteration_kernelINS1_34wrapped_radix_sort_onesweep_configINS0_14default_configE6__halfN2at4cuda3cub6detail10OpaqueTypeILi8EEEEELb0EPS5_SD_PSB_SE_mNS0_19identity_decomposerEEEvT1_T2_T3_T4_jPT5_SL_PNS1_23onesweep_lookback_stateET6_jjj,comdat
.Lfunc_end199:
	.size	_ZN7rocprim17ROCPRIM_304000_NS6detail25onesweep_iteration_kernelINS1_34wrapped_radix_sort_onesweep_configINS0_14default_configE6__halfN2at4cuda3cub6detail10OpaqueTypeILi8EEEEELb0EPS5_SD_PSB_SE_mNS0_19identity_decomposerEEEvT1_T2_T3_T4_jPT5_SL_PNS1_23onesweep_lookback_stateET6_jjj, .Lfunc_end199-_ZN7rocprim17ROCPRIM_304000_NS6detail25onesweep_iteration_kernelINS1_34wrapped_radix_sort_onesweep_configINS0_14default_configE6__halfN2at4cuda3cub6detail10OpaqueTypeILi8EEEEELb0EPS5_SD_PSB_SE_mNS0_19identity_decomposerEEEvT1_T2_T3_T4_jPT5_SL_PNS1_23onesweep_lookback_stateET6_jjj
                                        ; -- End function
	.section	.AMDGPU.csdata,"",@progbits
; Kernel info:
; codeLenInByte = 21012
; NumSgprs: 79
; NumVgprs: 67
; NumAgprs: 0
; TotalNumVgprs: 67
; ScratchSize: 0
; MemoryBound: 0
; FloatMode: 240
; IeeeMode: 1
; LDSByteSize: 26624 bytes/workgroup (compile time only)
; SGPRBlocks: 9
; VGPRBlocks: 8
; NumSGPRsForWavesPerEU: 79
; NumVGPRsForWavesPerEU: 67
; AccumOffset: 68
; Occupancy: 2
; WaveLimiterHint : 1
; COMPUTE_PGM_RSRC2:SCRATCH_EN: 0
; COMPUTE_PGM_RSRC2:USER_SGPR: 6
; COMPUTE_PGM_RSRC2:TRAP_HANDLER: 0
; COMPUTE_PGM_RSRC2:TGID_X_EN: 1
; COMPUTE_PGM_RSRC2:TGID_Y_EN: 0
; COMPUTE_PGM_RSRC2:TGID_Z_EN: 0
; COMPUTE_PGM_RSRC2:TIDIG_COMP_CNT: 2
; COMPUTE_PGM_RSRC3_GFX90A:ACCUM_OFFSET: 16
; COMPUTE_PGM_RSRC3_GFX90A:TG_SPLIT: 0
	.text
	.p2alignl 6, 3212836864
	.fill 256, 4, 3212836864
	.type	__hip_cuid_f24fbcf365343398,@object ; @__hip_cuid_f24fbcf365343398
	.section	.bss,"aw",@nobits
	.globl	__hip_cuid_f24fbcf365343398
__hip_cuid_f24fbcf365343398:
	.byte	0                               ; 0x0
	.size	__hip_cuid_f24fbcf365343398, 1

	.ident	"AMD clang version 19.0.0git (https://github.com/RadeonOpenCompute/llvm-project roc-6.4.0 25133 c7fe45cf4b819c5991fe208aaa96edf142730f1d)"
	.section	".note.GNU-stack","",@progbits
	.addrsig
	.addrsig_sym __hip_cuid_f24fbcf365343398
	.amdgpu_metadata
---
amdhsa.kernels:
  - .agpr_count:     0
    .args:
      - .address_space:  global
        .offset:         0
        .size:           8
        .value_kind:     global_buffer
      - .address_space:  global
        .offset:         8
        .size:           8
        .value_kind:     global_buffer
      - .address_space:  global
        .offset:         16
        .size:           8
        .value_kind:     global_buffer
      - .address_space:  global
        .offset:         24
        .size:           8
        .value_kind:     global_buffer
      - .offset:         32
        .size:           4
        .value_kind:     by_value
      - .offset:         36
        .size:           1
        .value_kind:     by_value
      - .offset:         40
        .size:           4
        .value_kind:     by_value
      - .offset:         44
        .size:           4
        .value_kind:     by_value
      - .offset:         48
        .size:           4
        .value_kind:     hidden_block_count_x
      - .offset:         52
        .size:           4
        .value_kind:     hidden_block_count_y
      - .offset:         56
        .size:           4
        .value_kind:     hidden_block_count_z
      - .offset:         60
        .size:           2
        .value_kind:     hidden_group_size_x
      - .offset:         62
        .size:           2
        .value_kind:     hidden_group_size_y
      - .offset:         64
        .size:           2
        .value_kind:     hidden_group_size_z
      - .offset:         66
        .size:           2
        .value_kind:     hidden_remainder_x
      - .offset:         68
        .size:           2
        .value_kind:     hidden_remainder_y
      - .offset:         70
        .size:           2
        .value_kind:     hidden_remainder_z
      - .offset:         88
        .size:           8
        .value_kind:     hidden_global_offset_x
      - .offset:         96
        .size:           8
        .value_kind:     hidden_global_offset_y
      - .offset:         104
        .size:           8
        .value_kind:     hidden_global_offset_z
      - .offset:         112
        .size:           2
        .value_kind:     hidden_grid_dims
    .group_segment_fixed_size: 8192
    .kernarg_segment_align: 8
    .kernarg_segment_size: 304
    .language:       OpenCL C
    .language_version:
      - 2
      - 0
    .max_flat_workgroup_size: 256
    .name:           _ZN7rocprim17ROCPRIM_304000_NS6detail28radix_sort_block_sort_kernelINS1_36wrapped_radix_sort_block_sort_configINS0_13kernel_configILj256ELj4ELj4294967295EEEhN2at4cuda3cub6detail10OpaqueTypeILi8EEEEELb1EPKhPhPKSB_PSB_NS0_19identity_decomposerEEEvT1_T2_T3_T4_jT5_jj
    .private_segment_fixed_size: 0
    .sgpr_count:     48
    .sgpr_spill_count: 0
    .symbol:         _ZN7rocprim17ROCPRIM_304000_NS6detail28radix_sort_block_sort_kernelINS1_36wrapped_radix_sort_block_sort_configINS0_13kernel_configILj256ELj4ELj4294967295EEEhN2at4cuda3cub6detail10OpaqueTypeILi8EEEEELb1EPKhPhPKSB_PSB_NS0_19identity_decomposerEEEvT1_T2_T3_T4_jT5_jj.kd
    .uniform_work_group_size: 1
    .uses_dynamic_stack: false
    .vgpr_count:     50
    .vgpr_spill_count: 0
    .wavefront_size: 64
  - .agpr_count:     0
    .args:           []
    .group_segment_fixed_size: 0
    .kernarg_segment_align: 4
    .kernarg_segment_size: 0
    .language:       OpenCL C
    .language_version:
      - 2
      - 0
    .max_flat_workgroup_size: 1024
    .name:           _ZN7rocprim17ROCPRIM_304000_NS6detail39device_merge_sort_compile_time_verifierINS1_36wrapped_merge_sort_block_sort_configINS1_28merge_sort_block_sort_configILj256ELj4ELNS0_20block_sort_algorithmE0EEEhN2at4cuda3cub6detail10OpaqueTypeILi8EEEEENS1_37wrapped_merge_sort_block_merge_configINS0_14default_configEhSC_EEEEvv
    .private_segment_fixed_size: 0
    .sgpr_count:     4
    .sgpr_spill_count: 0
    .symbol:         _ZN7rocprim17ROCPRIM_304000_NS6detail39device_merge_sort_compile_time_verifierINS1_36wrapped_merge_sort_block_sort_configINS1_28merge_sort_block_sort_configILj256ELj4ELNS0_20block_sort_algorithmE0EEEhN2at4cuda3cub6detail10OpaqueTypeILi8EEEEENS1_37wrapped_merge_sort_block_merge_configINS0_14default_configEhSC_EEEEvv.kd
    .uniform_work_group_size: 1
    .uses_dynamic_stack: false
    .vgpr_count:     0
    .vgpr_spill_count: 0
    .wavefront_size: 64
  - .agpr_count:     0
    .args:
      - .address_space:  global
        .offset:         0
        .size:           8
        .value_kind:     global_buffer
      - .offset:         8
        .size:           4
        .value_kind:     by_value
      - .offset:         12
        .size:           4
        .value_kind:     by_value
      - .address_space:  global
        .offset:         16
        .size:           8
        .value_kind:     global_buffer
      - .offset:         24
        .size:           1
        .value_kind:     by_value
      - .offset:         28
        .size:           4
        .value_kind:     by_value
    .group_segment_fixed_size: 0
    .kernarg_segment_align: 8
    .kernarg_segment_size: 32
    .language:       OpenCL C
    .language_version:
      - 2
      - 0
    .max_flat_workgroup_size: 128
    .name:           _ZN7rocprim17ROCPRIM_304000_NS6detail45device_block_merge_mergepath_partition_kernelINS1_37wrapped_merge_sort_block_merge_configINS0_14default_configEhN2at4cuda3cub6detail10OpaqueTypeILi8EEEEEPhjNS1_19radix_merge_compareILb1ELb0EhNS0_19identity_decomposerEEEEEvT0_T1_jPSH_T2_SH_
    .private_segment_fixed_size: 0
    .sgpr_count:     11
    .sgpr_spill_count: 0
    .symbol:         _ZN7rocprim17ROCPRIM_304000_NS6detail45device_block_merge_mergepath_partition_kernelINS1_37wrapped_merge_sort_block_merge_configINS0_14default_configEhN2at4cuda3cub6detail10OpaqueTypeILi8EEEEEPhjNS1_19radix_merge_compareILb1ELb0EhNS0_19identity_decomposerEEEEEvT0_T1_jPSH_T2_SH_.kd
    .uniform_work_group_size: 1
    .uses_dynamic_stack: false
    .vgpr_count:     16
    .vgpr_spill_count: 0
    .wavefront_size: 64
  - .agpr_count:     0
    .args:
      - .address_space:  global
        .offset:         0
        .size:           8
        .value_kind:     global_buffer
      - .address_space:  global
        .offset:         8
        .size:           8
        .value_kind:     global_buffer
      - .address_space:  global
        .offset:         16
        .size:           8
        .value_kind:     global_buffer
      - .address_space:  global
        .offset:         24
        .size:           8
        .value_kind:     global_buffer
      - .offset:         32
        .size:           4
        .value_kind:     by_value
      - .offset:         36
        .size:           4
        .value_kind:     by_value
      - .offset:         40
        .size:           4
        .value_kind:     by_value
      - .offset:         44
        .size:           1
        .value_kind:     by_value
      - .address_space:  global
        .offset:         48
        .size:           8
        .value_kind:     global_buffer
      - .address_space:  global
        .offset:         56
        .size:           8
        .value_kind:     global_buffer
      - .offset:         64
        .size:           4
        .value_kind:     hidden_block_count_x
      - .offset:         68
        .size:           4
        .value_kind:     hidden_block_count_y
      - .offset:         72
        .size:           4
        .value_kind:     hidden_block_count_z
      - .offset:         76
        .size:           2
        .value_kind:     hidden_group_size_x
      - .offset:         78
        .size:           2
        .value_kind:     hidden_group_size_y
      - .offset:         80
        .size:           2
        .value_kind:     hidden_group_size_z
      - .offset:         82
        .size:           2
        .value_kind:     hidden_remainder_x
      - .offset:         84
        .size:           2
        .value_kind:     hidden_remainder_y
      - .offset:         86
        .size:           2
        .value_kind:     hidden_remainder_z
      - .offset:         104
        .size:           8
        .value_kind:     hidden_global_offset_x
      - .offset:         112
        .size:           8
        .value_kind:     hidden_global_offset_y
      - .offset:         120
        .size:           8
        .value_kind:     hidden_global_offset_z
      - .offset:         128
        .size:           2
        .value_kind:     hidden_grid_dims
    .group_segment_fixed_size: 8208
    .kernarg_segment_align: 8
    .kernarg_segment_size: 320
    .language:       OpenCL C
    .language_version:
      - 2
      - 0
    .max_flat_workgroup_size: 256
    .name:           _ZN7rocprim17ROCPRIM_304000_NS6detail35device_block_merge_mergepath_kernelINS1_37wrapped_merge_sort_block_merge_configINS0_14default_configEhN2at4cuda3cub6detail10OpaqueTypeILi8EEEEEPhSC_PSA_SD_jNS1_19radix_merge_compareILb1ELb0EhNS0_19identity_decomposerEEEEEvT0_T1_T2_T3_T4_SL_jT5_PKSL_NS1_7vsmem_tE
    .private_segment_fixed_size: 0
    .sgpr_count:     35
    .sgpr_spill_count: 0
    .symbol:         _ZN7rocprim17ROCPRIM_304000_NS6detail35device_block_merge_mergepath_kernelINS1_37wrapped_merge_sort_block_merge_configINS0_14default_configEhN2at4cuda3cub6detail10OpaqueTypeILi8EEEEEPhSC_PSA_SD_jNS1_19radix_merge_compareILb1ELb0EhNS0_19identity_decomposerEEEEEvT0_T1_T2_T3_T4_SL_jT5_PKSL_NS1_7vsmem_tE.kd
    .uniform_work_group_size: 1
    .uses_dynamic_stack: false
    .vgpr_count:     24
    .vgpr_spill_count: 0
    .wavefront_size: 64
  - .agpr_count:     0
    .args:
      - .address_space:  global
        .offset:         0
        .size:           8
        .value_kind:     global_buffer
      - .address_space:  global
        .offset:         8
        .size:           8
        .value_kind:     global_buffer
      - .address_space:  global
        .offset:         16
        .size:           8
        .value_kind:     global_buffer
      - .address_space:  global
        .offset:         24
        .size:           8
        .value_kind:     global_buffer
      - .offset:         32
        .size:           4
        .value_kind:     by_value
      - .offset:         36
        .size:           4
        .value_kind:     by_value
      - .offset:         40
        .size:           1
        .value_kind:     by_value
    .group_segment_fixed_size: 0
    .kernarg_segment_align: 8
    .kernarg_segment_size: 44
    .language:       OpenCL C
    .language_version:
      - 2
      - 0
    .max_flat_workgroup_size: 256
    .name:           _ZN7rocprim17ROCPRIM_304000_NS6detail33device_block_merge_oddeven_kernelINS1_37wrapped_merge_sort_block_merge_configINS0_14default_configEhN2at4cuda3cub6detail10OpaqueTypeILi8EEEEEPhSC_PSA_SD_jNS1_19radix_merge_compareILb1ELb0EhNS0_19identity_decomposerEEEEEvT0_T1_T2_T3_T4_SL_T5_
    .private_segment_fixed_size: 0
    .sgpr_count:     27
    .sgpr_spill_count: 0
    .symbol:         _ZN7rocprim17ROCPRIM_304000_NS6detail33device_block_merge_oddeven_kernelINS1_37wrapped_merge_sort_block_merge_configINS0_14default_configEhN2at4cuda3cub6detail10OpaqueTypeILi8EEEEEPhSC_PSA_SD_jNS1_19radix_merge_compareILb1ELb0EhNS0_19identity_decomposerEEEEEvT0_T1_T2_T3_T4_SL_T5_.kd
    .uniform_work_group_size: 1
    .uses_dynamic_stack: false
    .vgpr_count:     10
    .vgpr_spill_count: 0
    .wavefront_size: 64
  - .agpr_count:     0
    .args:
      - .address_space:  global
        .offset:         0
        .size:           8
        .value_kind:     global_buffer
      - .offset:         8
        .size:           8
        .value_kind:     by_value
      - .address_space:  global
        .offset:         16
        .size:           8
        .value_kind:     global_buffer
      - .offset:         24
        .size:           1
        .value_kind:     by_value
      - .offset:         32
        .size:           4
        .value_kind:     hidden_block_count_x
      - .offset:         36
        .size:           4
        .value_kind:     hidden_block_count_y
      - .offset:         40
        .size:           4
        .value_kind:     hidden_block_count_z
      - .offset:         44
        .size:           2
        .value_kind:     hidden_group_size_x
      - .offset:         46
        .size:           2
        .value_kind:     hidden_group_size_y
      - .offset:         48
        .size:           2
        .value_kind:     hidden_group_size_z
      - .offset:         50
        .size:           2
        .value_kind:     hidden_remainder_x
      - .offset:         52
        .size:           2
        .value_kind:     hidden_remainder_y
      - .offset:         54
        .size:           2
        .value_kind:     hidden_remainder_z
      - .offset:         72
        .size:           8
        .value_kind:     hidden_global_offset_x
      - .offset:         80
        .size:           8
        .value_kind:     hidden_global_offset_y
      - .offset:         88
        .size:           8
        .value_kind:     hidden_global_offset_z
      - .offset:         96
        .size:           2
        .value_kind:     hidden_grid_dims
    .group_segment_fixed_size: 0
    .kernarg_segment_align: 8
    .kernarg_segment_size: 288
    .language:       OpenCL C
    .language_version:
      - 2
      - 0
    .max_flat_workgroup_size: 64
    .name:           _ZN7rocprim17ROCPRIM_304000_NS6detail16transform_kernelINS1_24wrapped_transform_configINS0_14default_configEhEEhPhS6_NS0_8identityIhEEEEvT1_mT2_T3_
    .private_segment_fixed_size: 0
    .sgpr_count:     42
    .sgpr_spill_count: 0
    .symbol:         _ZN7rocprim17ROCPRIM_304000_NS6detail16transform_kernelINS1_24wrapped_transform_configINS0_14default_configEhEEhPhS6_NS0_8identityIhEEEEvT1_mT2_T3_.kd
    .uniform_work_group_size: 1
    .uses_dynamic_stack: false
    .vgpr_count:     21
    .vgpr_spill_count: 0
    .wavefront_size: 64
  - .agpr_count:     0
    .args:
      - .address_space:  global
        .offset:         0
        .size:           8
        .value_kind:     global_buffer
      - .offset:         8
        .size:           8
        .value_kind:     by_value
      - .address_space:  global
        .offset:         16
        .size:           8
        .value_kind:     global_buffer
      - .offset:         24
        .size:           1
        .value_kind:     by_value
      - .offset:         32
        .size:           4
        .value_kind:     hidden_block_count_x
      - .offset:         36
        .size:           4
        .value_kind:     hidden_block_count_y
      - .offset:         40
        .size:           4
        .value_kind:     hidden_block_count_z
      - .offset:         44
        .size:           2
        .value_kind:     hidden_group_size_x
      - .offset:         46
        .size:           2
        .value_kind:     hidden_group_size_y
      - .offset:         48
        .size:           2
        .value_kind:     hidden_group_size_z
      - .offset:         50
        .size:           2
        .value_kind:     hidden_remainder_x
      - .offset:         52
        .size:           2
        .value_kind:     hidden_remainder_y
      - .offset:         54
        .size:           2
        .value_kind:     hidden_remainder_z
      - .offset:         72
        .size:           8
        .value_kind:     hidden_global_offset_x
      - .offset:         80
        .size:           8
        .value_kind:     hidden_global_offset_y
      - .offset:         88
        .size:           8
        .value_kind:     hidden_global_offset_z
      - .offset:         96
        .size:           2
        .value_kind:     hidden_grid_dims
    .group_segment_fixed_size: 0
    .kernarg_segment_align: 8
    .kernarg_segment_size: 288
    .language:       OpenCL C
    .language_version:
      - 2
      - 0
    .max_flat_workgroup_size: 256
    .name:           _ZN7rocprim17ROCPRIM_304000_NS6detail16transform_kernelINS1_24wrapped_transform_configINS0_14default_configEN2at4cuda3cub6detail10OpaqueTypeILi8EEEEESA_PSA_SC_NS0_8identityISA_EEEEvT1_mT2_T3_
    .private_segment_fixed_size: 0
    .sgpr_count:     16
    .sgpr_spill_count: 0
    .symbol:         _ZN7rocprim17ROCPRIM_304000_NS6detail16transform_kernelINS1_24wrapped_transform_configINS0_14default_configEN2at4cuda3cub6detail10OpaqueTypeILi8EEEEESA_PSA_SC_NS0_8identityISA_EEEEvT1_mT2_T3_.kd
    .uniform_work_group_size: 1
    .uses_dynamic_stack: false
    .vgpr_count:     8
    .vgpr_spill_count: 0
    .wavefront_size: 64
  - .agpr_count:     0
    .args:
      - .address_space:  global
        .offset:         0
        .size:           8
        .value_kind:     global_buffer
      - .offset:         8
        .size:           4
        .value_kind:     by_value
      - .offset:         12
        .size:           4
        .value_kind:     by_value
      - .address_space:  global
        .offset:         16
        .size:           8
        .value_kind:     global_buffer
      - .offset:         24
        .size:           1
        .value_kind:     by_value
      - .offset:         28
        .size:           4
        .value_kind:     by_value
    .group_segment_fixed_size: 0
    .kernarg_segment_align: 8
    .kernarg_segment_size: 32
    .language:       OpenCL C
    .language_version:
      - 2
      - 0
    .max_flat_workgroup_size: 128
    .name:           _ZN7rocprim17ROCPRIM_304000_NS6detail45device_block_merge_mergepath_partition_kernelINS1_37wrapped_merge_sort_block_merge_configINS0_14default_configEhN2at4cuda3cub6detail10OpaqueTypeILi8EEEEEPhjNS1_19radix_merge_compareILb1ELb1EhNS0_19identity_decomposerEEEEEvT0_T1_jPSH_T2_SH_
    .private_segment_fixed_size: 0
    .sgpr_count:     12
    .sgpr_spill_count: 0
    .symbol:         _ZN7rocprim17ROCPRIM_304000_NS6detail45device_block_merge_mergepath_partition_kernelINS1_37wrapped_merge_sort_block_merge_configINS0_14default_configEhN2at4cuda3cub6detail10OpaqueTypeILi8EEEEEPhjNS1_19radix_merge_compareILb1ELb1EhNS0_19identity_decomposerEEEEEvT0_T1_jPSH_T2_SH_.kd
    .uniform_work_group_size: 1
    .uses_dynamic_stack: false
    .vgpr_count:     16
    .vgpr_spill_count: 0
    .wavefront_size: 64
  - .agpr_count:     0
    .args:
      - .address_space:  global
        .offset:         0
        .size:           8
        .value_kind:     global_buffer
      - .address_space:  global
        .offset:         8
        .size:           8
        .value_kind:     global_buffer
      - .address_space:  global
        .offset:         16
        .size:           8
        .value_kind:     global_buffer
      - .address_space:  global
        .offset:         24
        .size:           8
        .value_kind:     global_buffer
      - .offset:         32
        .size:           4
        .value_kind:     by_value
      - .offset:         36
        .size:           4
        .value_kind:     by_value
      - .offset:         40
        .size:           4
        .value_kind:     by_value
      - .offset:         44
        .size:           1
        .value_kind:     by_value
      - .address_space:  global
        .offset:         48
        .size:           8
        .value_kind:     global_buffer
      - .address_space:  global
        .offset:         56
        .size:           8
        .value_kind:     global_buffer
      - .offset:         64
        .size:           4
        .value_kind:     hidden_block_count_x
      - .offset:         68
        .size:           4
        .value_kind:     hidden_block_count_y
      - .offset:         72
        .size:           4
        .value_kind:     hidden_block_count_z
      - .offset:         76
        .size:           2
        .value_kind:     hidden_group_size_x
      - .offset:         78
        .size:           2
        .value_kind:     hidden_group_size_y
      - .offset:         80
        .size:           2
        .value_kind:     hidden_group_size_z
      - .offset:         82
        .size:           2
        .value_kind:     hidden_remainder_x
      - .offset:         84
        .size:           2
        .value_kind:     hidden_remainder_y
      - .offset:         86
        .size:           2
        .value_kind:     hidden_remainder_z
      - .offset:         104
        .size:           8
        .value_kind:     hidden_global_offset_x
      - .offset:         112
        .size:           8
        .value_kind:     hidden_global_offset_y
      - .offset:         120
        .size:           8
        .value_kind:     hidden_global_offset_z
      - .offset:         128
        .size:           2
        .value_kind:     hidden_grid_dims
    .group_segment_fixed_size: 8208
    .kernarg_segment_align: 8
    .kernarg_segment_size: 320
    .language:       OpenCL C
    .language_version:
      - 2
      - 0
    .max_flat_workgroup_size: 256
    .name:           _ZN7rocprim17ROCPRIM_304000_NS6detail35device_block_merge_mergepath_kernelINS1_37wrapped_merge_sort_block_merge_configINS0_14default_configEhN2at4cuda3cub6detail10OpaqueTypeILi8EEEEEPhSC_PSA_SD_jNS1_19radix_merge_compareILb1ELb1EhNS0_19identity_decomposerEEEEEvT0_T1_T2_T3_T4_SL_jT5_PKSL_NS1_7vsmem_tE
    .private_segment_fixed_size: 0
    .sgpr_count:     35
    .sgpr_spill_count: 0
    .symbol:         _ZN7rocprim17ROCPRIM_304000_NS6detail35device_block_merge_mergepath_kernelINS1_37wrapped_merge_sort_block_merge_configINS0_14default_configEhN2at4cuda3cub6detail10OpaqueTypeILi8EEEEEPhSC_PSA_SD_jNS1_19radix_merge_compareILb1ELb1EhNS0_19identity_decomposerEEEEEvT0_T1_T2_T3_T4_SL_jT5_PKSL_NS1_7vsmem_tE.kd
    .uniform_work_group_size: 1
    .uses_dynamic_stack: false
    .vgpr_count:     24
    .vgpr_spill_count: 0
    .wavefront_size: 64
  - .agpr_count:     0
    .args:
      - .address_space:  global
        .offset:         0
        .size:           8
        .value_kind:     global_buffer
      - .address_space:  global
        .offset:         8
        .size:           8
        .value_kind:     global_buffer
      - .address_space:  global
        .offset:         16
        .size:           8
        .value_kind:     global_buffer
      - .address_space:  global
        .offset:         24
        .size:           8
        .value_kind:     global_buffer
      - .offset:         32
        .size:           4
        .value_kind:     by_value
      - .offset:         36
        .size:           4
        .value_kind:     by_value
      - .offset:         40
        .size:           1
        .value_kind:     by_value
    .group_segment_fixed_size: 0
    .kernarg_segment_align: 8
    .kernarg_segment_size: 44
    .language:       OpenCL C
    .language_version:
      - 2
      - 0
    .max_flat_workgroup_size: 256
    .name:           _ZN7rocprim17ROCPRIM_304000_NS6detail33device_block_merge_oddeven_kernelINS1_37wrapped_merge_sort_block_merge_configINS0_14default_configEhN2at4cuda3cub6detail10OpaqueTypeILi8EEEEEPhSC_PSA_SD_jNS1_19radix_merge_compareILb1ELb1EhNS0_19identity_decomposerEEEEEvT0_T1_T2_T3_T4_SL_T5_
    .private_segment_fixed_size: 0
    .sgpr_count:     28
    .sgpr_spill_count: 0
    .symbol:         _ZN7rocprim17ROCPRIM_304000_NS6detail33device_block_merge_oddeven_kernelINS1_37wrapped_merge_sort_block_merge_configINS0_14default_configEhN2at4cuda3cub6detail10OpaqueTypeILi8EEEEEPhSC_PSA_SD_jNS1_19radix_merge_compareILb1ELb1EhNS0_19identity_decomposerEEEEEvT0_T1_T2_T3_T4_SL_T5_.kd
    .uniform_work_group_size: 1
    .uses_dynamic_stack: false
    .vgpr_count:     11
    .vgpr_spill_count: 0
    .wavefront_size: 64
  - .agpr_count:     0
    .args:
      - .address_space:  global
        .offset:         0
        .size:           8
        .value_kind:     global_buffer
      - .address_space:  global
        .offset:         8
        .size:           8
        .value_kind:     global_buffer
      - .offset:         16
        .size:           8
        .value_kind:     by_value
      - .offset:         24
        .size:           8
        .value_kind:     by_value
      - .offset:         32
        .size:           1
        .value_kind:     by_value
      - .offset:         36
        .size:           4
        .value_kind:     by_value
      - .offset:         40
        .size:           4
        .value_kind:     by_value
    .group_segment_fixed_size: 4096
    .kernarg_segment_align: 8
    .kernarg_segment_size: 44
    .language:       OpenCL C
    .language_version:
      - 2
      - 0
    .max_flat_workgroup_size: 512
    .name:           _ZN7rocprim17ROCPRIM_304000_NS6detail26onesweep_histograms_kernelINS1_34wrapped_radix_sort_onesweep_configINS0_14default_configEhN2at4cuda3cub6detail10OpaqueTypeILi8EEEEELb1EPKhmNS0_19identity_decomposerEEEvT1_PT2_SG_SG_T3_jj
    .private_segment_fixed_size: 0
    .sgpr_count:     30
    .sgpr_spill_count: 0
    .symbol:         _ZN7rocprim17ROCPRIM_304000_NS6detail26onesweep_histograms_kernelINS1_34wrapped_radix_sort_onesweep_configINS0_14default_configEhN2at4cuda3cub6detail10OpaqueTypeILi8EEEEELb1EPKhmNS0_19identity_decomposerEEEvT1_PT2_SG_SG_T3_jj.kd
    .uniform_work_group_size: 1
    .uses_dynamic_stack: false
    .vgpr_count:     18
    .vgpr_spill_count: 0
    .wavefront_size: 64
  - .agpr_count:     0
    .args:
      - .address_space:  global
        .offset:         0
        .size:           8
        .value_kind:     global_buffer
    .group_segment_fixed_size: 64
    .kernarg_segment_align: 8
    .kernarg_segment_size: 8
    .language:       OpenCL C
    .language_version:
      - 2
      - 0
    .max_flat_workgroup_size: 512
    .name:           _ZN7rocprim17ROCPRIM_304000_NS6detail31onesweep_scan_histograms_kernelINS1_34wrapped_radix_sort_onesweep_configINS0_14default_configEhN2at4cuda3cub6detail10OpaqueTypeILi8EEEEEmEEvPT0_
    .private_segment_fixed_size: 0
    .sgpr_count:     14
    .sgpr_spill_count: 0
    .symbol:         _ZN7rocprim17ROCPRIM_304000_NS6detail31onesweep_scan_histograms_kernelINS1_34wrapped_radix_sort_onesweep_configINS0_14default_configEhN2at4cuda3cub6detail10OpaqueTypeILi8EEEEEmEEvPT0_.kd
    .uniform_work_group_size: 1
    .uses_dynamic_stack: false
    .vgpr_count:     14
    .vgpr_spill_count: 0
    .wavefront_size: 64
  - .agpr_count:     0
    .args:
      - .address_space:  global
        .offset:         0
        .size:           8
        .value_kind:     global_buffer
      - .offset:         8
        .size:           8
        .value_kind:     by_value
      - .address_space:  global
        .offset:         16
        .size:           8
        .value_kind:     global_buffer
      - .offset:         24
        .size:           1
        .value_kind:     by_value
      - .offset:         32
        .size:           4
        .value_kind:     hidden_block_count_x
      - .offset:         36
        .size:           4
        .value_kind:     hidden_block_count_y
      - .offset:         40
        .size:           4
        .value_kind:     hidden_block_count_z
      - .offset:         44
        .size:           2
        .value_kind:     hidden_group_size_x
      - .offset:         46
        .size:           2
        .value_kind:     hidden_group_size_y
      - .offset:         48
        .size:           2
        .value_kind:     hidden_group_size_z
      - .offset:         50
        .size:           2
        .value_kind:     hidden_remainder_x
      - .offset:         52
        .size:           2
        .value_kind:     hidden_remainder_y
      - .offset:         54
        .size:           2
        .value_kind:     hidden_remainder_z
      - .offset:         72
        .size:           8
        .value_kind:     hidden_global_offset_x
      - .offset:         80
        .size:           8
        .value_kind:     hidden_global_offset_y
      - .offset:         88
        .size:           8
        .value_kind:     hidden_global_offset_z
      - .offset:         96
        .size:           2
        .value_kind:     hidden_grid_dims
    .group_segment_fixed_size: 0
    .kernarg_segment_align: 8
    .kernarg_segment_size: 288
    .language:       OpenCL C
    .language_version:
      - 2
      - 0
    .max_flat_workgroup_size: 64
    .name:           _ZN7rocprim17ROCPRIM_304000_NS6detail16transform_kernelINS1_24wrapped_transform_configINS0_14default_configEhEEhPKhPhNS0_8identityIhEEEEvT1_mT2_T3_
    .private_segment_fixed_size: 0
    .sgpr_count:     42
    .sgpr_spill_count: 0
    .symbol:         _ZN7rocprim17ROCPRIM_304000_NS6detail16transform_kernelINS1_24wrapped_transform_configINS0_14default_configEhEEhPKhPhNS0_8identityIhEEEEvT1_mT2_T3_.kd
    .uniform_work_group_size: 1
    .uses_dynamic_stack: false
    .vgpr_count:     21
    .vgpr_spill_count: 0
    .wavefront_size: 64
  - .agpr_count:     0
    .args:
      - .address_space:  global
        .offset:         0
        .size:           8
        .value_kind:     global_buffer
      - .offset:         8
        .size:           8
        .value_kind:     by_value
      - .address_space:  global
        .offset:         16
        .size:           8
        .value_kind:     global_buffer
      - .offset:         24
        .size:           1
        .value_kind:     by_value
      - .offset:         32
        .size:           4
        .value_kind:     hidden_block_count_x
      - .offset:         36
        .size:           4
        .value_kind:     hidden_block_count_y
      - .offset:         40
        .size:           4
        .value_kind:     hidden_block_count_z
      - .offset:         44
        .size:           2
        .value_kind:     hidden_group_size_x
      - .offset:         46
        .size:           2
        .value_kind:     hidden_group_size_y
      - .offset:         48
        .size:           2
        .value_kind:     hidden_group_size_z
      - .offset:         50
        .size:           2
        .value_kind:     hidden_remainder_x
      - .offset:         52
        .size:           2
        .value_kind:     hidden_remainder_y
      - .offset:         54
        .size:           2
        .value_kind:     hidden_remainder_z
      - .offset:         72
        .size:           8
        .value_kind:     hidden_global_offset_x
      - .offset:         80
        .size:           8
        .value_kind:     hidden_global_offset_y
      - .offset:         88
        .size:           8
        .value_kind:     hidden_global_offset_z
      - .offset:         96
        .size:           2
        .value_kind:     hidden_grid_dims
    .group_segment_fixed_size: 0
    .kernarg_segment_align: 8
    .kernarg_segment_size: 288
    .language:       OpenCL C
    .language_version:
      - 2
      - 0
    .max_flat_workgroup_size: 256
    .name:           _ZN7rocprim17ROCPRIM_304000_NS6detail16transform_kernelINS1_24wrapped_transform_configINS0_14default_configEN2at4cuda3cub6detail10OpaqueTypeILi8EEEEESA_PKSA_PSA_NS0_8identityISA_EEEEvT1_mT2_T3_
    .private_segment_fixed_size: 0
    .sgpr_count:     16
    .sgpr_spill_count: 0
    .symbol:         _ZN7rocprim17ROCPRIM_304000_NS6detail16transform_kernelINS1_24wrapped_transform_configINS0_14default_configEN2at4cuda3cub6detail10OpaqueTypeILi8EEEEESA_PKSA_PSA_NS0_8identityISA_EEEEvT1_mT2_T3_.kd
    .uniform_work_group_size: 1
    .uses_dynamic_stack: false
    .vgpr_count:     8
    .vgpr_spill_count: 0
    .wavefront_size: 64
  - .agpr_count:     0
    .args:
      - .address_space:  global
        .offset:         0
        .size:           8
        .value_kind:     global_buffer
      - .address_space:  global
        .offset:         8
        .size:           8
        .value_kind:     global_buffer
      - .address_space:  global
        .offset:         16
        .size:           8
        .value_kind:     global_buffer
      - .address_space:  global
        .offset:         24
        .size:           8
        .value_kind:     global_buffer
      - .offset:         32
        .size:           4
        .value_kind:     by_value
      - .address_space:  global
        .offset:         40
        .size:           8
        .value_kind:     global_buffer
      - .address_space:  global
        .offset:         48
        .size:           8
        .value_kind:     global_buffer
      - .address_space:  global
        .offset:         56
        .size:           8
        .value_kind:     global_buffer
      - .offset:         64
        .size:           1
        .value_kind:     by_value
      - .offset:         68
        .size:           4
        .value_kind:     by_value
      - .offset:         72
        .size:           4
        .value_kind:     by_value
      - .offset:         76
        .size:           4
        .value_kind:     by_value
      - .offset:         80
        .size:           4
        .value_kind:     hidden_block_count_x
      - .offset:         84
        .size:           4
        .value_kind:     hidden_block_count_y
      - .offset:         88
        .size:           4
        .value_kind:     hidden_block_count_z
      - .offset:         92
        .size:           2
        .value_kind:     hidden_group_size_x
      - .offset:         94
        .size:           2
        .value_kind:     hidden_group_size_y
      - .offset:         96
        .size:           2
        .value_kind:     hidden_group_size_z
      - .offset:         98
        .size:           2
        .value_kind:     hidden_remainder_x
      - .offset:         100
        .size:           2
        .value_kind:     hidden_remainder_y
      - .offset:         102
        .size:           2
        .value_kind:     hidden_remainder_z
      - .offset:         120
        .size:           8
        .value_kind:     hidden_global_offset_x
      - .offset:         128
        .size:           8
        .value_kind:     hidden_global_offset_y
      - .offset:         136
        .size:           8
        .value_kind:     hidden_global_offset_z
      - .offset:         144
        .size:           2
        .value_kind:     hidden_grid_dims
    .group_segment_fixed_size: 26624
    .kernarg_segment_align: 8
    .kernarg_segment_size: 336
    .language:       OpenCL C
    .language_version:
      - 2
      - 0
    .max_flat_workgroup_size: 512
    .name:           _ZN7rocprim17ROCPRIM_304000_NS6detail25onesweep_iteration_kernelINS1_34wrapped_radix_sort_onesweep_configINS0_14default_configEhN2at4cuda3cub6detail10OpaqueTypeILi8EEEEELb1EPKhPhPKSA_PSA_mNS0_19identity_decomposerEEEvT1_T2_T3_T4_jPT5_SO_PNS1_23onesweep_lookback_stateET6_jjj
    .private_segment_fixed_size: 0
    .sgpr_count:     57
    .sgpr_spill_count: 0
    .symbol:         _ZN7rocprim17ROCPRIM_304000_NS6detail25onesweep_iteration_kernelINS1_34wrapped_radix_sort_onesweep_configINS0_14default_configEhN2at4cuda3cub6detail10OpaqueTypeILi8EEEEELb1EPKhPhPKSA_PSA_mNS0_19identity_decomposerEEEvT1_T2_T3_T4_jPT5_SO_PNS1_23onesweep_lookback_stateET6_jjj.kd
    .uniform_work_group_size: 1
    .uses_dynamic_stack: false
    .vgpr_count:     40
    .vgpr_spill_count: 0
    .wavefront_size: 64
  - .agpr_count:     0
    .args:
      - .address_space:  global
        .offset:         0
        .size:           8
        .value_kind:     global_buffer
      - .address_space:  global
        .offset:         8
        .size:           8
        .value_kind:     global_buffer
      - .address_space:  global
        .offset:         16
        .size:           8
        .value_kind:     global_buffer
      - .address_space:  global
        .offset:         24
        .size:           8
        .value_kind:     global_buffer
      - .offset:         32
        .size:           4
        .value_kind:     by_value
      - .address_space:  global
        .offset:         40
        .size:           8
        .value_kind:     global_buffer
      - .address_space:  global
        .offset:         48
        .size:           8
        .value_kind:     global_buffer
      - .address_space:  global
        .offset:         56
        .size:           8
        .value_kind:     global_buffer
      - .offset:         64
        .size:           1
        .value_kind:     by_value
      - .offset:         68
        .size:           4
        .value_kind:     by_value
      - .offset:         72
        .size:           4
        .value_kind:     by_value
      - .offset:         76
        .size:           4
        .value_kind:     by_value
      - .offset:         80
        .size:           4
        .value_kind:     hidden_block_count_x
      - .offset:         84
        .size:           4
        .value_kind:     hidden_block_count_y
      - .offset:         88
        .size:           4
        .value_kind:     hidden_block_count_z
      - .offset:         92
        .size:           2
        .value_kind:     hidden_group_size_x
      - .offset:         94
        .size:           2
        .value_kind:     hidden_group_size_y
      - .offset:         96
        .size:           2
        .value_kind:     hidden_group_size_z
      - .offset:         98
        .size:           2
        .value_kind:     hidden_remainder_x
      - .offset:         100
        .size:           2
        .value_kind:     hidden_remainder_y
      - .offset:         102
        .size:           2
        .value_kind:     hidden_remainder_z
      - .offset:         120
        .size:           8
        .value_kind:     hidden_global_offset_x
      - .offset:         128
        .size:           8
        .value_kind:     hidden_global_offset_y
      - .offset:         136
        .size:           8
        .value_kind:     hidden_global_offset_z
      - .offset:         144
        .size:           2
        .value_kind:     hidden_grid_dims
    .group_segment_fixed_size: 26624
    .kernarg_segment_align: 8
    .kernarg_segment_size: 336
    .language:       OpenCL C
    .language_version:
      - 2
      - 0
    .max_flat_workgroup_size: 512
    .name:           _ZN7rocprim17ROCPRIM_304000_NS6detail25onesweep_iteration_kernelINS1_34wrapped_radix_sort_onesweep_configINS0_14default_configEhN2at4cuda3cub6detail10OpaqueTypeILi8EEEEELb1EPhSC_PSA_SD_mNS0_19identity_decomposerEEEvT1_T2_T3_T4_jPT5_SK_PNS1_23onesweep_lookback_stateET6_jjj
    .private_segment_fixed_size: 0
    .sgpr_count:     57
    .sgpr_spill_count: 0
    .symbol:         _ZN7rocprim17ROCPRIM_304000_NS6detail25onesweep_iteration_kernelINS1_34wrapped_radix_sort_onesweep_configINS0_14default_configEhN2at4cuda3cub6detail10OpaqueTypeILi8EEEEELb1EPhSC_PSA_SD_mNS0_19identity_decomposerEEEvT1_T2_T3_T4_jPT5_SK_PNS1_23onesweep_lookback_stateET6_jjj.kd
    .uniform_work_group_size: 1
    .uses_dynamic_stack: false
    .vgpr_count:     40
    .vgpr_spill_count: 0
    .wavefront_size: 64
  - .agpr_count:     0
    .args:
      - .address_space:  global
        .offset:         0
        .size:           8
        .value_kind:     global_buffer
      - .address_space:  global
        .offset:         8
        .size:           8
        .value_kind:     global_buffer
      - .address_space:  global
        .offset:         16
        .size:           8
        .value_kind:     global_buffer
      - .address_space:  global
        .offset:         24
        .size:           8
        .value_kind:     global_buffer
      - .offset:         32
        .size:           4
        .value_kind:     by_value
      - .offset:         36
        .size:           1
        .value_kind:     by_value
      - .offset:         40
        .size:           4
        .value_kind:     by_value
      - .offset:         44
        .size:           4
        .value_kind:     by_value
      - .offset:         48
        .size:           4
        .value_kind:     hidden_block_count_x
      - .offset:         52
        .size:           4
        .value_kind:     hidden_block_count_y
      - .offset:         56
        .size:           4
        .value_kind:     hidden_block_count_z
      - .offset:         60
        .size:           2
        .value_kind:     hidden_group_size_x
      - .offset:         62
        .size:           2
        .value_kind:     hidden_group_size_y
      - .offset:         64
        .size:           2
        .value_kind:     hidden_group_size_z
      - .offset:         66
        .size:           2
        .value_kind:     hidden_remainder_x
      - .offset:         68
        .size:           2
        .value_kind:     hidden_remainder_y
      - .offset:         70
        .size:           2
        .value_kind:     hidden_remainder_z
      - .offset:         88
        .size:           8
        .value_kind:     hidden_global_offset_x
      - .offset:         96
        .size:           8
        .value_kind:     hidden_global_offset_y
      - .offset:         104
        .size:           8
        .value_kind:     hidden_global_offset_z
      - .offset:         112
        .size:           2
        .value_kind:     hidden_grid_dims
    .group_segment_fixed_size: 8192
    .kernarg_segment_align: 8
    .kernarg_segment_size: 304
    .language:       OpenCL C
    .language_version:
      - 2
      - 0
    .max_flat_workgroup_size: 256
    .name:           _ZN7rocprim17ROCPRIM_304000_NS6detail28radix_sort_block_sort_kernelINS1_36wrapped_radix_sort_block_sort_configINS0_13kernel_configILj256ELj4ELj4294967295EEEhN2at4cuda3cub6detail10OpaqueTypeILi8EEEEELb0EPKhPhPKSB_PSB_NS0_19identity_decomposerEEEvT1_T2_T3_T4_jT5_jj
    .private_segment_fixed_size: 0
    .sgpr_count:     48
    .sgpr_spill_count: 0
    .symbol:         _ZN7rocprim17ROCPRIM_304000_NS6detail28radix_sort_block_sort_kernelINS1_36wrapped_radix_sort_block_sort_configINS0_13kernel_configILj256ELj4ELj4294967295EEEhN2at4cuda3cub6detail10OpaqueTypeILi8EEEEELb0EPKhPhPKSB_PSB_NS0_19identity_decomposerEEEvT1_T2_T3_T4_jT5_jj.kd
    .uniform_work_group_size: 1
    .uses_dynamic_stack: false
    .vgpr_count:     52
    .vgpr_spill_count: 0
    .wavefront_size: 64
  - .agpr_count:     0
    .args:
      - .address_space:  global
        .offset:         0
        .size:           8
        .value_kind:     global_buffer
      - .offset:         8
        .size:           4
        .value_kind:     by_value
      - .offset:         12
        .size:           4
        .value_kind:     by_value
      - .address_space:  global
        .offset:         16
        .size:           8
        .value_kind:     global_buffer
      - .offset:         24
        .size:           1
        .value_kind:     by_value
      - .offset:         28
        .size:           4
        .value_kind:     by_value
    .group_segment_fixed_size: 0
    .kernarg_segment_align: 8
    .kernarg_segment_size: 32
    .language:       OpenCL C
    .language_version:
      - 2
      - 0
    .max_flat_workgroup_size: 128
    .name:           _ZN7rocprim17ROCPRIM_304000_NS6detail45device_block_merge_mergepath_partition_kernelINS1_37wrapped_merge_sort_block_merge_configINS0_14default_configEhN2at4cuda3cub6detail10OpaqueTypeILi8EEEEEPhjNS1_19radix_merge_compareILb0ELb0EhNS0_19identity_decomposerEEEEEvT0_T1_jPSH_T2_SH_
    .private_segment_fixed_size: 0
    .sgpr_count:     11
    .sgpr_spill_count: 0
    .symbol:         _ZN7rocprim17ROCPRIM_304000_NS6detail45device_block_merge_mergepath_partition_kernelINS1_37wrapped_merge_sort_block_merge_configINS0_14default_configEhN2at4cuda3cub6detail10OpaqueTypeILi8EEEEEPhjNS1_19radix_merge_compareILb0ELb0EhNS0_19identity_decomposerEEEEEvT0_T1_jPSH_T2_SH_.kd
    .uniform_work_group_size: 1
    .uses_dynamic_stack: false
    .vgpr_count:     16
    .vgpr_spill_count: 0
    .wavefront_size: 64
  - .agpr_count:     0
    .args:
      - .address_space:  global
        .offset:         0
        .size:           8
        .value_kind:     global_buffer
      - .address_space:  global
        .offset:         8
        .size:           8
        .value_kind:     global_buffer
      - .address_space:  global
        .offset:         16
        .size:           8
        .value_kind:     global_buffer
      - .address_space:  global
        .offset:         24
        .size:           8
        .value_kind:     global_buffer
      - .offset:         32
        .size:           4
        .value_kind:     by_value
      - .offset:         36
        .size:           4
        .value_kind:     by_value
      - .offset:         40
        .size:           4
        .value_kind:     by_value
      - .offset:         44
        .size:           1
        .value_kind:     by_value
      - .address_space:  global
        .offset:         48
        .size:           8
        .value_kind:     global_buffer
      - .address_space:  global
        .offset:         56
        .size:           8
        .value_kind:     global_buffer
      - .offset:         64
        .size:           4
        .value_kind:     hidden_block_count_x
      - .offset:         68
        .size:           4
        .value_kind:     hidden_block_count_y
      - .offset:         72
        .size:           4
        .value_kind:     hidden_block_count_z
      - .offset:         76
        .size:           2
        .value_kind:     hidden_group_size_x
      - .offset:         78
        .size:           2
        .value_kind:     hidden_group_size_y
      - .offset:         80
        .size:           2
        .value_kind:     hidden_group_size_z
      - .offset:         82
        .size:           2
        .value_kind:     hidden_remainder_x
      - .offset:         84
        .size:           2
        .value_kind:     hidden_remainder_y
      - .offset:         86
        .size:           2
        .value_kind:     hidden_remainder_z
      - .offset:         104
        .size:           8
        .value_kind:     hidden_global_offset_x
      - .offset:         112
        .size:           8
        .value_kind:     hidden_global_offset_y
      - .offset:         120
        .size:           8
        .value_kind:     hidden_global_offset_z
      - .offset:         128
        .size:           2
        .value_kind:     hidden_grid_dims
    .group_segment_fixed_size: 8208
    .kernarg_segment_align: 8
    .kernarg_segment_size: 320
    .language:       OpenCL C
    .language_version:
      - 2
      - 0
    .max_flat_workgroup_size: 256
    .name:           _ZN7rocprim17ROCPRIM_304000_NS6detail35device_block_merge_mergepath_kernelINS1_37wrapped_merge_sort_block_merge_configINS0_14default_configEhN2at4cuda3cub6detail10OpaqueTypeILi8EEEEEPhSC_PSA_SD_jNS1_19radix_merge_compareILb0ELb0EhNS0_19identity_decomposerEEEEEvT0_T1_T2_T3_T4_SL_jT5_PKSL_NS1_7vsmem_tE
    .private_segment_fixed_size: 0
    .sgpr_count:     35
    .sgpr_spill_count: 0
    .symbol:         _ZN7rocprim17ROCPRIM_304000_NS6detail35device_block_merge_mergepath_kernelINS1_37wrapped_merge_sort_block_merge_configINS0_14default_configEhN2at4cuda3cub6detail10OpaqueTypeILi8EEEEEPhSC_PSA_SD_jNS1_19radix_merge_compareILb0ELb0EhNS0_19identity_decomposerEEEEEvT0_T1_T2_T3_T4_SL_jT5_PKSL_NS1_7vsmem_tE.kd
    .uniform_work_group_size: 1
    .uses_dynamic_stack: false
    .vgpr_count:     24
    .vgpr_spill_count: 0
    .wavefront_size: 64
  - .agpr_count:     0
    .args:
      - .address_space:  global
        .offset:         0
        .size:           8
        .value_kind:     global_buffer
      - .address_space:  global
        .offset:         8
        .size:           8
        .value_kind:     global_buffer
      - .address_space:  global
        .offset:         16
        .size:           8
        .value_kind:     global_buffer
      - .address_space:  global
        .offset:         24
        .size:           8
        .value_kind:     global_buffer
      - .offset:         32
        .size:           4
        .value_kind:     by_value
      - .offset:         36
        .size:           4
        .value_kind:     by_value
      - .offset:         40
        .size:           1
        .value_kind:     by_value
    .group_segment_fixed_size: 0
    .kernarg_segment_align: 8
    .kernarg_segment_size: 44
    .language:       OpenCL C
    .language_version:
      - 2
      - 0
    .max_flat_workgroup_size: 256
    .name:           _ZN7rocprim17ROCPRIM_304000_NS6detail33device_block_merge_oddeven_kernelINS1_37wrapped_merge_sort_block_merge_configINS0_14default_configEhN2at4cuda3cub6detail10OpaqueTypeILi8EEEEEPhSC_PSA_SD_jNS1_19radix_merge_compareILb0ELb0EhNS0_19identity_decomposerEEEEEvT0_T1_T2_T3_T4_SL_T5_
    .private_segment_fixed_size: 0
    .sgpr_count:     27
    .sgpr_spill_count: 0
    .symbol:         _ZN7rocprim17ROCPRIM_304000_NS6detail33device_block_merge_oddeven_kernelINS1_37wrapped_merge_sort_block_merge_configINS0_14default_configEhN2at4cuda3cub6detail10OpaqueTypeILi8EEEEEPhSC_PSA_SD_jNS1_19radix_merge_compareILb0ELb0EhNS0_19identity_decomposerEEEEEvT0_T1_T2_T3_T4_SL_T5_.kd
    .uniform_work_group_size: 1
    .uses_dynamic_stack: false
    .vgpr_count:     10
    .vgpr_spill_count: 0
    .wavefront_size: 64
  - .agpr_count:     0
    .args:
      - .address_space:  global
        .offset:         0
        .size:           8
        .value_kind:     global_buffer
      - .offset:         8
        .size:           4
        .value_kind:     by_value
      - .offset:         12
        .size:           4
        .value_kind:     by_value
      - .address_space:  global
        .offset:         16
        .size:           8
        .value_kind:     global_buffer
      - .offset:         24
        .size:           1
        .value_kind:     by_value
      - .offset:         28
        .size:           4
        .value_kind:     by_value
    .group_segment_fixed_size: 0
    .kernarg_segment_align: 8
    .kernarg_segment_size: 32
    .language:       OpenCL C
    .language_version:
      - 2
      - 0
    .max_flat_workgroup_size: 128
    .name:           _ZN7rocprim17ROCPRIM_304000_NS6detail45device_block_merge_mergepath_partition_kernelINS1_37wrapped_merge_sort_block_merge_configINS0_14default_configEhN2at4cuda3cub6detail10OpaqueTypeILi8EEEEEPhjNS1_19radix_merge_compareILb0ELb1EhNS0_19identity_decomposerEEEEEvT0_T1_jPSH_T2_SH_
    .private_segment_fixed_size: 0
    .sgpr_count:     12
    .sgpr_spill_count: 0
    .symbol:         _ZN7rocprim17ROCPRIM_304000_NS6detail45device_block_merge_mergepath_partition_kernelINS1_37wrapped_merge_sort_block_merge_configINS0_14default_configEhN2at4cuda3cub6detail10OpaqueTypeILi8EEEEEPhjNS1_19radix_merge_compareILb0ELb1EhNS0_19identity_decomposerEEEEEvT0_T1_jPSH_T2_SH_.kd
    .uniform_work_group_size: 1
    .uses_dynamic_stack: false
    .vgpr_count:     16
    .vgpr_spill_count: 0
    .wavefront_size: 64
  - .agpr_count:     0
    .args:
      - .address_space:  global
        .offset:         0
        .size:           8
        .value_kind:     global_buffer
      - .address_space:  global
        .offset:         8
        .size:           8
        .value_kind:     global_buffer
      - .address_space:  global
        .offset:         16
        .size:           8
        .value_kind:     global_buffer
      - .address_space:  global
        .offset:         24
        .size:           8
        .value_kind:     global_buffer
      - .offset:         32
        .size:           4
        .value_kind:     by_value
      - .offset:         36
        .size:           4
        .value_kind:     by_value
      - .offset:         40
        .size:           4
        .value_kind:     by_value
      - .offset:         44
        .size:           1
        .value_kind:     by_value
      - .address_space:  global
        .offset:         48
        .size:           8
        .value_kind:     global_buffer
      - .address_space:  global
        .offset:         56
        .size:           8
        .value_kind:     global_buffer
      - .offset:         64
        .size:           4
        .value_kind:     hidden_block_count_x
      - .offset:         68
        .size:           4
        .value_kind:     hidden_block_count_y
      - .offset:         72
        .size:           4
        .value_kind:     hidden_block_count_z
      - .offset:         76
        .size:           2
        .value_kind:     hidden_group_size_x
      - .offset:         78
        .size:           2
        .value_kind:     hidden_group_size_y
      - .offset:         80
        .size:           2
        .value_kind:     hidden_group_size_z
      - .offset:         82
        .size:           2
        .value_kind:     hidden_remainder_x
      - .offset:         84
        .size:           2
        .value_kind:     hidden_remainder_y
      - .offset:         86
        .size:           2
        .value_kind:     hidden_remainder_z
      - .offset:         104
        .size:           8
        .value_kind:     hidden_global_offset_x
      - .offset:         112
        .size:           8
        .value_kind:     hidden_global_offset_y
      - .offset:         120
        .size:           8
        .value_kind:     hidden_global_offset_z
      - .offset:         128
        .size:           2
        .value_kind:     hidden_grid_dims
    .group_segment_fixed_size: 8208
    .kernarg_segment_align: 8
    .kernarg_segment_size: 320
    .language:       OpenCL C
    .language_version:
      - 2
      - 0
    .max_flat_workgroup_size: 256
    .name:           _ZN7rocprim17ROCPRIM_304000_NS6detail35device_block_merge_mergepath_kernelINS1_37wrapped_merge_sort_block_merge_configINS0_14default_configEhN2at4cuda3cub6detail10OpaqueTypeILi8EEEEEPhSC_PSA_SD_jNS1_19radix_merge_compareILb0ELb1EhNS0_19identity_decomposerEEEEEvT0_T1_T2_T3_T4_SL_jT5_PKSL_NS1_7vsmem_tE
    .private_segment_fixed_size: 0
    .sgpr_count:     35
    .sgpr_spill_count: 0
    .symbol:         _ZN7rocprim17ROCPRIM_304000_NS6detail35device_block_merge_mergepath_kernelINS1_37wrapped_merge_sort_block_merge_configINS0_14default_configEhN2at4cuda3cub6detail10OpaqueTypeILi8EEEEEPhSC_PSA_SD_jNS1_19radix_merge_compareILb0ELb1EhNS0_19identity_decomposerEEEEEvT0_T1_T2_T3_T4_SL_jT5_PKSL_NS1_7vsmem_tE.kd
    .uniform_work_group_size: 1
    .uses_dynamic_stack: false
    .vgpr_count:     24
    .vgpr_spill_count: 0
    .wavefront_size: 64
  - .agpr_count:     0
    .args:
      - .address_space:  global
        .offset:         0
        .size:           8
        .value_kind:     global_buffer
      - .address_space:  global
        .offset:         8
        .size:           8
        .value_kind:     global_buffer
      - .address_space:  global
        .offset:         16
        .size:           8
        .value_kind:     global_buffer
      - .address_space:  global
        .offset:         24
        .size:           8
        .value_kind:     global_buffer
      - .offset:         32
        .size:           4
        .value_kind:     by_value
      - .offset:         36
        .size:           4
        .value_kind:     by_value
      - .offset:         40
        .size:           1
        .value_kind:     by_value
    .group_segment_fixed_size: 0
    .kernarg_segment_align: 8
    .kernarg_segment_size: 44
    .language:       OpenCL C
    .language_version:
      - 2
      - 0
    .max_flat_workgroup_size: 256
    .name:           _ZN7rocprim17ROCPRIM_304000_NS6detail33device_block_merge_oddeven_kernelINS1_37wrapped_merge_sort_block_merge_configINS0_14default_configEhN2at4cuda3cub6detail10OpaqueTypeILi8EEEEEPhSC_PSA_SD_jNS1_19radix_merge_compareILb0ELb1EhNS0_19identity_decomposerEEEEEvT0_T1_T2_T3_T4_SL_T5_
    .private_segment_fixed_size: 0
    .sgpr_count:     28
    .sgpr_spill_count: 0
    .symbol:         _ZN7rocprim17ROCPRIM_304000_NS6detail33device_block_merge_oddeven_kernelINS1_37wrapped_merge_sort_block_merge_configINS0_14default_configEhN2at4cuda3cub6detail10OpaqueTypeILi8EEEEEPhSC_PSA_SD_jNS1_19radix_merge_compareILb0ELb1EhNS0_19identity_decomposerEEEEEvT0_T1_T2_T3_T4_SL_T5_.kd
    .uniform_work_group_size: 1
    .uses_dynamic_stack: false
    .vgpr_count:     11
    .vgpr_spill_count: 0
    .wavefront_size: 64
  - .agpr_count:     0
    .args:
      - .address_space:  global
        .offset:         0
        .size:           8
        .value_kind:     global_buffer
      - .address_space:  global
        .offset:         8
        .size:           8
        .value_kind:     global_buffer
      - .offset:         16
        .size:           8
        .value_kind:     by_value
      - .offset:         24
        .size:           8
        .value_kind:     by_value
      - .offset:         32
        .size:           1
        .value_kind:     by_value
      - .offset:         36
        .size:           4
        .value_kind:     by_value
      - .offset:         40
        .size:           4
        .value_kind:     by_value
    .group_segment_fixed_size: 4096
    .kernarg_segment_align: 8
    .kernarg_segment_size: 44
    .language:       OpenCL C
    .language_version:
      - 2
      - 0
    .max_flat_workgroup_size: 512
    .name:           _ZN7rocprim17ROCPRIM_304000_NS6detail26onesweep_histograms_kernelINS1_34wrapped_radix_sort_onesweep_configINS0_14default_configEhN2at4cuda3cub6detail10OpaqueTypeILi8EEEEELb0EPKhmNS0_19identity_decomposerEEEvT1_PT2_SG_SG_T3_jj
    .private_segment_fixed_size: 0
    .sgpr_count:     30
    .sgpr_spill_count: 0
    .symbol:         _ZN7rocprim17ROCPRIM_304000_NS6detail26onesweep_histograms_kernelINS1_34wrapped_radix_sort_onesweep_configINS0_14default_configEhN2at4cuda3cub6detail10OpaqueTypeILi8EEEEELb0EPKhmNS0_19identity_decomposerEEEvT1_PT2_SG_SG_T3_jj.kd
    .uniform_work_group_size: 1
    .uses_dynamic_stack: false
    .vgpr_count:     18
    .vgpr_spill_count: 0
    .wavefront_size: 64
  - .agpr_count:     0
    .args:
      - .address_space:  global
        .offset:         0
        .size:           8
        .value_kind:     global_buffer
      - .address_space:  global
        .offset:         8
        .size:           8
        .value_kind:     global_buffer
      - .address_space:  global
        .offset:         16
        .size:           8
        .value_kind:     global_buffer
      - .address_space:  global
        .offset:         24
        .size:           8
        .value_kind:     global_buffer
      - .offset:         32
        .size:           4
        .value_kind:     by_value
      - .address_space:  global
        .offset:         40
        .size:           8
        .value_kind:     global_buffer
      - .address_space:  global
        .offset:         48
        .size:           8
        .value_kind:     global_buffer
      - .address_space:  global
        .offset:         56
        .size:           8
        .value_kind:     global_buffer
      - .offset:         64
        .size:           1
        .value_kind:     by_value
      - .offset:         68
        .size:           4
        .value_kind:     by_value
      - .offset:         72
        .size:           4
        .value_kind:     by_value
      - .offset:         76
        .size:           4
        .value_kind:     by_value
      - .offset:         80
        .size:           4
        .value_kind:     hidden_block_count_x
      - .offset:         84
        .size:           4
        .value_kind:     hidden_block_count_y
      - .offset:         88
        .size:           4
        .value_kind:     hidden_block_count_z
      - .offset:         92
        .size:           2
        .value_kind:     hidden_group_size_x
      - .offset:         94
        .size:           2
        .value_kind:     hidden_group_size_y
      - .offset:         96
        .size:           2
        .value_kind:     hidden_group_size_z
      - .offset:         98
        .size:           2
        .value_kind:     hidden_remainder_x
      - .offset:         100
        .size:           2
        .value_kind:     hidden_remainder_y
      - .offset:         102
        .size:           2
        .value_kind:     hidden_remainder_z
      - .offset:         120
        .size:           8
        .value_kind:     hidden_global_offset_x
      - .offset:         128
        .size:           8
        .value_kind:     hidden_global_offset_y
      - .offset:         136
        .size:           8
        .value_kind:     hidden_global_offset_z
      - .offset:         144
        .size:           2
        .value_kind:     hidden_grid_dims
    .group_segment_fixed_size: 26624
    .kernarg_segment_align: 8
    .kernarg_segment_size: 336
    .language:       OpenCL C
    .language_version:
      - 2
      - 0
    .max_flat_workgroup_size: 512
    .name:           _ZN7rocprim17ROCPRIM_304000_NS6detail25onesweep_iteration_kernelINS1_34wrapped_radix_sort_onesweep_configINS0_14default_configEhN2at4cuda3cub6detail10OpaqueTypeILi8EEEEELb0EPKhPhPKSA_PSA_mNS0_19identity_decomposerEEEvT1_T2_T3_T4_jPT5_SO_PNS1_23onesweep_lookback_stateET6_jjj
    .private_segment_fixed_size: 0
    .sgpr_count:     56
    .sgpr_spill_count: 0
    .symbol:         _ZN7rocprim17ROCPRIM_304000_NS6detail25onesweep_iteration_kernelINS1_34wrapped_radix_sort_onesweep_configINS0_14default_configEhN2at4cuda3cub6detail10OpaqueTypeILi8EEEEELb0EPKhPhPKSA_PSA_mNS0_19identity_decomposerEEEvT1_T2_T3_T4_jPT5_SO_PNS1_23onesweep_lookback_stateET6_jjj.kd
    .uniform_work_group_size: 1
    .uses_dynamic_stack: false
    .vgpr_count:     40
    .vgpr_spill_count: 0
    .wavefront_size: 64
  - .agpr_count:     0
    .args:
      - .address_space:  global
        .offset:         0
        .size:           8
        .value_kind:     global_buffer
      - .address_space:  global
        .offset:         8
        .size:           8
        .value_kind:     global_buffer
      - .address_space:  global
        .offset:         16
        .size:           8
        .value_kind:     global_buffer
      - .address_space:  global
        .offset:         24
        .size:           8
        .value_kind:     global_buffer
      - .offset:         32
        .size:           4
        .value_kind:     by_value
      - .address_space:  global
        .offset:         40
        .size:           8
        .value_kind:     global_buffer
      - .address_space:  global
        .offset:         48
        .size:           8
        .value_kind:     global_buffer
      - .address_space:  global
        .offset:         56
        .size:           8
        .value_kind:     global_buffer
      - .offset:         64
        .size:           1
        .value_kind:     by_value
      - .offset:         68
        .size:           4
        .value_kind:     by_value
      - .offset:         72
        .size:           4
        .value_kind:     by_value
      - .offset:         76
        .size:           4
        .value_kind:     by_value
      - .offset:         80
        .size:           4
        .value_kind:     hidden_block_count_x
      - .offset:         84
        .size:           4
        .value_kind:     hidden_block_count_y
      - .offset:         88
        .size:           4
        .value_kind:     hidden_block_count_z
      - .offset:         92
        .size:           2
        .value_kind:     hidden_group_size_x
      - .offset:         94
        .size:           2
        .value_kind:     hidden_group_size_y
      - .offset:         96
        .size:           2
        .value_kind:     hidden_group_size_z
      - .offset:         98
        .size:           2
        .value_kind:     hidden_remainder_x
      - .offset:         100
        .size:           2
        .value_kind:     hidden_remainder_y
      - .offset:         102
        .size:           2
        .value_kind:     hidden_remainder_z
      - .offset:         120
        .size:           8
        .value_kind:     hidden_global_offset_x
      - .offset:         128
        .size:           8
        .value_kind:     hidden_global_offset_y
      - .offset:         136
        .size:           8
        .value_kind:     hidden_global_offset_z
      - .offset:         144
        .size:           2
        .value_kind:     hidden_grid_dims
    .group_segment_fixed_size: 26624
    .kernarg_segment_align: 8
    .kernarg_segment_size: 336
    .language:       OpenCL C
    .language_version:
      - 2
      - 0
    .max_flat_workgroup_size: 512
    .name:           _ZN7rocprim17ROCPRIM_304000_NS6detail25onesweep_iteration_kernelINS1_34wrapped_radix_sort_onesweep_configINS0_14default_configEhN2at4cuda3cub6detail10OpaqueTypeILi8EEEEELb0EPhSC_PSA_SD_mNS0_19identity_decomposerEEEvT1_T2_T3_T4_jPT5_SK_PNS1_23onesweep_lookback_stateET6_jjj
    .private_segment_fixed_size: 0
    .sgpr_count:     56
    .sgpr_spill_count: 0
    .symbol:         _ZN7rocprim17ROCPRIM_304000_NS6detail25onesweep_iteration_kernelINS1_34wrapped_radix_sort_onesweep_configINS0_14default_configEhN2at4cuda3cub6detail10OpaqueTypeILi8EEEEELb0EPhSC_PSA_SD_mNS0_19identity_decomposerEEEvT1_T2_T3_T4_jPT5_SK_PNS1_23onesweep_lookback_stateET6_jjj.kd
    .uniform_work_group_size: 1
    .uses_dynamic_stack: false
    .vgpr_count:     40
    .vgpr_spill_count: 0
    .wavefront_size: 64
  - .agpr_count:     0
    .args:
      - .address_space:  global
        .offset:         0
        .size:           8
        .value_kind:     global_buffer
      - .address_space:  global
        .offset:         8
        .size:           8
        .value_kind:     global_buffer
      - .address_space:  global
        .offset:         16
        .size:           8
        .value_kind:     global_buffer
      - .address_space:  global
        .offset:         24
        .size:           8
        .value_kind:     global_buffer
      - .offset:         32
        .size:           4
        .value_kind:     by_value
      - .offset:         36
        .size:           1
        .value_kind:     by_value
      - .offset:         40
        .size:           4
        .value_kind:     by_value
      - .offset:         44
        .size:           4
        .value_kind:     by_value
      - .offset:         48
        .size:           4
        .value_kind:     hidden_block_count_x
      - .offset:         52
        .size:           4
        .value_kind:     hidden_block_count_y
      - .offset:         56
        .size:           4
        .value_kind:     hidden_block_count_z
      - .offset:         60
        .size:           2
        .value_kind:     hidden_group_size_x
      - .offset:         62
        .size:           2
        .value_kind:     hidden_group_size_y
      - .offset:         64
        .size:           2
        .value_kind:     hidden_group_size_z
      - .offset:         66
        .size:           2
        .value_kind:     hidden_remainder_x
      - .offset:         68
        .size:           2
        .value_kind:     hidden_remainder_y
      - .offset:         70
        .size:           2
        .value_kind:     hidden_remainder_z
      - .offset:         88
        .size:           8
        .value_kind:     hidden_global_offset_x
      - .offset:         96
        .size:           8
        .value_kind:     hidden_global_offset_y
      - .offset:         104
        .size:           8
        .value_kind:     hidden_global_offset_z
      - .offset:         112
        .size:           2
        .value_kind:     hidden_grid_dims
    .group_segment_fixed_size: 8192
    .kernarg_segment_align: 8
    .kernarg_segment_size: 304
    .language:       OpenCL C
    .language_version:
      - 2
      - 0
    .max_flat_workgroup_size: 256
    .name:           _ZN7rocprim17ROCPRIM_304000_NS6detail28radix_sort_block_sort_kernelINS1_36wrapped_radix_sort_block_sort_configINS0_13kernel_configILj256ELj4ELj4294967295EEEaN2at4cuda3cub6detail10OpaqueTypeILi8EEEEELb1EPKaPaPKSB_PSB_NS0_19identity_decomposerEEEvT1_T2_T3_T4_jT5_jj
    .private_segment_fixed_size: 0
    .sgpr_count:     48
    .sgpr_spill_count: 0
    .symbol:         _ZN7rocprim17ROCPRIM_304000_NS6detail28radix_sort_block_sort_kernelINS1_36wrapped_radix_sort_block_sort_configINS0_13kernel_configILj256ELj4ELj4294967295EEEaN2at4cuda3cub6detail10OpaqueTypeILi8EEEEELb1EPKaPaPKSB_PSB_NS0_19identity_decomposerEEEvT1_T2_T3_T4_jT5_jj.kd
    .uniform_work_group_size: 1
    .uses_dynamic_stack: false
    .vgpr_count:     50
    .vgpr_spill_count: 0
    .wavefront_size: 64
  - .agpr_count:     0
    .args:           []
    .group_segment_fixed_size: 0
    .kernarg_segment_align: 4
    .kernarg_segment_size: 0
    .language:       OpenCL C
    .language_version:
      - 2
      - 0
    .max_flat_workgroup_size: 1024
    .name:           _ZN7rocprim17ROCPRIM_304000_NS6detail39device_merge_sort_compile_time_verifierINS1_36wrapped_merge_sort_block_sort_configINS1_28merge_sort_block_sort_configILj256ELj4ELNS0_20block_sort_algorithmE0EEEaN2at4cuda3cub6detail10OpaqueTypeILi8EEEEENS1_37wrapped_merge_sort_block_merge_configINS0_14default_configEaSC_EEEEvv
    .private_segment_fixed_size: 0
    .sgpr_count:     4
    .sgpr_spill_count: 0
    .symbol:         _ZN7rocprim17ROCPRIM_304000_NS6detail39device_merge_sort_compile_time_verifierINS1_36wrapped_merge_sort_block_sort_configINS1_28merge_sort_block_sort_configILj256ELj4ELNS0_20block_sort_algorithmE0EEEaN2at4cuda3cub6detail10OpaqueTypeILi8EEEEENS1_37wrapped_merge_sort_block_merge_configINS0_14default_configEaSC_EEEEvv.kd
    .uniform_work_group_size: 1
    .uses_dynamic_stack: false
    .vgpr_count:     0
    .vgpr_spill_count: 0
    .wavefront_size: 64
  - .agpr_count:     0
    .args:
      - .address_space:  global
        .offset:         0
        .size:           8
        .value_kind:     global_buffer
      - .offset:         8
        .size:           4
        .value_kind:     by_value
      - .offset:         12
        .size:           4
        .value_kind:     by_value
      - .address_space:  global
        .offset:         16
        .size:           8
        .value_kind:     global_buffer
      - .offset:         24
        .size:           1
        .value_kind:     by_value
      - .offset:         28
        .size:           4
        .value_kind:     by_value
    .group_segment_fixed_size: 0
    .kernarg_segment_align: 8
    .kernarg_segment_size: 32
    .language:       OpenCL C
    .language_version:
      - 2
      - 0
    .max_flat_workgroup_size: 128
    .name:           _ZN7rocprim17ROCPRIM_304000_NS6detail45device_block_merge_mergepath_partition_kernelINS1_37wrapped_merge_sort_block_merge_configINS0_14default_configEaN2at4cuda3cub6detail10OpaqueTypeILi8EEEEEPajNS1_19radix_merge_compareILb1ELb0EaNS0_19identity_decomposerEEEEEvT0_T1_jPSH_T2_SH_
    .private_segment_fixed_size: 0
    .sgpr_count:     11
    .sgpr_spill_count: 0
    .symbol:         _ZN7rocprim17ROCPRIM_304000_NS6detail45device_block_merge_mergepath_partition_kernelINS1_37wrapped_merge_sort_block_merge_configINS0_14default_configEaN2at4cuda3cub6detail10OpaqueTypeILi8EEEEEPajNS1_19radix_merge_compareILb1ELb0EaNS0_19identity_decomposerEEEEEvT0_T1_jPSH_T2_SH_.kd
    .uniform_work_group_size: 1
    .uses_dynamic_stack: false
    .vgpr_count:     16
    .vgpr_spill_count: 0
    .wavefront_size: 64
  - .agpr_count:     0
    .args:
      - .address_space:  global
        .offset:         0
        .size:           8
        .value_kind:     global_buffer
      - .address_space:  global
        .offset:         8
        .size:           8
        .value_kind:     global_buffer
      - .address_space:  global
        .offset:         16
        .size:           8
        .value_kind:     global_buffer
      - .address_space:  global
        .offset:         24
        .size:           8
        .value_kind:     global_buffer
      - .offset:         32
        .size:           4
        .value_kind:     by_value
      - .offset:         36
        .size:           4
        .value_kind:     by_value
      - .offset:         40
        .size:           4
        .value_kind:     by_value
      - .offset:         44
        .size:           1
        .value_kind:     by_value
      - .address_space:  global
        .offset:         48
        .size:           8
        .value_kind:     global_buffer
      - .address_space:  global
        .offset:         56
        .size:           8
        .value_kind:     global_buffer
      - .offset:         64
        .size:           4
        .value_kind:     hidden_block_count_x
      - .offset:         68
        .size:           4
        .value_kind:     hidden_block_count_y
      - .offset:         72
        .size:           4
        .value_kind:     hidden_block_count_z
      - .offset:         76
        .size:           2
        .value_kind:     hidden_group_size_x
      - .offset:         78
        .size:           2
        .value_kind:     hidden_group_size_y
      - .offset:         80
        .size:           2
        .value_kind:     hidden_group_size_z
      - .offset:         82
        .size:           2
        .value_kind:     hidden_remainder_x
      - .offset:         84
        .size:           2
        .value_kind:     hidden_remainder_y
      - .offset:         86
        .size:           2
        .value_kind:     hidden_remainder_z
      - .offset:         104
        .size:           8
        .value_kind:     hidden_global_offset_x
      - .offset:         112
        .size:           8
        .value_kind:     hidden_global_offset_y
      - .offset:         120
        .size:           8
        .value_kind:     hidden_global_offset_z
      - .offset:         128
        .size:           2
        .value_kind:     hidden_grid_dims
    .group_segment_fixed_size: 8208
    .kernarg_segment_align: 8
    .kernarg_segment_size: 320
    .language:       OpenCL C
    .language_version:
      - 2
      - 0
    .max_flat_workgroup_size: 256
    .name:           _ZN7rocprim17ROCPRIM_304000_NS6detail35device_block_merge_mergepath_kernelINS1_37wrapped_merge_sort_block_merge_configINS0_14default_configEaN2at4cuda3cub6detail10OpaqueTypeILi8EEEEEPaSC_PSA_SD_jNS1_19radix_merge_compareILb1ELb0EaNS0_19identity_decomposerEEEEEvT0_T1_T2_T3_T4_SL_jT5_PKSL_NS1_7vsmem_tE
    .private_segment_fixed_size: 0
    .sgpr_count:     35
    .sgpr_spill_count: 0
    .symbol:         _ZN7rocprim17ROCPRIM_304000_NS6detail35device_block_merge_mergepath_kernelINS1_37wrapped_merge_sort_block_merge_configINS0_14default_configEaN2at4cuda3cub6detail10OpaqueTypeILi8EEEEEPaSC_PSA_SD_jNS1_19radix_merge_compareILb1ELb0EaNS0_19identity_decomposerEEEEEvT0_T1_T2_T3_T4_SL_jT5_PKSL_NS1_7vsmem_tE.kd
    .uniform_work_group_size: 1
    .uses_dynamic_stack: false
    .vgpr_count:     24
    .vgpr_spill_count: 0
    .wavefront_size: 64
  - .agpr_count:     0
    .args:
      - .address_space:  global
        .offset:         0
        .size:           8
        .value_kind:     global_buffer
      - .address_space:  global
        .offset:         8
        .size:           8
        .value_kind:     global_buffer
      - .address_space:  global
        .offset:         16
        .size:           8
        .value_kind:     global_buffer
      - .address_space:  global
        .offset:         24
        .size:           8
        .value_kind:     global_buffer
      - .offset:         32
        .size:           4
        .value_kind:     by_value
      - .offset:         36
        .size:           4
        .value_kind:     by_value
      - .offset:         40
        .size:           1
        .value_kind:     by_value
    .group_segment_fixed_size: 0
    .kernarg_segment_align: 8
    .kernarg_segment_size: 44
    .language:       OpenCL C
    .language_version:
      - 2
      - 0
    .max_flat_workgroup_size: 256
    .name:           _ZN7rocprim17ROCPRIM_304000_NS6detail33device_block_merge_oddeven_kernelINS1_37wrapped_merge_sort_block_merge_configINS0_14default_configEaN2at4cuda3cub6detail10OpaqueTypeILi8EEEEEPaSC_PSA_SD_jNS1_19radix_merge_compareILb1ELb0EaNS0_19identity_decomposerEEEEEvT0_T1_T2_T3_T4_SL_T5_
    .private_segment_fixed_size: 0
    .sgpr_count:     27
    .sgpr_spill_count: 0
    .symbol:         _ZN7rocprim17ROCPRIM_304000_NS6detail33device_block_merge_oddeven_kernelINS1_37wrapped_merge_sort_block_merge_configINS0_14default_configEaN2at4cuda3cub6detail10OpaqueTypeILi8EEEEEPaSC_PSA_SD_jNS1_19radix_merge_compareILb1ELb0EaNS0_19identity_decomposerEEEEEvT0_T1_T2_T3_T4_SL_T5_.kd
    .uniform_work_group_size: 1
    .uses_dynamic_stack: false
    .vgpr_count:     10
    .vgpr_spill_count: 0
    .wavefront_size: 64
  - .agpr_count:     0
    .args:
      - .address_space:  global
        .offset:         0
        .size:           8
        .value_kind:     global_buffer
      - .offset:         8
        .size:           8
        .value_kind:     by_value
      - .address_space:  global
        .offset:         16
        .size:           8
        .value_kind:     global_buffer
      - .offset:         24
        .size:           1
        .value_kind:     by_value
      - .offset:         32
        .size:           4
        .value_kind:     hidden_block_count_x
      - .offset:         36
        .size:           4
        .value_kind:     hidden_block_count_y
      - .offset:         40
        .size:           4
        .value_kind:     hidden_block_count_z
      - .offset:         44
        .size:           2
        .value_kind:     hidden_group_size_x
      - .offset:         46
        .size:           2
        .value_kind:     hidden_group_size_y
      - .offset:         48
        .size:           2
        .value_kind:     hidden_group_size_z
      - .offset:         50
        .size:           2
        .value_kind:     hidden_remainder_x
      - .offset:         52
        .size:           2
        .value_kind:     hidden_remainder_y
      - .offset:         54
        .size:           2
        .value_kind:     hidden_remainder_z
      - .offset:         72
        .size:           8
        .value_kind:     hidden_global_offset_x
      - .offset:         80
        .size:           8
        .value_kind:     hidden_global_offset_y
      - .offset:         88
        .size:           8
        .value_kind:     hidden_global_offset_z
      - .offset:         96
        .size:           2
        .value_kind:     hidden_grid_dims
    .group_segment_fixed_size: 0
    .kernarg_segment_align: 8
    .kernarg_segment_size: 288
    .language:       OpenCL C
    .language_version:
      - 2
      - 0
    .max_flat_workgroup_size: 64
    .name:           _ZN7rocprim17ROCPRIM_304000_NS6detail16transform_kernelINS1_24wrapped_transform_configINS0_14default_configEaEEaPaS6_NS0_8identityIaEEEEvT1_mT2_T3_
    .private_segment_fixed_size: 0
    .sgpr_count:     42
    .sgpr_spill_count: 0
    .symbol:         _ZN7rocprim17ROCPRIM_304000_NS6detail16transform_kernelINS1_24wrapped_transform_configINS0_14default_configEaEEaPaS6_NS0_8identityIaEEEEvT1_mT2_T3_.kd
    .uniform_work_group_size: 1
    .uses_dynamic_stack: false
    .vgpr_count:     21
    .vgpr_spill_count: 0
    .wavefront_size: 64
  - .agpr_count:     0
    .args:
      - .address_space:  global
        .offset:         0
        .size:           8
        .value_kind:     global_buffer
      - .offset:         8
        .size:           4
        .value_kind:     by_value
      - .offset:         12
        .size:           4
        .value_kind:     by_value
      - .address_space:  global
        .offset:         16
        .size:           8
        .value_kind:     global_buffer
      - .offset:         24
        .size:           1
        .value_kind:     by_value
      - .offset:         28
        .size:           4
        .value_kind:     by_value
    .group_segment_fixed_size: 0
    .kernarg_segment_align: 8
    .kernarg_segment_size: 32
    .language:       OpenCL C
    .language_version:
      - 2
      - 0
    .max_flat_workgroup_size: 128
    .name:           _ZN7rocprim17ROCPRIM_304000_NS6detail45device_block_merge_mergepath_partition_kernelINS1_37wrapped_merge_sort_block_merge_configINS0_14default_configEaN2at4cuda3cub6detail10OpaqueTypeILi8EEEEEPajNS1_19radix_merge_compareILb1ELb1EaNS0_19identity_decomposerEEEEEvT0_T1_jPSH_T2_SH_
    .private_segment_fixed_size: 0
    .sgpr_count:     12
    .sgpr_spill_count: 0
    .symbol:         _ZN7rocprim17ROCPRIM_304000_NS6detail45device_block_merge_mergepath_partition_kernelINS1_37wrapped_merge_sort_block_merge_configINS0_14default_configEaN2at4cuda3cub6detail10OpaqueTypeILi8EEEEEPajNS1_19radix_merge_compareILb1ELb1EaNS0_19identity_decomposerEEEEEvT0_T1_jPSH_T2_SH_.kd
    .uniform_work_group_size: 1
    .uses_dynamic_stack: false
    .vgpr_count:     16
    .vgpr_spill_count: 0
    .wavefront_size: 64
  - .agpr_count:     0
    .args:
      - .address_space:  global
        .offset:         0
        .size:           8
        .value_kind:     global_buffer
      - .address_space:  global
        .offset:         8
        .size:           8
        .value_kind:     global_buffer
      - .address_space:  global
        .offset:         16
        .size:           8
        .value_kind:     global_buffer
      - .address_space:  global
        .offset:         24
        .size:           8
        .value_kind:     global_buffer
      - .offset:         32
        .size:           4
        .value_kind:     by_value
      - .offset:         36
        .size:           4
        .value_kind:     by_value
      - .offset:         40
        .size:           4
        .value_kind:     by_value
      - .offset:         44
        .size:           1
        .value_kind:     by_value
      - .address_space:  global
        .offset:         48
        .size:           8
        .value_kind:     global_buffer
      - .address_space:  global
        .offset:         56
        .size:           8
        .value_kind:     global_buffer
      - .offset:         64
        .size:           4
        .value_kind:     hidden_block_count_x
      - .offset:         68
        .size:           4
        .value_kind:     hidden_block_count_y
      - .offset:         72
        .size:           4
        .value_kind:     hidden_block_count_z
      - .offset:         76
        .size:           2
        .value_kind:     hidden_group_size_x
      - .offset:         78
        .size:           2
        .value_kind:     hidden_group_size_y
      - .offset:         80
        .size:           2
        .value_kind:     hidden_group_size_z
      - .offset:         82
        .size:           2
        .value_kind:     hidden_remainder_x
      - .offset:         84
        .size:           2
        .value_kind:     hidden_remainder_y
      - .offset:         86
        .size:           2
        .value_kind:     hidden_remainder_z
      - .offset:         104
        .size:           8
        .value_kind:     hidden_global_offset_x
      - .offset:         112
        .size:           8
        .value_kind:     hidden_global_offset_y
      - .offset:         120
        .size:           8
        .value_kind:     hidden_global_offset_z
      - .offset:         128
        .size:           2
        .value_kind:     hidden_grid_dims
    .group_segment_fixed_size: 8208
    .kernarg_segment_align: 8
    .kernarg_segment_size: 320
    .language:       OpenCL C
    .language_version:
      - 2
      - 0
    .max_flat_workgroup_size: 256
    .name:           _ZN7rocprim17ROCPRIM_304000_NS6detail35device_block_merge_mergepath_kernelINS1_37wrapped_merge_sort_block_merge_configINS0_14default_configEaN2at4cuda3cub6detail10OpaqueTypeILi8EEEEEPaSC_PSA_SD_jNS1_19radix_merge_compareILb1ELb1EaNS0_19identity_decomposerEEEEEvT0_T1_T2_T3_T4_SL_jT5_PKSL_NS1_7vsmem_tE
    .private_segment_fixed_size: 0
    .sgpr_count:     35
    .sgpr_spill_count: 0
    .symbol:         _ZN7rocprim17ROCPRIM_304000_NS6detail35device_block_merge_mergepath_kernelINS1_37wrapped_merge_sort_block_merge_configINS0_14default_configEaN2at4cuda3cub6detail10OpaqueTypeILi8EEEEEPaSC_PSA_SD_jNS1_19radix_merge_compareILb1ELb1EaNS0_19identity_decomposerEEEEEvT0_T1_T2_T3_T4_SL_jT5_PKSL_NS1_7vsmem_tE.kd
    .uniform_work_group_size: 1
    .uses_dynamic_stack: false
    .vgpr_count:     24
    .vgpr_spill_count: 0
    .wavefront_size: 64
  - .agpr_count:     0
    .args:
      - .address_space:  global
        .offset:         0
        .size:           8
        .value_kind:     global_buffer
      - .address_space:  global
        .offset:         8
        .size:           8
        .value_kind:     global_buffer
      - .address_space:  global
        .offset:         16
        .size:           8
        .value_kind:     global_buffer
      - .address_space:  global
        .offset:         24
        .size:           8
        .value_kind:     global_buffer
      - .offset:         32
        .size:           4
        .value_kind:     by_value
      - .offset:         36
        .size:           4
        .value_kind:     by_value
      - .offset:         40
        .size:           1
        .value_kind:     by_value
    .group_segment_fixed_size: 0
    .kernarg_segment_align: 8
    .kernarg_segment_size: 44
    .language:       OpenCL C
    .language_version:
      - 2
      - 0
    .max_flat_workgroup_size: 256
    .name:           _ZN7rocprim17ROCPRIM_304000_NS6detail33device_block_merge_oddeven_kernelINS1_37wrapped_merge_sort_block_merge_configINS0_14default_configEaN2at4cuda3cub6detail10OpaqueTypeILi8EEEEEPaSC_PSA_SD_jNS1_19radix_merge_compareILb1ELb1EaNS0_19identity_decomposerEEEEEvT0_T1_T2_T3_T4_SL_T5_
    .private_segment_fixed_size: 0
    .sgpr_count:     28
    .sgpr_spill_count: 0
    .symbol:         _ZN7rocprim17ROCPRIM_304000_NS6detail33device_block_merge_oddeven_kernelINS1_37wrapped_merge_sort_block_merge_configINS0_14default_configEaN2at4cuda3cub6detail10OpaqueTypeILi8EEEEEPaSC_PSA_SD_jNS1_19radix_merge_compareILb1ELb1EaNS0_19identity_decomposerEEEEEvT0_T1_T2_T3_T4_SL_T5_.kd
    .uniform_work_group_size: 1
    .uses_dynamic_stack: false
    .vgpr_count:     11
    .vgpr_spill_count: 0
    .wavefront_size: 64
  - .agpr_count:     0
    .args:
      - .address_space:  global
        .offset:         0
        .size:           8
        .value_kind:     global_buffer
      - .address_space:  global
        .offset:         8
        .size:           8
        .value_kind:     global_buffer
      - .offset:         16
        .size:           8
        .value_kind:     by_value
      - .offset:         24
        .size:           8
        .value_kind:     by_value
      - .offset:         32
        .size:           1
        .value_kind:     by_value
      - .offset:         36
        .size:           4
        .value_kind:     by_value
      - .offset:         40
        .size:           4
        .value_kind:     by_value
    .group_segment_fixed_size: 4096
    .kernarg_segment_align: 8
    .kernarg_segment_size: 44
    .language:       OpenCL C
    .language_version:
      - 2
      - 0
    .max_flat_workgroup_size: 512
    .name:           _ZN7rocprim17ROCPRIM_304000_NS6detail26onesweep_histograms_kernelINS1_34wrapped_radix_sort_onesweep_configINS0_14default_configEaN2at4cuda3cub6detail10OpaqueTypeILi8EEEEELb1EPKamNS0_19identity_decomposerEEEvT1_PT2_SG_SG_T3_jj
    .private_segment_fixed_size: 0
    .sgpr_count:     30
    .sgpr_spill_count: 0
    .symbol:         _ZN7rocprim17ROCPRIM_304000_NS6detail26onesweep_histograms_kernelINS1_34wrapped_radix_sort_onesweep_configINS0_14default_configEaN2at4cuda3cub6detail10OpaqueTypeILi8EEEEELb1EPKamNS0_19identity_decomposerEEEvT1_PT2_SG_SG_T3_jj.kd
    .uniform_work_group_size: 1
    .uses_dynamic_stack: false
    .vgpr_count:     18
    .vgpr_spill_count: 0
    .wavefront_size: 64
  - .agpr_count:     0
    .args:
      - .address_space:  global
        .offset:         0
        .size:           8
        .value_kind:     global_buffer
    .group_segment_fixed_size: 64
    .kernarg_segment_align: 8
    .kernarg_segment_size: 8
    .language:       OpenCL C
    .language_version:
      - 2
      - 0
    .max_flat_workgroup_size: 512
    .name:           _ZN7rocprim17ROCPRIM_304000_NS6detail31onesweep_scan_histograms_kernelINS1_34wrapped_radix_sort_onesweep_configINS0_14default_configEaN2at4cuda3cub6detail10OpaqueTypeILi8EEEEEmEEvPT0_
    .private_segment_fixed_size: 0
    .sgpr_count:     14
    .sgpr_spill_count: 0
    .symbol:         _ZN7rocprim17ROCPRIM_304000_NS6detail31onesweep_scan_histograms_kernelINS1_34wrapped_radix_sort_onesweep_configINS0_14default_configEaN2at4cuda3cub6detail10OpaqueTypeILi8EEEEEmEEvPT0_.kd
    .uniform_work_group_size: 1
    .uses_dynamic_stack: false
    .vgpr_count:     14
    .vgpr_spill_count: 0
    .wavefront_size: 64
  - .agpr_count:     0
    .args:
      - .address_space:  global
        .offset:         0
        .size:           8
        .value_kind:     global_buffer
      - .offset:         8
        .size:           8
        .value_kind:     by_value
      - .address_space:  global
        .offset:         16
        .size:           8
        .value_kind:     global_buffer
      - .offset:         24
        .size:           1
        .value_kind:     by_value
      - .offset:         32
        .size:           4
        .value_kind:     hidden_block_count_x
      - .offset:         36
        .size:           4
        .value_kind:     hidden_block_count_y
      - .offset:         40
        .size:           4
        .value_kind:     hidden_block_count_z
      - .offset:         44
        .size:           2
        .value_kind:     hidden_group_size_x
      - .offset:         46
        .size:           2
        .value_kind:     hidden_group_size_y
      - .offset:         48
        .size:           2
        .value_kind:     hidden_group_size_z
      - .offset:         50
        .size:           2
        .value_kind:     hidden_remainder_x
      - .offset:         52
        .size:           2
        .value_kind:     hidden_remainder_y
      - .offset:         54
        .size:           2
        .value_kind:     hidden_remainder_z
      - .offset:         72
        .size:           8
        .value_kind:     hidden_global_offset_x
      - .offset:         80
        .size:           8
        .value_kind:     hidden_global_offset_y
      - .offset:         88
        .size:           8
        .value_kind:     hidden_global_offset_z
      - .offset:         96
        .size:           2
        .value_kind:     hidden_grid_dims
    .group_segment_fixed_size: 0
    .kernarg_segment_align: 8
    .kernarg_segment_size: 288
    .language:       OpenCL C
    .language_version:
      - 2
      - 0
    .max_flat_workgroup_size: 64
    .name:           _ZN7rocprim17ROCPRIM_304000_NS6detail16transform_kernelINS1_24wrapped_transform_configINS0_14default_configEaEEaPKaPaNS0_8identityIaEEEEvT1_mT2_T3_
    .private_segment_fixed_size: 0
    .sgpr_count:     42
    .sgpr_spill_count: 0
    .symbol:         _ZN7rocprim17ROCPRIM_304000_NS6detail16transform_kernelINS1_24wrapped_transform_configINS0_14default_configEaEEaPKaPaNS0_8identityIaEEEEvT1_mT2_T3_.kd
    .uniform_work_group_size: 1
    .uses_dynamic_stack: false
    .vgpr_count:     21
    .vgpr_spill_count: 0
    .wavefront_size: 64
  - .agpr_count:     0
    .args:
      - .address_space:  global
        .offset:         0
        .size:           8
        .value_kind:     global_buffer
      - .address_space:  global
        .offset:         8
        .size:           8
        .value_kind:     global_buffer
      - .address_space:  global
        .offset:         16
        .size:           8
        .value_kind:     global_buffer
      - .address_space:  global
        .offset:         24
        .size:           8
        .value_kind:     global_buffer
      - .offset:         32
        .size:           4
        .value_kind:     by_value
      - .address_space:  global
        .offset:         40
        .size:           8
        .value_kind:     global_buffer
      - .address_space:  global
        .offset:         48
        .size:           8
        .value_kind:     global_buffer
      - .address_space:  global
        .offset:         56
        .size:           8
        .value_kind:     global_buffer
      - .offset:         64
        .size:           1
        .value_kind:     by_value
      - .offset:         68
        .size:           4
        .value_kind:     by_value
      - .offset:         72
        .size:           4
        .value_kind:     by_value
      - .offset:         76
        .size:           4
        .value_kind:     by_value
      - .offset:         80
        .size:           4
        .value_kind:     hidden_block_count_x
      - .offset:         84
        .size:           4
        .value_kind:     hidden_block_count_y
      - .offset:         88
        .size:           4
        .value_kind:     hidden_block_count_z
      - .offset:         92
        .size:           2
        .value_kind:     hidden_group_size_x
      - .offset:         94
        .size:           2
        .value_kind:     hidden_group_size_y
      - .offset:         96
        .size:           2
        .value_kind:     hidden_group_size_z
      - .offset:         98
        .size:           2
        .value_kind:     hidden_remainder_x
      - .offset:         100
        .size:           2
        .value_kind:     hidden_remainder_y
      - .offset:         102
        .size:           2
        .value_kind:     hidden_remainder_z
      - .offset:         120
        .size:           8
        .value_kind:     hidden_global_offset_x
      - .offset:         128
        .size:           8
        .value_kind:     hidden_global_offset_y
      - .offset:         136
        .size:           8
        .value_kind:     hidden_global_offset_z
      - .offset:         144
        .size:           2
        .value_kind:     hidden_grid_dims
    .group_segment_fixed_size: 26624
    .kernarg_segment_align: 8
    .kernarg_segment_size: 336
    .language:       OpenCL C
    .language_version:
      - 2
      - 0
    .max_flat_workgroup_size: 512
    .name:           _ZN7rocprim17ROCPRIM_304000_NS6detail25onesweep_iteration_kernelINS1_34wrapped_radix_sort_onesweep_configINS0_14default_configEaN2at4cuda3cub6detail10OpaqueTypeILi8EEEEELb1EPKaPaPKSA_PSA_mNS0_19identity_decomposerEEEvT1_T2_T3_T4_jPT5_SO_PNS1_23onesweep_lookback_stateET6_jjj
    .private_segment_fixed_size: 0
    .sgpr_count:     57
    .sgpr_spill_count: 0
    .symbol:         _ZN7rocprim17ROCPRIM_304000_NS6detail25onesweep_iteration_kernelINS1_34wrapped_radix_sort_onesweep_configINS0_14default_configEaN2at4cuda3cub6detail10OpaqueTypeILi8EEEEELb1EPKaPaPKSA_PSA_mNS0_19identity_decomposerEEEvT1_T2_T3_T4_jPT5_SO_PNS1_23onesweep_lookback_stateET6_jjj.kd
    .uniform_work_group_size: 1
    .uses_dynamic_stack: false
    .vgpr_count:     40
    .vgpr_spill_count: 0
    .wavefront_size: 64
  - .agpr_count:     0
    .args:
      - .address_space:  global
        .offset:         0
        .size:           8
        .value_kind:     global_buffer
      - .address_space:  global
        .offset:         8
        .size:           8
        .value_kind:     global_buffer
      - .address_space:  global
        .offset:         16
        .size:           8
        .value_kind:     global_buffer
      - .address_space:  global
        .offset:         24
        .size:           8
        .value_kind:     global_buffer
      - .offset:         32
        .size:           4
        .value_kind:     by_value
      - .address_space:  global
        .offset:         40
        .size:           8
        .value_kind:     global_buffer
      - .address_space:  global
        .offset:         48
        .size:           8
        .value_kind:     global_buffer
      - .address_space:  global
        .offset:         56
        .size:           8
        .value_kind:     global_buffer
      - .offset:         64
        .size:           1
        .value_kind:     by_value
      - .offset:         68
        .size:           4
        .value_kind:     by_value
      - .offset:         72
        .size:           4
        .value_kind:     by_value
      - .offset:         76
        .size:           4
        .value_kind:     by_value
      - .offset:         80
        .size:           4
        .value_kind:     hidden_block_count_x
      - .offset:         84
        .size:           4
        .value_kind:     hidden_block_count_y
      - .offset:         88
        .size:           4
        .value_kind:     hidden_block_count_z
      - .offset:         92
        .size:           2
        .value_kind:     hidden_group_size_x
      - .offset:         94
        .size:           2
        .value_kind:     hidden_group_size_y
      - .offset:         96
        .size:           2
        .value_kind:     hidden_group_size_z
      - .offset:         98
        .size:           2
        .value_kind:     hidden_remainder_x
      - .offset:         100
        .size:           2
        .value_kind:     hidden_remainder_y
      - .offset:         102
        .size:           2
        .value_kind:     hidden_remainder_z
      - .offset:         120
        .size:           8
        .value_kind:     hidden_global_offset_x
      - .offset:         128
        .size:           8
        .value_kind:     hidden_global_offset_y
      - .offset:         136
        .size:           8
        .value_kind:     hidden_global_offset_z
      - .offset:         144
        .size:           2
        .value_kind:     hidden_grid_dims
    .group_segment_fixed_size: 26624
    .kernarg_segment_align: 8
    .kernarg_segment_size: 336
    .language:       OpenCL C
    .language_version:
      - 2
      - 0
    .max_flat_workgroup_size: 512
    .name:           _ZN7rocprim17ROCPRIM_304000_NS6detail25onesweep_iteration_kernelINS1_34wrapped_radix_sort_onesweep_configINS0_14default_configEaN2at4cuda3cub6detail10OpaqueTypeILi8EEEEELb1EPaSC_PSA_SD_mNS0_19identity_decomposerEEEvT1_T2_T3_T4_jPT5_SK_PNS1_23onesweep_lookback_stateET6_jjj
    .private_segment_fixed_size: 0
    .sgpr_count:     57
    .sgpr_spill_count: 0
    .symbol:         _ZN7rocprim17ROCPRIM_304000_NS6detail25onesweep_iteration_kernelINS1_34wrapped_radix_sort_onesweep_configINS0_14default_configEaN2at4cuda3cub6detail10OpaqueTypeILi8EEEEELb1EPaSC_PSA_SD_mNS0_19identity_decomposerEEEvT1_T2_T3_T4_jPT5_SK_PNS1_23onesweep_lookback_stateET6_jjj.kd
    .uniform_work_group_size: 1
    .uses_dynamic_stack: false
    .vgpr_count:     40
    .vgpr_spill_count: 0
    .wavefront_size: 64
  - .agpr_count:     0
    .args:
      - .address_space:  global
        .offset:         0
        .size:           8
        .value_kind:     global_buffer
      - .address_space:  global
        .offset:         8
        .size:           8
        .value_kind:     global_buffer
      - .address_space:  global
        .offset:         16
        .size:           8
        .value_kind:     global_buffer
      - .address_space:  global
        .offset:         24
        .size:           8
        .value_kind:     global_buffer
      - .offset:         32
        .size:           4
        .value_kind:     by_value
      - .offset:         36
        .size:           1
        .value_kind:     by_value
      - .offset:         40
        .size:           4
        .value_kind:     by_value
      - .offset:         44
        .size:           4
        .value_kind:     by_value
      - .offset:         48
        .size:           4
        .value_kind:     hidden_block_count_x
      - .offset:         52
        .size:           4
        .value_kind:     hidden_block_count_y
      - .offset:         56
        .size:           4
        .value_kind:     hidden_block_count_z
      - .offset:         60
        .size:           2
        .value_kind:     hidden_group_size_x
      - .offset:         62
        .size:           2
        .value_kind:     hidden_group_size_y
      - .offset:         64
        .size:           2
        .value_kind:     hidden_group_size_z
      - .offset:         66
        .size:           2
        .value_kind:     hidden_remainder_x
      - .offset:         68
        .size:           2
        .value_kind:     hidden_remainder_y
      - .offset:         70
        .size:           2
        .value_kind:     hidden_remainder_z
      - .offset:         88
        .size:           8
        .value_kind:     hidden_global_offset_x
      - .offset:         96
        .size:           8
        .value_kind:     hidden_global_offset_y
      - .offset:         104
        .size:           8
        .value_kind:     hidden_global_offset_z
      - .offset:         112
        .size:           2
        .value_kind:     hidden_grid_dims
    .group_segment_fixed_size: 8192
    .kernarg_segment_align: 8
    .kernarg_segment_size: 304
    .language:       OpenCL C
    .language_version:
      - 2
      - 0
    .max_flat_workgroup_size: 256
    .name:           _ZN7rocprim17ROCPRIM_304000_NS6detail28radix_sort_block_sort_kernelINS1_36wrapped_radix_sort_block_sort_configINS0_13kernel_configILj256ELj4ELj4294967295EEEaN2at4cuda3cub6detail10OpaqueTypeILi8EEEEELb0EPKaPaPKSB_PSB_NS0_19identity_decomposerEEEvT1_T2_T3_T4_jT5_jj
    .private_segment_fixed_size: 0
    .sgpr_count:     48
    .sgpr_spill_count: 0
    .symbol:         _ZN7rocprim17ROCPRIM_304000_NS6detail28radix_sort_block_sort_kernelINS1_36wrapped_radix_sort_block_sort_configINS0_13kernel_configILj256ELj4ELj4294967295EEEaN2at4cuda3cub6detail10OpaqueTypeILi8EEEEELb0EPKaPaPKSB_PSB_NS0_19identity_decomposerEEEvT1_T2_T3_T4_jT5_jj.kd
    .uniform_work_group_size: 1
    .uses_dynamic_stack: false
    .vgpr_count:     50
    .vgpr_spill_count: 0
    .wavefront_size: 64
  - .agpr_count:     0
    .args:
      - .address_space:  global
        .offset:         0
        .size:           8
        .value_kind:     global_buffer
      - .offset:         8
        .size:           4
        .value_kind:     by_value
      - .offset:         12
        .size:           4
        .value_kind:     by_value
      - .address_space:  global
        .offset:         16
        .size:           8
        .value_kind:     global_buffer
      - .offset:         24
        .size:           1
        .value_kind:     by_value
      - .offset:         28
        .size:           4
        .value_kind:     by_value
    .group_segment_fixed_size: 0
    .kernarg_segment_align: 8
    .kernarg_segment_size: 32
    .language:       OpenCL C
    .language_version:
      - 2
      - 0
    .max_flat_workgroup_size: 128
    .name:           _ZN7rocprim17ROCPRIM_304000_NS6detail45device_block_merge_mergepath_partition_kernelINS1_37wrapped_merge_sort_block_merge_configINS0_14default_configEaN2at4cuda3cub6detail10OpaqueTypeILi8EEEEEPajNS1_19radix_merge_compareILb0ELb0EaNS0_19identity_decomposerEEEEEvT0_T1_jPSH_T2_SH_
    .private_segment_fixed_size: 0
    .sgpr_count:     11
    .sgpr_spill_count: 0
    .symbol:         _ZN7rocprim17ROCPRIM_304000_NS6detail45device_block_merge_mergepath_partition_kernelINS1_37wrapped_merge_sort_block_merge_configINS0_14default_configEaN2at4cuda3cub6detail10OpaqueTypeILi8EEEEEPajNS1_19radix_merge_compareILb0ELb0EaNS0_19identity_decomposerEEEEEvT0_T1_jPSH_T2_SH_.kd
    .uniform_work_group_size: 1
    .uses_dynamic_stack: false
    .vgpr_count:     16
    .vgpr_spill_count: 0
    .wavefront_size: 64
  - .agpr_count:     0
    .args:
      - .address_space:  global
        .offset:         0
        .size:           8
        .value_kind:     global_buffer
      - .address_space:  global
        .offset:         8
        .size:           8
        .value_kind:     global_buffer
      - .address_space:  global
        .offset:         16
        .size:           8
        .value_kind:     global_buffer
      - .address_space:  global
        .offset:         24
        .size:           8
        .value_kind:     global_buffer
      - .offset:         32
        .size:           4
        .value_kind:     by_value
      - .offset:         36
        .size:           4
        .value_kind:     by_value
      - .offset:         40
        .size:           4
        .value_kind:     by_value
      - .offset:         44
        .size:           1
        .value_kind:     by_value
      - .address_space:  global
        .offset:         48
        .size:           8
        .value_kind:     global_buffer
      - .address_space:  global
        .offset:         56
        .size:           8
        .value_kind:     global_buffer
      - .offset:         64
        .size:           4
        .value_kind:     hidden_block_count_x
      - .offset:         68
        .size:           4
        .value_kind:     hidden_block_count_y
      - .offset:         72
        .size:           4
        .value_kind:     hidden_block_count_z
      - .offset:         76
        .size:           2
        .value_kind:     hidden_group_size_x
      - .offset:         78
        .size:           2
        .value_kind:     hidden_group_size_y
      - .offset:         80
        .size:           2
        .value_kind:     hidden_group_size_z
      - .offset:         82
        .size:           2
        .value_kind:     hidden_remainder_x
      - .offset:         84
        .size:           2
        .value_kind:     hidden_remainder_y
      - .offset:         86
        .size:           2
        .value_kind:     hidden_remainder_z
      - .offset:         104
        .size:           8
        .value_kind:     hidden_global_offset_x
      - .offset:         112
        .size:           8
        .value_kind:     hidden_global_offset_y
      - .offset:         120
        .size:           8
        .value_kind:     hidden_global_offset_z
      - .offset:         128
        .size:           2
        .value_kind:     hidden_grid_dims
    .group_segment_fixed_size: 8208
    .kernarg_segment_align: 8
    .kernarg_segment_size: 320
    .language:       OpenCL C
    .language_version:
      - 2
      - 0
    .max_flat_workgroup_size: 256
    .name:           _ZN7rocprim17ROCPRIM_304000_NS6detail35device_block_merge_mergepath_kernelINS1_37wrapped_merge_sort_block_merge_configINS0_14default_configEaN2at4cuda3cub6detail10OpaqueTypeILi8EEEEEPaSC_PSA_SD_jNS1_19radix_merge_compareILb0ELb0EaNS0_19identity_decomposerEEEEEvT0_T1_T2_T3_T4_SL_jT5_PKSL_NS1_7vsmem_tE
    .private_segment_fixed_size: 0
    .sgpr_count:     35
    .sgpr_spill_count: 0
    .symbol:         _ZN7rocprim17ROCPRIM_304000_NS6detail35device_block_merge_mergepath_kernelINS1_37wrapped_merge_sort_block_merge_configINS0_14default_configEaN2at4cuda3cub6detail10OpaqueTypeILi8EEEEEPaSC_PSA_SD_jNS1_19radix_merge_compareILb0ELb0EaNS0_19identity_decomposerEEEEEvT0_T1_T2_T3_T4_SL_jT5_PKSL_NS1_7vsmem_tE.kd
    .uniform_work_group_size: 1
    .uses_dynamic_stack: false
    .vgpr_count:     24
    .vgpr_spill_count: 0
    .wavefront_size: 64
  - .agpr_count:     0
    .args:
      - .address_space:  global
        .offset:         0
        .size:           8
        .value_kind:     global_buffer
      - .address_space:  global
        .offset:         8
        .size:           8
        .value_kind:     global_buffer
      - .address_space:  global
        .offset:         16
        .size:           8
        .value_kind:     global_buffer
      - .address_space:  global
        .offset:         24
        .size:           8
        .value_kind:     global_buffer
      - .offset:         32
        .size:           4
        .value_kind:     by_value
      - .offset:         36
        .size:           4
        .value_kind:     by_value
      - .offset:         40
        .size:           1
        .value_kind:     by_value
    .group_segment_fixed_size: 0
    .kernarg_segment_align: 8
    .kernarg_segment_size: 44
    .language:       OpenCL C
    .language_version:
      - 2
      - 0
    .max_flat_workgroup_size: 256
    .name:           _ZN7rocprim17ROCPRIM_304000_NS6detail33device_block_merge_oddeven_kernelINS1_37wrapped_merge_sort_block_merge_configINS0_14default_configEaN2at4cuda3cub6detail10OpaqueTypeILi8EEEEEPaSC_PSA_SD_jNS1_19radix_merge_compareILb0ELb0EaNS0_19identity_decomposerEEEEEvT0_T1_T2_T3_T4_SL_T5_
    .private_segment_fixed_size: 0
    .sgpr_count:     27
    .sgpr_spill_count: 0
    .symbol:         _ZN7rocprim17ROCPRIM_304000_NS6detail33device_block_merge_oddeven_kernelINS1_37wrapped_merge_sort_block_merge_configINS0_14default_configEaN2at4cuda3cub6detail10OpaqueTypeILi8EEEEEPaSC_PSA_SD_jNS1_19radix_merge_compareILb0ELb0EaNS0_19identity_decomposerEEEEEvT0_T1_T2_T3_T4_SL_T5_.kd
    .uniform_work_group_size: 1
    .uses_dynamic_stack: false
    .vgpr_count:     10
    .vgpr_spill_count: 0
    .wavefront_size: 64
  - .agpr_count:     0
    .args:
      - .address_space:  global
        .offset:         0
        .size:           8
        .value_kind:     global_buffer
      - .offset:         8
        .size:           4
        .value_kind:     by_value
      - .offset:         12
        .size:           4
        .value_kind:     by_value
      - .address_space:  global
        .offset:         16
        .size:           8
        .value_kind:     global_buffer
      - .offset:         24
        .size:           1
        .value_kind:     by_value
      - .offset:         28
        .size:           4
        .value_kind:     by_value
    .group_segment_fixed_size: 0
    .kernarg_segment_align: 8
    .kernarg_segment_size: 32
    .language:       OpenCL C
    .language_version:
      - 2
      - 0
    .max_flat_workgroup_size: 128
    .name:           _ZN7rocprim17ROCPRIM_304000_NS6detail45device_block_merge_mergepath_partition_kernelINS1_37wrapped_merge_sort_block_merge_configINS0_14default_configEaN2at4cuda3cub6detail10OpaqueTypeILi8EEEEEPajNS1_19radix_merge_compareILb0ELb1EaNS0_19identity_decomposerEEEEEvT0_T1_jPSH_T2_SH_
    .private_segment_fixed_size: 0
    .sgpr_count:     12
    .sgpr_spill_count: 0
    .symbol:         _ZN7rocprim17ROCPRIM_304000_NS6detail45device_block_merge_mergepath_partition_kernelINS1_37wrapped_merge_sort_block_merge_configINS0_14default_configEaN2at4cuda3cub6detail10OpaqueTypeILi8EEEEEPajNS1_19radix_merge_compareILb0ELb1EaNS0_19identity_decomposerEEEEEvT0_T1_jPSH_T2_SH_.kd
    .uniform_work_group_size: 1
    .uses_dynamic_stack: false
    .vgpr_count:     16
    .vgpr_spill_count: 0
    .wavefront_size: 64
  - .agpr_count:     0
    .args:
      - .address_space:  global
        .offset:         0
        .size:           8
        .value_kind:     global_buffer
      - .address_space:  global
        .offset:         8
        .size:           8
        .value_kind:     global_buffer
      - .address_space:  global
        .offset:         16
        .size:           8
        .value_kind:     global_buffer
      - .address_space:  global
        .offset:         24
        .size:           8
        .value_kind:     global_buffer
      - .offset:         32
        .size:           4
        .value_kind:     by_value
      - .offset:         36
        .size:           4
        .value_kind:     by_value
      - .offset:         40
        .size:           4
        .value_kind:     by_value
      - .offset:         44
        .size:           1
        .value_kind:     by_value
      - .address_space:  global
        .offset:         48
        .size:           8
        .value_kind:     global_buffer
      - .address_space:  global
        .offset:         56
        .size:           8
        .value_kind:     global_buffer
      - .offset:         64
        .size:           4
        .value_kind:     hidden_block_count_x
      - .offset:         68
        .size:           4
        .value_kind:     hidden_block_count_y
      - .offset:         72
        .size:           4
        .value_kind:     hidden_block_count_z
      - .offset:         76
        .size:           2
        .value_kind:     hidden_group_size_x
      - .offset:         78
        .size:           2
        .value_kind:     hidden_group_size_y
      - .offset:         80
        .size:           2
        .value_kind:     hidden_group_size_z
      - .offset:         82
        .size:           2
        .value_kind:     hidden_remainder_x
      - .offset:         84
        .size:           2
        .value_kind:     hidden_remainder_y
      - .offset:         86
        .size:           2
        .value_kind:     hidden_remainder_z
      - .offset:         104
        .size:           8
        .value_kind:     hidden_global_offset_x
      - .offset:         112
        .size:           8
        .value_kind:     hidden_global_offset_y
      - .offset:         120
        .size:           8
        .value_kind:     hidden_global_offset_z
      - .offset:         128
        .size:           2
        .value_kind:     hidden_grid_dims
    .group_segment_fixed_size: 8208
    .kernarg_segment_align: 8
    .kernarg_segment_size: 320
    .language:       OpenCL C
    .language_version:
      - 2
      - 0
    .max_flat_workgroup_size: 256
    .name:           _ZN7rocprim17ROCPRIM_304000_NS6detail35device_block_merge_mergepath_kernelINS1_37wrapped_merge_sort_block_merge_configINS0_14default_configEaN2at4cuda3cub6detail10OpaqueTypeILi8EEEEEPaSC_PSA_SD_jNS1_19radix_merge_compareILb0ELb1EaNS0_19identity_decomposerEEEEEvT0_T1_T2_T3_T4_SL_jT5_PKSL_NS1_7vsmem_tE
    .private_segment_fixed_size: 0
    .sgpr_count:     35
    .sgpr_spill_count: 0
    .symbol:         _ZN7rocprim17ROCPRIM_304000_NS6detail35device_block_merge_mergepath_kernelINS1_37wrapped_merge_sort_block_merge_configINS0_14default_configEaN2at4cuda3cub6detail10OpaqueTypeILi8EEEEEPaSC_PSA_SD_jNS1_19radix_merge_compareILb0ELb1EaNS0_19identity_decomposerEEEEEvT0_T1_T2_T3_T4_SL_jT5_PKSL_NS1_7vsmem_tE.kd
    .uniform_work_group_size: 1
    .uses_dynamic_stack: false
    .vgpr_count:     24
    .vgpr_spill_count: 0
    .wavefront_size: 64
  - .agpr_count:     0
    .args:
      - .address_space:  global
        .offset:         0
        .size:           8
        .value_kind:     global_buffer
      - .address_space:  global
        .offset:         8
        .size:           8
        .value_kind:     global_buffer
      - .address_space:  global
        .offset:         16
        .size:           8
        .value_kind:     global_buffer
      - .address_space:  global
        .offset:         24
        .size:           8
        .value_kind:     global_buffer
      - .offset:         32
        .size:           4
        .value_kind:     by_value
      - .offset:         36
        .size:           4
        .value_kind:     by_value
      - .offset:         40
        .size:           1
        .value_kind:     by_value
    .group_segment_fixed_size: 0
    .kernarg_segment_align: 8
    .kernarg_segment_size: 44
    .language:       OpenCL C
    .language_version:
      - 2
      - 0
    .max_flat_workgroup_size: 256
    .name:           _ZN7rocprim17ROCPRIM_304000_NS6detail33device_block_merge_oddeven_kernelINS1_37wrapped_merge_sort_block_merge_configINS0_14default_configEaN2at4cuda3cub6detail10OpaqueTypeILi8EEEEEPaSC_PSA_SD_jNS1_19radix_merge_compareILb0ELb1EaNS0_19identity_decomposerEEEEEvT0_T1_T2_T3_T4_SL_T5_
    .private_segment_fixed_size: 0
    .sgpr_count:     28
    .sgpr_spill_count: 0
    .symbol:         _ZN7rocprim17ROCPRIM_304000_NS6detail33device_block_merge_oddeven_kernelINS1_37wrapped_merge_sort_block_merge_configINS0_14default_configEaN2at4cuda3cub6detail10OpaqueTypeILi8EEEEEPaSC_PSA_SD_jNS1_19radix_merge_compareILb0ELb1EaNS0_19identity_decomposerEEEEEvT0_T1_T2_T3_T4_SL_T5_.kd
    .uniform_work_group_size: 1
    .uses_dynamic_stack: false
    .vgpr_count:     11
    .vgpr_spill_count: 0
    .wavefront_size: 64
  - .agpr_count:     0
    .args:
      - .address_space:  global
        .offset:         0
        .size:           8
        .value_kind:     global_buffer
      - .address_space:  global
        .offset:         8
        .size:           8
        .value_kind:     global_buffer
      - .offset:         16
        .size:           8
        .value_kind:     by_value
      - .offset:         24
        .size:           8
        .value_kind:     by_value
      - .offset:         32
        .size:           1
        .value_kind:     by_value
      - .offset:         36
        .size:           4
        .value_kind:     by_value
      - .offset:         40
        .size:           4
        .value_kind:     by_value
    .group_segment_fixed_size: 4096
    .kernarg_segment_align: 8
    .kernarg_segment_size: 44
    .language:       OpenCL C
    .language_version:
      - 2
      - 0
    .max_flat_workgroup_size: 512
    .name:           _ZN7rocprim17ROCPRIM_304000_NS6detail26onesweep_histograms_kernelINS1_34wrapped_radix_sort_onesweep_configINS0_14default_configEaN2at4cuda3cub6detail10OpaqueTypeILi8EEEEELb0EPKamNS0_19identity_decomposerEEEvT1_PT2_SG_SG_T3_jj
    .private_segment_fixed_size: 0
    .sgpr_count:     30
    .sgpr_spill_count: 0
    .symbol:         _ZN7rocprim17ROCPRIM_304000_NS6detail26onesweep_histograms_kernelINS1_34wrapped_radix_sort_onesweep_configINS0_14default_configEaN2at4cuda3cub6detail10OpaqueTypeILi8EEEEELb0EPKamNS0_19identity_decomposerEEEvT1_PT2_SG_SG_T3_jj.kd
    .uniform_work_group_size: 1
    .uses_dynamic_stack: false
    .vgpr_count:     18
    .vgpr_spill_count: 0
    .wavefront_size: 64
  - .agpr_count:     0
    .args:
      - .address_space:  global
        .offset:         0
        .size:           8
        .value_kind:     global_buffer
      - .address_space:  global
        .offset:         8
        .size:           8
        .value_kind:     global_buffer
      - .address_space:  global
        .offset:         16
        .size:           8
        .value_kind:     global_buffer
      - .address_space:  global
        .offset:         24
        .size:           8
        .value_kind:     global_buffer
      - .offset:         32
        .size:           4
        .value_kind:     by_value
      - .address_space:  global
        .offset:         40
        .size:           8
        .value_kind:     global_buffer
      - .address_space:  global
        .offset:         48
        .size:           8
        .value_kind:     global_buffer
      - .address_space:  global
        .offset:         56
        .size:           8
        .value_kind:     global_buffer
      - .offset:         64
        .size:           1
        .value_kind:     by_value
      - .offset:         68
        .size:           4
        .value_kind:     by_value
      - .offset:         72
        .size:           4
        .value_kind:     by_value
      - .offset:         76
        .size:           4
        .value_kind:     by_value
      - .offset:         80
        .size:           4
        .value_kind:     hidden_block_count_x
      - .offset:         84
        .size:           4
        .value_kind:     hidden_block_count_y
      - .offset:         88
        .size:           4
        .value_kind:     hidden_block_count_z
      - .offset:         92
        .size:           2
        .value_kind:     hidden_group_size_x
      - .offset:         94
        .size:           2
        .value_kind:     hidden_group_size_y
      - .offset:         96
        .size:           2
        .value_kind:     hidden_group_size_z
      - .offset:         98
        .size:           2
        .value_kind:     hidden_remainder_x
      - .offset:         100
        .size:           2
        .value_kind:     hidden_remainder_y
      - .offset:         102
        .size:           2
        .value_kind:     hidden_remainder_z
      - .offset:         120
        .size:           8
        .value_kind:     hidden_global_offset_x
      - .offset:         128
        .size:           8
        .value_kind:     hidden_global_offset_y
      - .offset:         136
        .size:           8
        .value_kind:     hidden_global_offset_z
      - .offset:         144
        .size:           2
        .value_kind:     hidden_grid_dims
    .group_segment_fixed_size: 26624
    .kernarg_segment_align: 8
    .kernarg_segment_size: 336
    .language:       OpenCL C
    .language_version:
      - 2
      - 0
    .max_flat_workgroup_size: 512
    .name:           _ZN7rocprim17ROCPRIM_304000_NS6detail25onesweep_iteration_kernelINS1_34wrapped_radix_sort_onesweep_configINS0_14default_configEaN2at4cuda3cub6detail10OpaqueTypeILi8EEEEELb0EPKaPaPKSA_PSA_mNS0_19identity_decomposerEEEvT1_T2_T3_T4_jPT5_SO_PNS1_23onesweep_lookback_stateET6_jjj
    .private_segment_fixed_size: 0
    .sgpr_count:     57
    .sgpr_spill_count: 0
    .symbol:         _ZN7rocprim17ROCPRIM_304000_NS6detail25onesweep_iteration_kernelINS1_34wrapped_radix_sort_onesweep_configINS0_14default_configEaN2at4cuda3cub6detail10OpaqueTypeILi8EEEEELb0EPKaPaPKSA_PSA_mNS0_19identity_decomposerEEEvT1_T2_T3_T4_jPT5_SO_PNS1_23onesweep_lookback_stateET6_jjj.kd
    .uniform_work_group_size: 1
    .uses_dynamic_stack: false
    .vgpr_count:     40
    .vgpr_spill_count: 0
    .wavefront_size: 64
  - .agpr_count:     0
    .args:
      - .address_space:  global
        .offset:         0
        .size:           8
        .value_kind:     global_buffer
      - .address_space:  global
        .offset:         8
        .size:           8
        .value_kind:     global_buffer
      - .address_space:  global
        .offset:         16
        .size:           8
        .value_kind:     global_buffer
      - .address_space:  global
        .offset:         24
        .size:           8
        .value_kind:     global_buffer
      - .offset:         32
        .size:           4
        .value_kind:     by_value
      - .address_space:  global
        .offset:         40
        .size:           8
        .value_kind:     global_buffer
      - .address_space:  global
        .offset:         48
        .size:           8
        .value_kind:     global_buffer
      - .address_space:  global
        .offset:         56
        .size:           8
        .value_kind:     global_buffer
      - .offset:         64
        .size:           1
        .value_kind:     by_value
      - .offset:         68
        .size:           4
        .value_kind:     by_value
      - .offset:         72
        .size:           4
        .value_kind:     by_value
      - .offset:         76
        .size:           4
        .value_kind:     by_value
      - .offset:         80
        .size:           4
        .value_kind:     hidden_block_count_x
      - .offset:         84
        .size:           4
        .value_kind:     hidden_block_count_y
      - .offset:         88
        .size:           4
        .value_kind:     hidden_block_count_z
      - .offset:         92
        .size:           2
        .value_kind:     hidden_group_size_x
      - .offset:         94
        .size:           2
        .value_kind:     hidden_group_size_y
      - .offset:         96
        .size:           2
        .value_kind:     hidden_group_size_z
      - .offset:         98
        .size:           2
        .value_kind:     hidden_remainder_x
      - .offset:         100
        .size:           2
        .value_kind:     hidden_remainder_y
      - .offset:         102
        .size:           2
        .value_kind:     hidden_remainder_z
      - .offset:         120
        .size:           8
        .value_kind:     hidden_global_offset_x
      - .offset:         128
        .size:           8
        .value_kind:     hidden_global_offset_y
      - .offset:         136
        .size:           8
        .value_kind:     hidden_global_offset_z
      - .offset:         144
        .size:           2
        .value_kind:     hidden_grid_dims
    .group_segment_fixed_size: 26624
    .kernarg_segment_align: 8
    .kernarg_segment_size: 336
    .language:       OpenCL C
    .language_version:
      - 2
      - 0
    .max_flat_workgroup_size: 512
    .name:           _ZN7rocprim17ROCPRIM_304000_NS6detail25onesweep_iteration_kernelINS1_34wrapped_radix_sort_onesweep_configINS0_14default_configEaN2at4cuda3cub6detail10OpaqueTypeILi8EEEEELb0EPaSC_PSA_SD_mNS0_19identity_decomposerEEEvT1_T2_T3_T4_jPT5_SK_PNS1_23onesweep_lookback_stateET6_jjj
    .private_segment_fixed_size: 0
    .sgpr_count:     57
    .sgpr_spill_count: 0
    .symbol:         _ZN7rocprim17ROCPRIM_304000_NS6detail25onesweep_iteration_kernelINS1_34wrapped_radix_sort_onesweep_configINS0_14default_configEaN2at4cuda3cub6detail10OpaqueTypeILi8EEEEELb0EPaSC_PSA_SD_mNS0_19identity_decomposerEEEvT1_T2_T3_T4_jPT5_SK_PNS1_23onesweep_lookback_stateET6_jjj.kd
    .uniform_work_group_size: 1
    .uses_dynamic_stack: false
    .vgpr_count:     40
    .vgpr_spill_count: 0
    .wavefront_size: 64
  - .agpr_count:     0
    .args:
      - .address_space:  global
        .offset:         0
        .size:           8
        .value_kind:     global_buffer
      - .address_space:  global
        .offset:         8
        .size:           8
        .value_kind:     global_buffer
      - .address_space:  global
        .offset:         16
        .size:           8
        .value_kind:     global_buffer
      - .address_space:  global
        .offset:         24
        .size:           8
        .value_kind:     global_buffer
      - .offset:         32
        .size:           4
        .value_kind:     by_value
      - .offset:         36
        .size:           1
        .value_kind:     by_value
      - .offset:         40
        .size:           4
        .value_kind:     by_value
      - .offset:         44
        .size:           4
        .value_kind:     by_value
      - .offset:         48
        .size:           4
        .value_kind:     hidden_block_count_x
      - .offset:         52
        .size:           4
        .value_kind:     hidden_block_count_y
      - .offset:         56
        .size:           4
        .value_kind:     hidden_block_count_z
      - .offset:         60
        .size:           2
        .value_kind:     hidden_group_size_x
      - .offset:         62
        .size:           2
        .value_kind:     hidden_group_size_y
      - .offset:         64
        .size:           2
        .value_kind:     hidden_group_size_z
      - .offset:         66
        .size:           2
        .value_kind:     hidden_remainder_x
      - .offset:         68
        .size:           2
        .value_kind:     hidden_remainder_y
      - .offset:         70
        .size:           2
        .value_kind:     hidden_remainder_z
      - .offset:         88
        .size:           8
        .value_kind:     hidden_global_offset_x
      - .offset:         96
        .size:           8
        .value_kind:     hidden_global_offset_y
      - .offset:         104
        .size:           8
        .value_kind:     hidden_global_offset_z
      - .offset:         112
        .size:           2
        .value_kind:     hidden_grid_dims
    .group_segment_fixed_size: 8192
    .kernarg_segment_align: 8
    .kernarg_segment_size: 304
    .language:       OpenCL C
    .language_version:
      - 2
      - 0
    .max_flat_workgroup_size: 256
    .name:           _ZN7rocprim17ROCPRIM_304000_NS6detail28radix_sort_block_sort_kernelINS1_36wrapped_radix_sort_block_sort_configINS0_13kernel_configILj256ELj4ELj4294967295EEEsN2at4cuda3cub6detail10OpaqueTypeILi8EEEEELb1EPKsPsPKSB_PSB_NS0_19identity_decomposerEEEvT1_T2_T3_T4_jT5_jj
    .private_segment_fixed_size: 0
    .sgpr_count:     52
    .sgpr_spill_count: 0
    .symbol:         _ZN7rocprim17ROCPRIM_304000_NS6detail28radix_sort_block_sort_kernelINS1_36wrapped_radix_sort_block_sort_configINS0_13kernel_configILj256ELj4ELj4294967295EEEsN2at4cuda3cub6detail10OpaqueTypeILi8EEEEELb1EPKsPsPKSB_PSB_NS0_19identity_decomposerEEEvT1_T2_T3_T4_jT5_jj.kd
    .uniform_work_group_size: 1
    .uses_dynamic_stack: false
    .vgpr_count:     52
    .vgpr_spill_count: 0
    .wavefront_size: 64
  - .agpr_count:     0
    .args:           []
    .group_segment_fixed_size: 0
    .kernarg_segment_align: 4
    .kernarg_segment_size: 0
    .language:       OpenCL C
    .language_version:
      - 2
      - 0
    .max_flat_workgroup_size: 1024
    .name:           _ZN7rocprim17ROCPRIM_304000_NS6detail39device_merge_sort_compile_time_verifierINS1_36wrapped_merge_sort_block_sort_configINS1_28merge_sort_block_sort_configILj256ELj4ELNS0_20block_sort_algorithmE0EEEsN2at4cuda3cub6detail10OpaqueTypeILi8EEEEENS1_37wrapped_merge_sort_block_merge_configINS0_14default_configEsSC_EEEEvv
    .private_segment_fixed_size: 0
    .sgpr_count:     4
    .sgpr_spill_count: 0
    .symbol:         _ZN7rocprim17ROCPRIM_304000_NS6detail39device_merge_sort_compile_time_verifierINS1_36wrapped_merge_sort_block_sort_configINS1_28merge_sort_block_sort_configILj256ELj4ELNS0_20block_sort_algorithmE0EEEsN2at4cuda3cub6detail10OpaqueTypeILi8EEEEENS1_37wrapped_merge_sort_block_merge_configINS0_14default_configEsSC_EEEEvv.kd
    .uniform_work_group_size: 1
    .uses_dynamic_stack: false
    .vgpr_count:     0
    .vgpr_spill_count: 0
    .wavefront_size: 64
  - .agpr_count:     0
    .args:
      - .address_space:  global
        .offset:         0
        .size:           8
        .value_kind:     global_buffer
      - .offset:         8
        .size:           4
        .value_kind:     by_value
      - .offset:         12
        .size:           4
        .value_kind:     by_value
      - .address_space:  global
        .offset:         16
        .size:           8
        .value_kind:     global_buffer
      - .offset:         24
        .size:           1
        .value_kind:     by_value
      - .offset:         28
        .size:           4
        .value_kind:     by_value
    .group_segment_fixed_size: 0
    .kernarg_segment_align: 8
    .kernarg_segment_size: 32
    .language:       OpenCL C
    .language_version:
      - 2
      - 0
    .max_flat_workgroup_size: 128
    .name:           _ZN7rocprim17ROCPRIM_304000_NS6detail45device_block_merge_mergepath_partition_kernelINS1_37wrapped_merge_sort_block_merge_configINS0_14default_configEsN2at4cuda3cub6detail10OpaqueTypeILi8EEEEEPsjNS1_19radix_merge_compareILb1ELb0EsNS0_19identity_decomposerEEEEEvT0_T1_jPSH_T2_SH_
    .private_segment_fixed_size: 0
    .sgpr_count:     11
    .sgpr_spill_count: 0
    .symbol:         _ZN7rocprim17ROCPRIM_304000_NS6detail45device_block_merge_mergepath_partition_kernelINS1_37wrapped_merge_sort_block_merge_configINS0_14default_configEsN2at4cuda3cub6detail10OpaqueTypeILi8EEEEEPsjNS1_19radix_merge_compareILb1ELb0EsNS0_19identity_decomposerEEEEEvT0_T1_jPSH_T2_SH_.kd
    .uniform_work_group_size: 1
    .uses_dynamic_stack: false
    .vgpr_count:     15
    .vgpr_spill_count: 0
    .wavefront_size: 64
  - .agpr_count:     0
    .args:
      - .address_space:  global
        .offset:         0
        .size:           8
        .value_kind:     global_buffer
      - .address_space:  global
        .offset:         8
        .size:           8
        .value_kind:     global_buffer
      - .address_space:  global
        .offset:         16
        .size:           8
        .value_kind:     global_buffer
      - .address_space:  global
        .offset:         24
        .size:           8
        .value_kind:     global_buffer
      - .offset:         32
        .size:           4
        .value_kind:     by_value
      - .offset:         36
        .size:           4
        .value_kind:     by_value
      - .offset:         40
        .size:           4
        .value_kind:     by_value
      - .offset:         44
        .size:           1
        .value_kind:     by_value
      - .address_space:  global
        .offset:         48
        .size:           8
        .value_kind:     global_buffer
      - .address_space:  global
        .offset:         56
        .size:           8
        .value_kind:     global_buffer
      - .offset:         64
        .size:           4
        .value_kind:     hidden_block_count_x
      - .offset:         68
        .size:           4
        .value_kind:     hidden_block_count_y
      - .offset:         72
        .size:           4
        .value_kind:     hidden_block_count_z
      - .offset:         76
        .size:           2
        .value_kind:     hidden_group_size_x
      - .offset:         78
        .size:           2
        .value_kind:     hidden_group_size_y
      - .offset:         80
        .size:           2
        .value_kind:     hidden_group_size_z
      - .offset:         82
        .size:           2
        .value_kind:     hidden_remainder_x
      - .offset:         84
        .size:           2
        .value_kind:     hidden_remainder_y
      - .offset:         86
        .size:           2
        .value_kind:     hidden_remainder_z
      - .offset:         104
        .size:           8
        .value_kind:     hidden_global_offset_x
      - .offset:         112
        .size:           8
        .value_kind:     hidden_global_offset_y
      - .offset:         120
        .size:           8
        .value_kind:     hidden_global_offset_z
      - .offset:         128
        .size:           2
        .value_kind:     hidden_grid_dims
    .group_segment_fixed_size: 8208
    .kernarg_segment_align: 8
    .kernarg_segment_size: 320
    .language:       OpenCL C
    .language_version:
      - 2
      - 0
    .max_flat_workgroup_size: 256
    .name:           _ZN7rocprim17ROCPRIM_304000_NS6detail35device_block_merge_mergepath_kernelINS1_37wrapped_merge_sort_block_merge_configINS0_14default_configEsN2at4cuda3cub6detail10OpaqueTypeILi8EEEEEPsSC_PSA_SD_jNS1_19radix_merge_compareILb1ELb0EsNS0_19identity_decomposerEEEEEvT0_T1_T2_T3_T4_SL_jT5_PKSL_NS1_7vsmem_tE
    .private_segment_fixed_size: 0
    .sgpr_count:     35
    .sgpr_spill_count: 0
    .symbol:         _ZN7rocprim17ROCPRIM_304000_NS6detail35device_block_merge_mergepath_kernelINS1_37wrapped_merge_sort_block_merge_configINS0_14default_configEsN2at4cuda3cub6detail10OpaqueTypeILi8EEEEEPsSC_PSA_SD_jNS1_19radix_merge_compareILb1ELb0EsNS0_19identity_decomposerEEEEEvT0_T1_T2_T3_T4_SL_jT5_PKSL_NS1_7vsmem_tE.kd
    .uniform_work_group_size: 1
    .uses_dynamic_stack: false
    .vgpr_count:     23
    .vgpr_spill_count: 0
    .wavefront_size: 64
  - .agpr_count:     0
    .args:
      - .address_space:  global
        .offset:         0
        .size:           8
        .value_kind:     global_buffer
      - .address_space:  global
        .offset:         8
        .size:           8
        .value_kind:     global_buffer
      - .address_space:  global
        .offset:         16
        .size:           8
        .value_kind:     global_buffer
      - .address_space:  global
        .offset:         24
        .size:           8
        .value_kind:     global_buffer
      - .offset:         32
        .size:           4
        .value_kind:     by_value
      - .offset:         36
        .size:           4
        .value_kind:     by_value
      - .offset:         40
        .size:           1
        .value_kind:     by_value
    .group_segment_fixed_size: 0
    .kernarg_segment_align: 8
    .kernarg_segment_size: 44
    .language:       OpenCL C
    .language_version:
      - 2
      - 0
    .max_flat_workgroup_size: 256
    .name:           _ZN7rocprim17ROCPRIM_304000_NS6detail33device_block_merge_oddeven_kernelINS1_37wrapped_merge_sort_block_merge_configINS0_14default_configEsN2at4cuda3cub6detail10OpaqueTypeILi8EEEEEPsSC_PSA_SD_jNS1_19radix_merge_compareILb1ELb0EsNS0_19identity_decomposerEEEEEvT0_T1_T2_T3_T4_SL_T5_
    .private_segment_fixed_size: 0
    .sgpr_count:     27
    .sgpr_spill_count: 0
    .symbol:         _ZN7rocprim17ROCPRIM_304000_NS6detail33device_block_merge_oddeven_kernelINS1_37wrapped_merge_sort_block_merge_configINS0_14default_configEsN2at4cuda3cub6detail10OpaqueTypeILi8EEEEEPsSC_PSA_SD_jNS1_19radix_merge_compareILb1ELb0EsNS0_19identity_decomposerEEEEEvT0_T1_T2_T3_T4_SL_T5_.kd
    .uniform_work_group_size: 1
    .uses_dynamic_stack: false
    .vgpr_count:     10
    .vgpr_spill_count: 0
    .wavefront_size: 64
  - .agpr_count:     0
    .args:
      - .address_space:  global
        .offset:         0
        .size:           8
        .value_kind:     global_buffer
      - .offset:         8
        .size:           8
        .value_kind:     by_value
      - .address_space:  global
        .offset:         16
        .size:           8
        .value_kind:     global_buffer
      - .offset:         24
        .size:           1
        .value_kind:     by_value
      - .offset:         32
        .size:           4
        .value_kind:     hidden_block_count_x
      - .offset:         36
        .size:           4
        .value_kind:     hidden_block_count_y
      - .offset:         40
        .size:           4
        .value_kind:     hidden_block_count_z
      - .offset:         44
        .size:           2
        .value_kind:     hidden_group_size_x
      - .offset:         46
        .size:           2
        .value_kind:     hidden_group_size_y
      - .offset:         48
        .size:           2
        .value_kind:     hidden_group_size_z
      - .offset:         50
        .size:           2
        .value_kind:     hidden_remainder_x
      - .offset:         52
        .size:           2
        .value_kind:     hidden_remainder_y
      - .offset:         54
        .size:           2
        .value_kind:     hidden_remainder_z
      - .offset:         72
        .size:           8
        .value_kind:     hidden_global_offset_x
      - .offset:         80
        .size:           8
        .value_kind:     hidden_global_offset_y
      - .offset:         88
        .size:           8
        .value_kind:     hidden_global_offset_z
      - .offset:         96
        .size:           2
        .value_kind:     hidden_grid_dims
    .group_segment_fixed_size: 0
    .kernarg_segment_align: 8
    .kernarg_segment_size: 288
    .language:       OpenCL C
    .language_version:
      - 2
      - 0
    .max_flat_workgroup_size: 64
    .name:           _ZN7rocprim17ROCPRIM_304000_NS6detail16transform_kernelINS1_24wrapped_transform_configINS0_14default_configEsEEsPsS6_NS0_8identityIsEEEEvT1_mT2_T3_
    .private_segment_fixed_size: 0
    .sgpr_count:     27
    .sgpr_spill_count: 0
    .symbol:         _ZN7rocprim17ROCPRIM_304000_NS6detail16transform_kernelINS1_24wrapped_transform_configINS0_14default_configEsEEsPsS6_NS0_8identityIsEEEEvT1_mT2_T3_.kd
    .uniform_work_group_size: 1
    .uses_dynamic_stack: false
    .vgpr_count:     12
    .vgpr_spill_count: 0
    .wavefront_size: 64
  - .agpr_count:     0
    .args:
      - .address_space:  global
        .offset:         0
        .size:           8
        .value_kind:     global_buffer
      - .offset:         8
        .size:           4
        .value_kind:     by_value
      - .offset:         12
        .size:           4
        .value_kind:     by_value
      - .address_space:  global
        .offset:         16
        .size:           8
        .value_kind:     global_buffer
      - .offset:         24
        .size:           2
        .value_kind:     by_value
      - .offset:         28
        .size:           4
        .value_kind:     by_value
    .group_segment_fixed_size: 0
    .kernarg_segment_align: 8
    .kernarg_segment_size: 32
    .language:       OpenCL C
    .language_version:
      - 2
      - 0
    .max_flat_workgroup_size: 128
    .name:           _ZN7rocprim17ROCPRIM_304000_NS6detail45device_block_merge_mergepath_partition_kernelINS1_37wrapped_merge_sort_block_merge_configINS0_14default_configEsN2at4cuda3cub6detail10OpaqueTypeILi8EEEEEPsjNS1_19radix_merge_compareILb1ELb1EsNS0_19identity_decomposerEEEEEvT0_T1_jPSH_T2_SH_
    .private_segment_fixed_size: 0
    .sgpr_count:     12
    .sgpr_spill_count: 0
    .symbol:         _ZN7rocprim17ROCPRIM_304000_NS6detail45device_block_merge_mergepath_partition_kernelINS1_37wrapped_merge_sort_block_merge_configINS0_14default_configEsN2at4cuda3cub6detail10OpaqueTypeILi8EEEEEPsjNS1_19radix_merge_compareILb1ELb1EsNS0_19identity_decomposerEEEEEvT0_T1_jPSH_T2_SH_.kd
    .uniform_work_group_size: 1
    .uses_dynamic_stack: false
    .vgpr_count:     15
    .vgpr_spill_count: 0
    .wavefront_size: 64
  - .agpr_count:     0
    .args:
      - .address_space:  global
        .offset:         0
        .size:           8
        .value_kind:     global_buffer
      - .address_space:  global
        .offset:         8
        .size:           8
        .value_kind:     global_buffer
      - .address_space:  global
        .offset:         16
        .size:           8
        .value_kind:     global_buffer
      - .address_space:  global
        .offset:         24
        .size:           8
        .value_kind:     global_buffer
      - .offset:         32
        .size:           4
        .value_kind:     by_value
      - .offset:         36
        .size:           4
        .value_kind:     by_value
      - .offset:         40
        .size:           4
        .value_kind:     by_value
      - .offset:         44
        .size:           2
        .value_kind:     by_value
      - .address_space:  global
        .offset:         48
        .size:           8
        .value_kind:     global_buffer
      - .address_space:  global
        .offset:         56
        .size:           8
        .value_kind:     global_buffer
      - .offset:         64
        .size:           4
        .value_kind:     hidden_block_count_x
      - .offset:         68
        .size:           4
        .value_kind:     hidden_block_count_y
      - .offset:         72
        .size:           4
        .value_kind:     hidden_block_count_z
      - .offset:         76
        .size:           2
        .value_kind:     hidden_group_size_x
      - .offset:         78
        .size:           2
        .value_kind:     hidden_group_size_y
      - .offset:         80
        .size:           2
        .value_kind:     hidden_group_size_z
      - .offset:         82
        .size:           2
        .value_kind:     hidden_remainder_x
      - .offset:         84
        .size:           2
        .value_kind:     hidden_remainder_y
      - .offset:         86
        .size:           2
        .value_kind:     hidden_remainder_z
      - .offset:         104
        .size:           8
        .value_kind:     hidden_global_offset_x
      - .offset:         112
        .size:           8
        .value_kind:     hidden_global_offset_y
      - .offset:         120
        .size:           8
        .value_kind:     hidden_global_offset_z
      - .offset:         128
        .size:           2
        .value_kind:     hidden_grid_dims
    .group_segment_fixed_size: 8208
    .kernarg_segment_align: 8
    .kernarg_segment_size: 320
    .language:       OpenCL C
    .language_version:
      - 2
      - 0
    .max_flat_workgroup_size: 256
    .name:           _ZN7rocprim17ROCPRIM_304000_NS6detail35device_block_merge_mergepath_kernelINS1_37wrapped_merge_sort_block_merge_configINS0_14default_configEsN2at4cuda3cub6detail10OpaqueTypeILi8EEEEEPsSC_PSA_SD_jNS1_19radix_merge_compareILb1ELb1EsNS0_19identity_decomposerEEEEEvT0_T1_T2_T3_T4_SL_jT5_PKSL_NS1_7vsmem_tE
    .private_segment_fixed_size: 0
    .sgpr_count:     35
    .sgpr_spill_count: 0
    .symbol:         _ZN7rocprim17ROCPRIM_304000_NS6detail35device_block_merge_mergepath_kernelINS1_37wrapped_merge_sort_block_merge_configINS0_14default_configEsN2at4cuda3cub6detail10OpaqueTypeILi8EEEEEPsSC_PSA_SD_jNS1_19radix_merge_compareILb1ELb1EsNS0_19identity_decomposerEEEEEvT0_T1_T2_T3_T4_SL_jT5_PKSL_NS1_7vsmem_tE.kd
    .uniform_work_group_size: 1
    .uses_dynamic_stack: false
    .vgpr_count:     23
    .vgpr_spill_count: 0
    .wavefront_size: 64
  - .agpr_count:     0
    .args:
      - .address_space:  global
        .offset:         0
        .size:           8
        .value_kind:     global_buffer
      - .address_space:  global
        .offset:         8
        .size:           8
        .value_kind:     global_buffer
      - .address_space:  global
        .offset:         16
        .size:           8
        .value_kind:     global_buffer
      - .address_space:  global
        .offset:         24
        .size:           8
        .value_kind:     global_buffer
      - .offset:         32
        .size:           4
        .value_kind:     by_value
      - .offset:         36
        .size:           4
        .value_kind:     by_value
      - .offset:         40
        .size:           2
        .value_kind:     by_value
    .group_segment_fixed_size: 0
    .kernarg_segment_align: 8
    .kernarg_segment_size: 44
    .language:       OpenCL C
    .language_version:
      - 2
      - 0
    .max_flat_workgroup_size: 256
    .name:           _ZN7rocprim17ROCPRIM_304000_NS6detail33device_block_merge_oddeven_kernelINS1_37wrapped_merge_sort_block_merge_configINS0_14default_configEsN2at4cuda3cub6detail10OpaqueTypeILi8EEEEEPsSC_PSA_SD_jNS1_19radix_merge_compareILb1ELb1EsNS0_19identity_decomposerEEEEEvT0_T1_T2_T3_T4_SL_T5_
    .private_segment_fixed_size: 0
    .sgpr_count:     28
    .sgpr_spill_count: 0
    .symbol:         _ZN7rocprim17ROCPRIM_304000_NS6detail33device_block_merge_oddeven_kernelINS1_37wrapped_merge_sort_block_merge_configINS0_14default_configEsN2at4cuda3cub6detail10OpaqueTypeILi8EEEEEPsSC_PSA_SD_jNS1_19radix_merge_compareILb1ELb1EsNS0_19identity_decomposerEEEEEvT0_T1_T2_T3_T4_SL_T5_.kd
    .uniform_work_group_size: 1
    .uses_dynamic_stack: false
    .vgpr_count:     11
    .vgpr_spill_count: 0
    .wavefront_size: 64
  - .agpr_count:     0
    .args:
      - .address_space:  global
        .offset:         0
        .size:           8
        .value_kind:     global_buffer
      - .address_space:  global
        .offset:         8
        .size:           8
        .value_kind:     global_buffer
      - .offset:         16
        .size:           8
        .value_kind:     by_value
      - .offset:         24
        .size:           8
        .value_kind:     by_value
      - .offset:         32
        .size:           1
        .value_kind:     by_value
      - .offset:         36
        .size:           4
        .value_kind:     by_value
      - .offset:         40
        .size:           4
        .value_kind:     by_value
    .group_segment_fixed_size: 8192
    .kernarg_segment_align: 8
    .kernarg_segment_size: 44
    .language:       OpenCL C
    .language_version:
      - 2
      - 0
    .max_flat_workgroup_size: 1024
    .name:           _ZN7rocprim17ROCPRIM_304000_NS6detail26onesweep_histograms_kernelINS1_34wrapped_radix_sort_onesweep_configINS0_14default_configEsN2at4cuda3cub6detail10OpaqueTypeILi8EEEEELb1EPKsmNS0_19identity_decomposerEEEvT1_PT2_SG_SG_T3_jj
    .private_segment_fixed_size: 0
    .sgpr_count:     30
    .sgpr_spill_count: 0
    .symbol:         _ZN7rocprim17ROCPRIM_304000_NS6detail26onesweep_histograms_kernelINS1_34wrapped_radix_sort_onesweep_configINS0_14default_configEsN2at4cuda3cub6detail10OpaqueTypeILi8EEEEELb1EPKsmNS0_19identity_decomposerEEEvT1_PT2_SG_SG_T3_jj.kd
    .uniform_work_group_size: 1
    .uses_dynamic_stack: false
    .vgpr_count:     18
    .vgpr_spill_count: 0
    .wavefront_size: 64
  - .agpr_count:     0
    .args:
      - .address_space:  global
        .offset:         0
        .size:           8
        .value_kind:     global_buffer
    .group_segment_fixed_size: 128
    .kernarg_segment_align: 8
    .kernarg_segment_size: 8
    .language:       OpenCL C
    .language_version:
      - 2
      - 0
    .max_flat_workgroup_size: 1024
    .name:           _ZN7rocprim17ROCPRIM_304000_NS6detail31onesweep_scan_histograms_kernelINS1_34wrapped_radix_sort_onesweep_configINS0_14default_configEsN2at4cuda3cub6detail10OpaqueTypeILi8EEEEEmEEvPT0_
    .private_segment_fixed_size: 0
    .sgpr_count:     22
    .sgpr_spill_count: 0
    .symbol:         _ZN7rocprim17ROCPRIM_304000_NS6detail31onesweep_scan_histograms_kernelINS1_34wrapped_radix_sort_onesweep_configINS0_14default_configEsN2at4cuda3cub6detail10OpaqueTypeILi8EEEEEmEEvPT0_.kd
    .uniform_work_group_size: 1
    .uses_dynamic_stack: false
    .vgpr_count:     13
    .vgpr_spill_count: 0
    .wavefront_size: 64
  - .agpr_count:     0
    .args:
      - .address_space:  global
        .offset:         0
        .size:           8
        .value_kind:     global_buffer
      - .offset:         8
        .size:           8
        .value_kind:     by_value
      - .address_space:  global
        .offset:         16
        .size:           8
        .value_kind:     global_buffer
      - .offset:         24
        .size:           1
        .value_kind:     by_value
      - .offset:         32
        .size:           4
        .value_kind:     hidden_block_count_x
      - .offset:         36
        .size:           4
        .value_kind:     hidden_block_count_y
      - .offset:         40
        .size:           4
        .value_kind:     hidden_block_count_z
      - .offset:         44
        .size:           2
        .value_kind:     hidden_group_size_x
      - .offset:         46
        .size:           2
        .value_kind:     hidden_group_size_y
      - .offset:         48
        .size:           2
        .value_kind:     hidden_group_size_z
      - .offset:         50
        .size:           2
        .value_kind:     hidden_remainder_x
      - .offset:         52
        .size:           2
        .value_kind:     hidden_remainder_y
      - .offset:         54
        .size:           2
        .value_kind:     hidden_remainder_z
      - .offset:         72
        .size:           8
        .value_kind:     hidden_global_offset_x
      - .offset:         80
        .size:           8
        .value_kind:     hidden_global_offset_y
      - .offset:         88
        .size:           8
        .value_kind:     hidden_global_offset_z
      - .offset:         96
        .size:           2
        .value_kind:     hidden_grid_dims
    .group_segment_fixed_size: 0
    .kernarg_segment_align: 8
    .kernarg_segment_size: 288
    .language:       OpenCL C
    .language_version:
      - 2
      - 0
    .max_flat_workgroup_size: 64
    .name:           _ZN7rocprim17ROCPRIM_304000_NS6detail16transform_kernelINS1_24wrapped_transform_configINS0_14default_configEsEEsPKsPsNS0_8identityIsEEEEvT1_mT2_T3_
    .private_segment_fixed_size: 0
    .sgpr_count:     27
    .sgpr_spill_count: 0
    .symbol:         _ZN7rocprim17ROCPRIM_304000_NS6detail16transform_kernelINS1_24wrapped_transform_configINS0_14default_configEsEEsPKsPsNS0_8identityIsEEEEvT1_mT2_T3_.kd
    .uniform_work_group_size: 1
    .uses_dynamic_stack: false
    .vgpr_count:     12
    .vgpr_spill_count: 0
    .wavefront_size: 64
  - .agpr_count:     0
    .args:
      - .address_space:  global
        .offset:         0
        .size:           8
        .value_kind:     global_buffer
      - .address_space:  global
        .offset:         8
        .size:           8
        .value_kind:     global_buffer
      - .address_space:  global
        .offset:         16
        .size:           8
        .value_kind:     global_buffer
      - .address_space:  global
        .offset:         24
        .size:           8
        .value_kind:     global_buffer
      - .offset:         32
        .size:           4
        .value_kind:     by_value
      - .address_space:  global
        .offset:         40
        .size:           8
        .value_kind:     global_buffer
      - .address_space:  global
        .offset:         48
        .size:           8
        .value_kind:     global_buffer
      - .address_space:  global
        .offset:         56
        .size:           8
        .value_kind:     global_buffer
      - .offset:         64
        .size:           1
        .value_kind:     by_value
      - .offset:         68
        .size:           4
        .value_kind:     by_value
      - .offset:         72
        .size:           4
        .value_kind:     by_value
      - .offset:         76
        .size:           4
        .value_kind:     by_value
      - .offset:         80
        .size:           4
        .value_kind:     hidden_block_count_x
      - .offset:         84
        .size:           4
        .value_kind:     hidden_block_count_y
      - .offset:         88
        .size:           4
        .value_kind:     hidden_block_count_z
      - .offset:         92
        .size:           2
        .value_kind:     hidden_group_size_x
      - .offset:         94
        .size:           2
        .value_kind:     hidden_group_size_y
      - .offset:         96
        .size:           2
        .value_kind:     hidden_group_size_z
      - .offset:         98
        .size:           2
        .value_kind:     hidden_remainder_x
      - .offset:         100
        .size:           2
        .value_kind:     hidden_remainder_y
      - .offset:         102
        .size:           2
        .value_kind:     hidden_remainder_z
      - .offset:         120
        .size:           8
        .value_kind:     hidden_global_offset_x
      - .offset:         128
        .size:           8
        .value_kind:     hidden_global_offset_y
      - .offset:         136
        .size:           8
        .value_kind:     hidden_global_offset_z
      - .offset:         144
        .size:           2
        .value_kind:     hidden_grid_dims
    .group_segment_fixed_size: 51200
    .kernarg_segment_align: 8
    .kernarg_segment_size: 336
    .language:       OpenCL C
    .language_version:
      - 2
      - 0
    .max_flat_workgroup_size: 1024
    .name:           _ZN7rocprim17ROCPRIM_304000_NS6detail25onesweep_iteration_kernelINS1_34wrapped_radix_sort_onesweep_configINS0_14default_configEsN2at4cuda3cub6detail10OpaqueTypeILi8EEEEELb1EPKsPsPKSA_PSA_mNS0_19identity_decomposerEEEvT1_T2_T3_T4_jPT5_SO_PNS1_23onesweep_lookback_stateET6_jjj
    .private_segment_fixed_size: 0
    .sgpr_count:     56
    .sgpr_spill_count: 0
    .symbol:         _ZN7rocprim17ROCPRIM_304000_NS6detail25onesweep_iteration_kernelINS1_34wrapped_radix_sort_onesweep_configINS0_14default_configEsN2at4cuda3cub6detail10OpaqueTypeILi8EEEEELb1EPKsPsPKSA_PSA_mNS0_19identity_decomposerEEEvT1_T2_T3_T4_jPT5_SO_PNS1_23onesweep_lookback_stateET6_jjj.kd
    .uniform_work_group_size: 1
    .uses_dynamic_stack: false
    .vgpr_count:     44
    .vgpr_spill_count: 0
    .wavefront_size: 64
  - .agpr_count:     0
    .args:
      - .address_space:  global
        .offset:         0
        .size:           8
        .value_kind:     global_buffer
      - .address_space:  global
        .offset:         8
        .size:           8
        .value_kind:     global_buffer
      - .address_space:  global
        .offset:         16
        .size:           8
        .value_kind:     global_buffer
      - .address_space:  global
        .offset:         24
        .size:           8
        .value_kind:     global_buffer
      - .offset:         32
        .size:           4
        .value_kind:     by_value
      - .address_space:  global
        .offset:         40
        .size:           8
        .value_kind:     global_buffer
      - .address_space:  global
        .offset:         48
        .size:           8
        .value_kind:     global_buffer
      - .address_space:  global
        .offset:         56
        .size:           8
        .value_kind:     global_buffer
      - .offset:         64
        .size:           1
        .value_kind:     by_value
      - .offset:         68
        .size:           4
        .value_kind:     by_value
      - .offset:         72
        .size:           4
        .value_kind:     by_value
      - .offset:         76
        .size:           4
        .value_kind:     by_value
      - .offset:         80
        .size:           4
        .value_kind:     hidden_block_count_x
      - .offset:         84
        .size:           4
        .value_kind:     hidden_block_count_y
      - .offset:         88
        .size:           4
        .value_kind:     hidden_block_count_z
      - .offset:         92
        .size:           2
        .value_kind:     hidden_group_size_x
      - .offset:         94
        .size:           2
        .value_kind:     hidden_group_size_y
      - .offset:         96
        .size:           2
        .value_kind:     hidden_group_size_z
      - .offset:         98
        .size:           2
        .value_kind:     hidden_remainder_x
      - .offset:         100
        .size:           2
        .value_kind:     hidden_remainder_y
      - .offset:         102
        .size:           2
        .value_kind:     hidden_remainder_z
      - .offset:         120
        .size:           8
        .value_kind:     hidden_global_offset_x
      - .offset:         128
        .size:           8
        .value_kind:     hidden_global_offset_y
      - .offset:         136
        .size:           8
        .value_kind:     hidden_global_offset_z
      - .offset:         144
        .size:           2
        .value_kind:     hidden_grid_dims
    .group_segment_fixed_size: 51200
    .kernarg_segment_align: 8
    .kernarg_segment_size: 336
    .language:       OpenCL C
    .language_version:
      - 2
      - 0
    .max_flat_workgroup_size: 1024
    .name:           _ZN7rocprim17ROCPRIM_304000_NS6detail25onesweep_iteration_kernelINS1_34wrapped_radix_sort_onesweep_configINS0_14default_configEsN2at4cuda3cub6detail10OpaqueTypeILi8EEEEELb1EPsSC_PSA_SD_mNS0_19identity_decomposerEEEvT1_T2_T3_T4_jPT5_SK_PNS1_23onesweep_lookback_stateET6_jjj
    .private_segment_fixed_size: 0
    .sgpr_count:     56
    .sgpr_spill_count: 0
    .symbol:         _ZN7rocprim17ROCPRIM_304000_NS6detail25onesweep_iteration_kernelINS1_34wrapped_radix_sort_onesweep_configINS0_14default_configEsN2at4cuda3cub6detail10OpaqueTypeILi8EEEEELb1EPsSC_PSA_SD_mNS0_19identity_decomposerEEEvT1_T2_T3_T4_jPT5_SK_PNS1_23onesweep_lookback_stateET6_jjj.kd
    .uniform_work_group_size: 1
    .uses_dynamic_stack: false
    .vgpr_count:     44
    .vgpr_spill_count: 0
    .wavefront_size: 64
  - .agpr_count:     0
    .args:
      - .address_space:  global
        .offset:         0
        .size:           8
        .value_kind:     global_buffer
      - .address_space:  global
        .offset:         8
        .size:           8
        .value_kind:     global_buffer
      - .address_space:  global
        .offset:         16
        .size:           8
        .value_kind:     global_buffer
      - .address_space:  global
        .offset:         24
        .size:           8
        .value_kind:     global_buffer
      - .offset:         32
        .size:           4
        .value_kind:     by_value
      - .offset:         36
        .size:           1
        .value_kind:     by_value
      - .offset:         40
        .size:           4
        .value_kind:     by_value
      - .offset:         44
        .size:           4
        .value_kind:     by_value
      - .offset:         48
        .size:           4
        .value_kind:     hidden_block_count_x
      - .offset:         52
        .size:           4
        .value_kind:     hidden_block_count_y
      - .offset:         56
        .size:           4
        .value_kind:     hidden_block_count_z
      - .offset:         60
        .size:           2
        .value_kind:     hidden_group_size_x
      - .offset:         62
        .size:           2
        .value_kind:     hidden_group_size_y
      - .offset:         64
        .size:           2
        .value_kind:     hidden_group_size_z
      - .offset:         66
        .size:           2
        .value_kind:     hidden_remainder_x
      - .offset:         68
        .size:           2
        .value_kind:     hidden_remainder_y
      - .offset:         70
        .size:           2
        .value_kind:     hidden_remainder_z
      - .offset:         88
        .size:           8
        .value_kind:     hidden_global_offset_x
      - .offset:         96
        .size:           8
        .value_kind:     hidden_global_offset_y
      - .offset:         104
        .size:           8
        .value_kind:     hidden_global_offset_z
      - .offset:         112
        .size:           2
        .value_kind:     hidden_grid_dims
    .group_segment_fixed_size: 8192
    .kernarg_segment_align: 8
    .kernarg_segment_size: 304
    .language:       OpenCL C
    .language_version:
      - 2
      - 0
    .max_flat_workgroup_size: 256
    .name:           _ZN7rocprim17ROCPRIM_304000_NS6detail28radix_sort_block_sort_kernelINS1_36wrapped_radix_sort_block_sort_configINS0_13kernel_configILj256ELj4ELj4294967295EEEsN2at4cuda3cub6detail10OpaqueTypeILi8EEEEELb0EPKsPsPKSB_PSB_NS0_19identity_decomposerEEEvT1_T2_T3_T4_jT5_jj
    .private_segment_fixed_size: 0
    .sgpr_count:     52
    .sgpr_spill_count: 0
    .symbol:         _ZN7rocprim17ROCPRIM_304000_NS6detail28radix_sort_block_sort_kernelINS1_36wrapped_radix_sort_block_sort_configINS0_13kernel_configILj256ELj4ELj4294967295EEEsN2at4cuda3cub6detail10OpaqueTypeILi8EEEEELb0EPKsPsPKSB_PSB_NS0_19identity_decomposerEEEvT1_T2_T3_T4_jT5_jj.kd
    .uniform_work_group_size: 1
    .uses_dynamic_stack: false
    .vgpr_count:     52
    .vgpr_spill_count: 0
    .wavefront_size: 64
  - .agpr_count:     0
    .args:
      - .address_space:  global
        .offset:         0
        .size:           8
        .value_kind:     global_buffer
      - .offset:         8
        .size:           4
        .value_kind:     by_value
      - .offset:         12
        .size:           4
        .value_kind:     by_value
      - .address_space:  global
        .offset:         16
        .size:           8
        .value_kind:     global_buffer
      - .offset:         24
        .size:           1
        .value_kind:     by_value
      - .offset:         28
        .size:           4
        .value_kind:     by_value
    .group_segment_fixed_size: 0
    .kernarg_segment_align: 8
    .kernarg_segment_size: 32
    .language:       OpenCL C
    .language_version:
      - 2
      - 0
    .max_flat_workgroup_size: 128
    .name:           _ZN7rocprim17ROCPRIM_304000_NS6detail45device_block_merge_mergepath_partition_kernelINS1_37wrapped_merge_sort_block_merge_configINS0_14default_configEsN2at4cuda3cub6detail10OpaqueTypeILi8EEEEEPsjNS1_19radix_merge_compareILb0ELb0EsNS0_19identity_decomposerEEEEEvT0_T1_jPSH_T2_SH_
    .private_segment_fixed_size: 0
    .sgpr_count:     11
    .sgpr_spill_count: 0
    .symbol:         _ZN7rocprim17ROCPRIM_304000_NS6detail45device_block_merge_mergepath_partition_kernelINS1_37wrapped_merge_sort_block_merge_configINS0_14default_configEsN2at4cuda3cub6detail10OpaqueTypeILi8EEEEEPsjNS1_19radix_merge_compareILb0ELb0EsNS0_19identity_decomposerEEEEEvT0_T1_jPSH_T2_SH_.kd
    .uniform_work_group_size: 1
    .uses_dynamic_stack: false
    .vgpr_count:     15
    .vgpr_spill_count: 0
    .wavefront_size: 64
  - .agpr_count:     0
    .args:
      - .address_space:  global
        .offset:         0
        .size:           8
        .value_kind:     global_buffer
      - .address_space:  global
        .offset:         8
        .size:           8
        .value_kind:     global_buffer
      - .address_space:  global
        .offset:         16
        .size:           8
        .value_kind:     global_buffer
      - .address_space:  global
        .offset:         24
        .size:           8
        .value_kind:     global_buffer
      - .offset:         32
        .size:           4
        .value_kind:     by_value
      - .offset:         36
        .size:           4
        .value_kind:     by_value
      - .offset:         40
        .size:           4
        .value_kind:     by_value
      - .offset:         44
        .size:           1
        .value_kind:     by_value
      - .address_space:  global
        .offset:         48
        .size:           8
        .value_kind:     global_buffer
      - .address_space:  global
        .offset:         56
        .size:           8
        .value_kind:     global_buffer
      - .offset:         64
        .size:           4
        .value_kind:     hidden_block_count_x
      - .offset:         68
        .size:           4
        .value_kind:     hidden_block_count_y
      - .offset:         72
        .size:           4
        .value_kind:     hidden_block_count_z
      - .offset:         76
        .size:           2
        .value_kind:     hidden_group_size_x
      - .offset:         78
        .size:           2
        .value_kind:     hidden_group_size_y
      - .offset:         80
        .size:           2
        .value_kind:     hidden_group_size_z
      - .offset:         82
        .size:           2
        .value_kind:     hidden_remainder_x
      - .offset:         84
        .size:           2
        .value_kind:     hidden_remainder_y
      - .offset:         86
        .size:           2
        .value_kind:     hidden_remainder_z
      - .offset:         104
        .size:           8
        .value_kind:     hidden_global_offset_x
      - .offset:         112
        .size:           8
        .value_kind:     hidden_global_offset_y
      - .offset:         120
        .size:           8
        .value_kind:     hidden_global_offset_z
      - .offset:         128
        .size:           2
        .value_kind:     hidden_grid_dims
    .group_segment_fixed_size: 8208
    .kernarg_segment_align: 8
    .kernarg_segment_size: 320
    .language:       OpenCL C
    .language_version:
      - 2
      - 0
    .max_flat_workgroup_size: 256
    .name:           _ZN7rocprim17ROCPRIM_304000_NS6detail35device_block_merge_mergepath_kernelINS1_37wrapped_merge_sort_block_merge_configINS0_14default_configEsN2at4cuda3cub6detail10OpaqueTypeILi8EEEEEPsSC_PSA_SD_jNS1_19radix_merge_compareILb0ELb0EsNS0_19identity_decomposerEEEEEvT0_T1_T2_T3_T4_SL_jT5_PKSL_NS1_7vsmem_tE
    .private_segment_fixed_size: 0
    .sgpr_count:     35
    .sgpr_spill_count: 0
    .symbol:         _ZN7rocprim17ROCPRIM_304000_NS6detail35device_block_merge_mergepath_kernelINS1_37wrapped_merge_sort_block_merge_configINS0_14default_configEsN2at4cuda3cub6detail10OpaqueTypeILi8EEEEEPsSC_PSA_SD_jNS1_19radix_merge_compareILb0ELb0EsNS0_19identity_decomposerEEEEEvT0_T1_T2_T3_T4_SL_jT5_PKSL_NS1_7vsmem_tE.kd
    .uniform_work_group_size: 1
    .uses_dynamic_stack: false
    .vgpr_count:     23
    .vgpr_spill_count: 0
    .wavefront_size: 64
  - .agpr_count:     0
    .args:
      - .address_space:  global
        .offset:         0
        .size:           8
        .value_kind:     global_buffer
      - .address_space:  global
        .offset:         8
        .size:           8
        .value_kind:     global_buffer
      - .address_space:  global
        .offset:         16
        .size:           8
        .value_kind:     global_buffer
      - .address_space:  global
        .offset:         24
        .size:           8
        .value_kind:     global_buffer
      - .offset:         32
        .size:           4
        .value_kind:     by_value
      - .offset:         36
        .size:           4
        .value_kind:     by_value
      - .offset:         40
        .size:           1
        .value_kind:     by_value
    .group_segment_fixed_size: 0
    .kernarg_segment_align: 8
    .kernarg_segment_size: 44
    .language:       OpenCL C
    .language_version:
      - 2
      - 0
    .max_flat_workgroup_size: 256
    .name:           _ZN7rocprim17ROCPRIM_304000_NS6detail33device_block_merge_oddeven_kernelINS1_37wrapped_merge_sort_block_merge_configINS0_14default_configEsN2at4cuda3cub6detail10OpaqueTypeILi8EEEEEPsSC_PSA_SD_jNS1_19radix_merge_compareILb0ELb0EsNS0_19identity_decomposerEEEEEvT0_T1_T2_T3_T4_SL_T5_
    .private_segment_fixed_size: 0
    .sgpr_count:     27
    .sgpr_spill_count: 0
    .symbol:         _ZN7rocprim17ROCPRIM_304000_NS6detail33device_block_merge_oddeven_kernelINS1_37wrapped_merge_sort_block_merge_configINS0_14default_configEsN2at4cuda3cub6detail10OpaqueTypeILi8EEEEEPsSC_PSA_SD_jNS1_19radix_merge_compareILb0ELb0EsNS0_19identity_decomposerEEEEEvT0_T1_T2_T3_T4_SL_T5_.kd
    .uniform_work_group_size: 1
    .uses_dynamic_stack: false
    .vgpr_count:     10
    .vgpr_spill_count: 0
    .wavefront_size: 64
  - .agpr_count:     0
    .args:
      - .address_space:  global
        .offset:         0
        .size:           8
        .value_kind:     global_buffer
      - .offset:         8
        .size:           4
        .value_kind:     by_value
      - .offset:         12
        .size:           4
        .value_kind:     by_value
      - .address_space:  global
        .offset:         16
        .size:           8
        .value_kind:     global_buffer
      - .offset:         24
        .size:           2
        .value_kind:     by_value
      - .offset:         28
        .size:           4
        .value_kind:     by_value
    .group_segment_fixed_size: 0
    .kernarg_segment_align: 8
    .kernarg_segment_size: 32
    .language:       OpenCL C
    .language_version:
      - 2
      - 0
    .max_flat_workgroup_size: 128
    .name:           _ZN7rocprim17ROCPRIM_304000_NS6detail45device_block_merge_mergepath_partition_kernelINS1_37wrapped_merge_sort_block_merge_configINS0_14default_configEsN2at4cuda3cub6detail10OpaqueTypeILi8EEEEEPsjNS1_19radix_merge_compareILb0ELb1EsNS0_19identity_decomposerEEEEEvT0_T1_jPSH_T2_SH_
    .private_segment_fixed_size: 0
    .sgpr_count:     12
    .sgpr_spill_count: 0
    .symbol:         _ZN7rocprim17ROCPRIM_304000_NS6detail45device_block_merge_mergepath_partition_kernelINS1_37wrapped_merge_sort_block_merge_configINS0_14default_configEsN2at4cuda3cub6detail10OpaqueTypeILi8EEEEEPsjNS1_19radix_merge_compareILb0ELb1EsNS0_19identity_decomposerEEEEEvT0_T1_jPSH_T2_SH_.kd
    .uniform_work_group_size: 1
    .uses_dynamic_stack: false
    .vgpr_count:     15
    .vgpr_spill_count: 0
    .wavefront_size: 64
  - .agpr_count:     0
    .args:
      - .address_space:  global
        .offset:         0
        .size:           8
        .value_kind:     global_buffer
      - .address_space:  global
        .offset:         8
        .size:           8
        .value_kind:     global_buffer
      - .address_space:  global
        .offset:         16
        .size:           8
        .value_kind:     global_buffer
      - .address_space:  global
        .offset:         24
        .size:           8
        .value_kind:     global_buffer
      - .offset:         32
        .size:           4
        .value_kind:     by_value
      - .offset:         36
        .size:           4
        .value_kind:     by_value
      - .offset:         40
        .size:           4
        .value_kind:     by_value
      - .offset:         44
        .size:           2
        .value_kind:     by_value
      - .address_space:  global
        .offset:         48
        .size:           8
        .value_kind:     global_buffer
      - .address_space:  global
        .offset:         56
        .size:           8
        .value_kind:     global_buffer
      - .offset:         64
        .size:           4
        .value_kind:     hidden_block_count_x
      - .offset:         68
        .size:           4
        .value_kind:     hidden_block_count_y
      - .offset:         72
        .size:           4
        .value_kind:     hidden_block_count_z
      - .offset:         76
        .size:           2
        .value_kind:     hidden_group_size_x
      - .offset:         78
        .size:           2
        .value_kind:     hidden_group_size_y
      - .offset:         80
        .size:           2
        .value_kind:     hidden_group_size_z
      - .offset:         82
        .size:           2
        .value_kind:     hidden_remainder_x
      - .offset:         84
        .size:           2
        .value_kind:     hidden_remainder_y
      - .offset:         86
        .size:           2
        .value_kind:     hidden_remainder_z
      - .offset:         104
        .size:           8
        .value_kind:     hidden_global_offset_x
      - .offset:         112
        .size:           8
        .value_kind:     hidden_global_offset_y
      - .offset:         120
        .size:           8
        .value_kind:     hidden_global_offset_z
      - .offset:         128
        .size:           2
        .value_kind:     hidden_grid_dims
    .group_segment_fixed_size: 8208
    .kernarg_segment_align: 8
    .kernarg_segment_size: 320
    .language:       OpenCL C
    .language_version:
      - 2
      - 0
    .max_flat_workgroup_size: 256
    .name:           _ZN7rocprim17ROCPRIM_304000_NS6detail35device_block_merge_mergepath_kernelINS1_37wrapped_merge_sort_block_merge_configINS0_14default_configEsN2at4cuda3cub6detail10OpaqueTypeILi8EEEEEPsSC_PSA_SD_jNS1_19radix_merge_compareILb0ELb1EsNS0_19identity_decomposerEEEEEvT0_T1_T2_T3_T4_SL_jT5_PKSL_NS1_7vsmem_tE
    .private_segment_fixed_size: 0
    .sgpr_count:     35
    .sgpr_spill_count: 0
    .symbol:         _ZN7rocprim17ROCPRIM_304000_NS6detail35device_block_merge_mergepath_kernelINS1_37wrapped_merge_sort_block_merge_configINS0_14default_configEsN2at4cuda3cub6detail10OpaqueTypeILi8EEEEEPsSC_PSA_SD_jNS1_19radix_merge_compareILb0ELb1EsNS0_19identity_decomposerEEEEEvT0_T1_T2_T3_T4_SL_jT5_PKSL_NS1_7vsmem_tE.kd
    .uniform_work_group_size: 1
    .uses_dynamic_stack: false
    .vgpr_count:     23
    .vgpr_spill_count: 0
    .wavefront_size: 64
  - .agpr_count:     0
    .args:
      - .address_space:  global
        .offset:         0
        .size:           8
        .value_kind:     global_buffer
      - .address_space:  global
        .offset:         8
        .size:           8
        .value_kind:     global_buffer
      - .address_space:  global
        .offset:         16
        .size:           8
        .value_kind:     global_buffer
      - .address_space:  global
        .offset:         24
        .size:           8
        .value_kind:     global_buffer
      - .offset:         32
        .size:           4
        .value_kind:     by_value
      - .offset:         36
        .size:           4
        .value_kind:     by_value
      - .offset:         40
        .size:           2
        .value_kind:     by_value
    .group_segment_fixed_size: 0
    .kernarg_segment_align: 8
    .kernarg_segment_size: 44
    .language:       OpenCL C
    .language_version:
      - 2
      - 0
    .max_flat_workgroup_size: 256
    .name:           _ZN7rocprim17ROCPRIM_304000_NS6detail33device_block_merge_oddeven_kernelINS1_37wrapped_merge_sort_block_merge_configINS0_14default_configEsN2at4cuda3cub6detail10OpaqueTypeILi8EEEEEPsSC_PSA_SD_jNS1_19radix_merge_compareILb0ELb1EsNS0_19identity_decomposerEEEEEvT0_T1_T2_T3_T4_SL_T5_
    .private_segment_fixed_size: 0
    .sgpr_count:     28
    .sgpr_spill_count: 0
    .symbol:         _ZN7rocprim17ROCPRIM_304000_NS6detail33device_block_merge_oddeven_kernelINS1_37wrapped_merge_sort_block_merge_configINS0_14default_configEsN2at4cuda3cub6detail10OpaqueTypeILi8EEEEEPsSC_PSA_SD_jNS1_19radix_merge_compareILb0ELb1EsNS0_19identity_decomposerEEEEEvT0_T1_T2_T3_T4_SL_T5_.kd
    .uniform_work_group_size: 1
    .uses_dynamic_stack: false
    .vgpr_count:     11
    .vgpr_spill_count: 0
    .wavefront_size: 64
  - .agpr_count:     0
    .args:
      - .address_space:  global
        .offset:         0
        .size:           8
        .value_kind:     global_buffer
      - .address_space:  global
        .offset:         8
        .size:           8
        .value_kind:     global_buffer
      - .offset:         16
        .size:           8
        .value_kind:     by_value
      - .offset:         24
        .size:           8
        .value_kind:     by_value
      - .offset:         32
        .size:           1
        .value_kind:     by_value
      - .offset:         36
        .size:           4
        .value_kind:     by_value
      - .offset:         40
        .size:           4
        .value_kind:     by_value
    .group_segment_fixed_size: 8192
    .kernarg_segment_align: 8
    .kernarg_segment_size: 44
    .language:       OpenCL C
    .language_version:
      - 2
      - 0
    .max_flat_workgroup_size: 1024
    .name:           _ZN7rocprim17ROCPRIM_304000_NS6detail26onesweep_histograms_kernelINS1_34wrapped_radix_sort_onesweep_configINS0_14default_configEsN2at4cuda3cub6detail10OpaqueTypeILi8EEEEELb0EPKsmNS0_19identity_decomposerEEEvT1_PT2_SG_SG_T3_jj
    .private_segment_fixed_size: 0
    .sgpr_count:     30
    .sgpr_spill_count: 0
    .symbol:         _ZN7rocprim17ROCPRIM_304000_NS6detail26onesweep_histograms_kernelINS1_34wrapped_radix_sort_onesweep_configINS0_14default_configEsN2at4cuda3cub6detail10OpaqueTypeILi8EEEEELb0EPKsmNS0_19identity_decomposerEEEvT1_PT2_SG_SG_T3_jj.kd
    .uniform_work_group_size: 1
    .uses_dynamic_stack: false
    .vgpr_count:     18
    .vgpr_spill_count: 0
    .wavefront_size: 64
  - .agpr_count:     0
    .args:
      - .address_space:  global
        .offset:         0
        .size:           8
        .value_kind:     global_buffer
      - .address_space:  global
        .offset:         8
        .size:           8
        .value_kind:     global_buffer
      - .address_space:  global
        .offset:         16
        .size:           8
        .value_kind:     global_buffer
      - .address_space:  global
        .offset:         24
        .size:           8
        .value_kind:     global_buffer
      - .offset:         32
        .size:           4
        .value_kind:     by_value
      - .address_space:  global
        .offset:         40
        .size:           8
        .value_kind:     global_buffer
      - .address_space:  global
        .offset:         48
        .size:           8
        .value_kind:     global_buffer
      - .address_space:  global
        .offset:         56
        .size:           8
        .value_kind:     global_buffer
      - .offset:         64
        .size:           1
        .value_kind:     by_value
      - .offset:         68
        .size:           4
        .value_kind:     by_value
      - .offset:         72
        .size:           4
        .value_kind:     by_value
      - .offset:         76
        .size:           4
        .value_kind:     by_value
      - .offset:         80
        .size:           4
        .value_kind:     hidden_block_count_x
      - .offset:         84
        .size:           4
        .value_kind:     hidden_block_count_y
      - .offset:         88
        .size:           4
        .value_kind:     hidden_block_count_z
      - .offset:         92
        .size:           2
        .value_kind:     hidden_group_size_x
      - .offset:         94
        .size:           2
        .value_kind:     hidden_group_size_y
      - .offset:         96
        .size:           2
        .value_kind:     hidden_group_size_z
      - .offset:         98
        .size:           2
        .value_kind:     hidden_remainder_x
      - .offset:         100
        .size:           2
        .value_kind:     hidden_remainder_y
      - .offset:         102
        .size:           2
        .value_kind:     hidden_remainder_z
      - .offset:         120
        .size:           8
        .value_kind:     hidden_global_offset_x
      - .offset:         128
        .size:           8
        .value_kind:     hidden_global_offset_y
      - .offset:         136
        .size:           8
        .value_kind:     hidden_global_offset_z
      - .offset:         144
        .size:           2
        .value_kind:     hidden_grid_dims
    .group_segment_fixed_size: 51200
    .kernarg_segment_align: 8
    .kernarg_segment_size: 336
    .language:       OpenCL C
    .language_version:
      - 2
      - 0
    .max_flat_workgroup_size: 1024
    .name:           _ZN7rocprim17ROCPRIM_304000_NS6detail25onesweep_iteration_kernelINS1_34wrapped_radix_sort_onesweep_configINS0_14default_configEsN2at4cuda3cub6detail10OpaqueTypeILi8EEEEELb0EPKsPsPKSA_PSA_mNS0_19identity_decomposerEEEvT1_T2_T3_T4_jPT5_SO_PNS1_23onesweep_lookback_stateET6_jjj
    .private_segment_fixed_size: 0
    .sgpr_count:     56
    .sgpr_spill_count: 0
    .symbol:         _ZN7rocprim17ROCPRIM_304000_NS6detail25onesweep_iteration_kernelINS1_34wrapped_radix_sort_onesweep_configINS0_14default_configEsN2at4cuda3cub6detail10OpaqueTypeILi8EEEEELb0EPKsPsPKSA_PSA_mNS0_19identity_decomposerEEEvT1_T2_T3_T4_jPT5_SO_PNS1_23onesweep_lookback_stateET6_jjj.kd
    .uniform_work_group_size: 1
    .uses_dynamic_stack: false
    .vgpr_count:     44
    .vgpr_spill_count: 0
    .wavefront_size: 64
  - .agpr_count:     0
    .args:
      - .address_space:  global
        .offset:         0
        .size:           8
        .value_kind:     global_buffer
      - .address_space:  global
        .offset:         8
        .size:           8
        .value_kind:     global_buffer
      - .address_space:  global
        .offset:         16
        .size:           8
        .value_kind:     global_buffer
      - .address_space:  global
        .offset:         24
        .size:           8
        .value_kind:     global_buffer
      - .offset:         32
        .size:           4
        .value_kind:     by_value
      - .address_space:  global
        .offset:         40
        .size:           8
        .value_kind:     global_buffer
      - .address_space:  global
        .offset:         48
        .size:           8
        .value_kind:     global_buffer
      - .address_space:  global
        .offset:         56
        .size:           8
        .value_kind:     global_buffer
      - .offset:         64
        .size:           1
        .value_kind:     by_value
      - .offset:         68
        .size:           4
        .value_kind:     by_value
      - .offset:         72
        .size:           4
        .value_kind:     by_value
      - .offset:         76
        .size:           4
        .value_kind:     by_value
      - .offset:         80
        .size:           4
        .value_kind:     hidden_block_count_x
      - .offset:         84
        .size:           4
        .value_kind:     hidden_block_count_y
      - .offset:         88
        .size:           4
        .value_kind:     hidden_block_count_z
      - .offset:         92
        .size:           2
        .value_kind:     hidden_group_size_x
      - .offset:         94
        .size:           2
        .value_kind:     hidden_group_size_y
      - .offset:         96
        .size:           2
        .value_kind:     hidden_group_size_z
      - .offset:         98
        .size:           2
        .value_kind:     hidden_remainder_x
      - .offset:         100
        .size:           2
        .value_kind:     hidden_remainder_y
      - .offset:         102
        .size:           2
        .value_kind:     hidden_remainder_z
      - .offset:         120
        .size:           8
        .value_kind:     hidden_global_offset_x
      - .offset:         128
        .size:           8
        .value_kind:     hidden_global_offset_y
      - .offset:         136
        .size:           8
        .value_kind:     hidden_global_offset_z
      - .offset:         144
        .size:           2
        .value_kind:     hidden_grid_dims
    .group_segment_fixed_size: 51200
    .kernarg_segment_align: 8
    .kernarg_segment_size: 336
    .language:       OpenCL C
    .language_version:
      - 2
      - 0
    .max_flat_workgroup_size: 1024
    .name:           _ZN7rocprim17ROCPRIM_304000_NS6detail25onesweep_iteration_kernelINS1_34wrapped_radix_sort_onesweep_configINS0_14default_configEsN2at4cuda3cub6detail10OpaqueTypeILi8EEEEELb0EPsSC_PSA_SD_mNS0_19identity_decomposerEEEvT1_T2_T3_T4_jPT5_SK_PNS1_23onesweep_lookback_stateET6_jjj
    .private_segment_fixed_size: 0
    .sgpr_count:     56
    .sgpr_spill_count: 0
    .symbol:         _ZN7rocprim17ROCPRIM_304000_NS6detail25onesweep_iteration_kernelINS1_34wrapped_radix_sort_onesweep_configINS0_14default_configEsN2at4cuda3cub6detail10OpaqueTypeILi8EEEEELb0EPsSC_PSA_SD_mNS0_19identity_decomposerEEEvT1_T2_T3_T4_jPT5_SK_PNS1_23onesweep_lookback_stateET6_jjj.kd
    .uniform_work_group_size: 1
    .uses_dynamic_stack: false
    .vgpr_count:     44
    .vgpr_spill_count: 0
    .wavefront_size: 64
  - .agpr_count:     0
    .args:
      - .address_space:  global
        .offset:         0
        .size:           8
        .value_kind:     global_buffer
      - .address_space:  global
        .offset:         8
        .size:           8
        .value_kind:     global_buffer
      - .address_space:  global
        .offset:         16
        .size:           8
        .value_kind:     global_buffer
      - .address_space:  global
        .offset:         24
        .size:           8
        .value_kind:     global_buffer
      - .offset:         32
        .size:           4
        .value_kind:     by_value
      - .offset:         36
        .size:           1
        .value_kind:     by_value
      - .offset:         40
        .size:           4
        .value_kind:     by_value
      - .offset:         44
        .size:           4
        .value_kind:     by_value
      - .offset:         48
        .size:           4
        .value_kind:     hidden_block_count_x
      - .offset:         52
        .size:           4
        .value_kind:     hidden_block_count_y
      - .offset:         56
        .size:           4
        .value_kind:     hidden_block_count_z
      - .offset:         60
        .size:           2
        .value_kind:     hidden_group_size_x
      - .offset:         62
        .size:           2
        .value_kind:     hidden_group_size_y
      - .offset:         64
        .size:           2
        .value_kind:     hidden_group_size_z
      - .offset:         66
        .size:           2
        .value_kind:     hidden_remainder_x
      - .offset:         68
        .size:           2
        .value_kind:     hidden_remainder_y
      - .offset:         70
        .size:           2
        .value_kind:     hidden_remainder_z
      - .offset:         88
        .size:           8
        .value_kind:     hidden_global_offset_x
      - .offset:         96
        .size:           8
        .value_kind:     hidden_global_offset_y
      - .offset:         104
        .size:           8
        .value_kind:     hidden_global_offset_z
      - .offset:         112
        .size:           2
        .value_kind:     hidden_grid_dims
    .group_segment_fixed_size: 8192
    .kernarg_segment_align: 8
    .kernarg_segment_size: 304
    .language:       OpenCL C
    .language_version:
      - 2
      - 0
    .max_flat_workgroup_size: 256
    .name:           _ZN7rocprim17ROCPRIM_304000_NS6detail28radix_sort_block_sort_kernelINS1_36wrapped_radix_sort_block_sort_configINS0_13kernel_configILj256ELj4ELj4294967295EEEiN2at4cuda3cub6detail10OpaqueTypeILi8EEEEELb1EPKiPiPKSB_PSB_NS0_19identity_decomposerEEEvT1_T2_T3_T4_jT5_jj
    .private_segment_fixed_size: 0
    .sgpr_count:     50
    .sgpr_spill_count: 0
    .symbol:         _ZN7rocprim17ROCPRIM_304000_NS6detail28radix_sort_block_sort_kernelINS1_36wrapped_radix_sort_block_sort_configINS0_13kernel_configILj256ELj4ELj4294967295EEEiN2at4cuda3cub6detail10OpaqueTypeILi8EEEEELb1EPKiPiPKSB_PSB_NS0_19identity_decomposerEEEvT1_T2_T3_T4_jT5_jj.kd
    .uniform_work_group_size: 1
    .uses_dynamic_stack: false
    .vgpr_count:     53
    .vgpr_spill_count: 0
    .wavefront_size: 64
  - .agpr_count:     0
    .args:           []
    .group_segment_fixed_size: 0
    .kernarg_segment_align: 4
    .kernarg_segment_size: 0
    .language:       OpenCL C
    .language_version:
      - 2
      - 0
    .max_flat_workgroup_size: 1024
    .name:           _ZN7rocprim17ROCPRIM_304000_NS6detail39device_merge_sort_compile_time_verifierINS1_36wrapped_merge_sort_block_sort_configINS1_28merge_sort_block_sort_configILj256ELj4ELNS0_20block_sort_algorithmE0EEEiN2at4cuda3cub6detail10OpaqueTypeILi8EEEEENS1_37wrapped_merge_sort_block_merge_configINS0_14default_configEiSC_EEEEvv
    .private_segment_fixed_size: 0
    .sgpr_count:     4
    .sgpr_spill_count: 0
    .symbol:         _ZN7rocprim17ROCPRIM_304000_NS6detail39device_merge_sort_compile_time_verifierINS1_36wrapped_merge_sort_block_sort_configINS1_28merge_sort_block_sort_configILj256ELj4ELNS0_20block_sort_algorithmE0EEEiN2at4cuda3cub6detail10OpaqueTypeILi8EEEEENS1_37wrapped_merge_sort_block_merge_configINS0_14default_configEiSC_EEEEvv.kd
    .uniform_work_group_size: 1
    .uses_dynamic_stack: false
    .vgpr_count:     0
    .vgpr_spill_count: 0
    .wavefront_size: 64
  - .agpr_count:     0
    .args:
      - .address_space:  global
        .offset:         0
        .size:           8
        .value_kind:     global_buffer
      - .offset:         8
        .size:           4
        .value_kind:     by_value
      - .offset:         12
        .size:           4
        .value_kind:     by_value
      - .address_space:  global
        .offset:         16
        .size:           8
        .value_kind:     global_buffer
      - .offset:         24
        .size:           1
        .value_kind:     by_value
      - .offset:         28
        .size:           4
        .value_kind:     by_value
    .group_segment_fixed_size: 0
    .kernarg_segment_align: 8
    .kernarg_segment_size: 32
    .language:       OpenCL C
    .language_version:
      - 2
      - 0
    .max_flat_workgroup_size: 128
    .name:           _ZN7rocprim17ROCPRIM_304000_NS6detail45device_block_merge_mergepath_partition_kernelINS1_37wrapped_merge_sort_block_merge_configINS0_14default_configEiN2at4cuda3cub6detail10OpaqueTypeILi8EEEEEPijNS1_19radix_merge_compareILb1ELb0EiNS0_19identity_decomposerEEEEEvT0_T1_jPSH_T2_SH_
    .private_segment_fixed_size: 0
    .sgpr_count:     11
    .sgpr_spill_count: 0
    .symbol:         _ZN7rocprim17ROCPRIM_304000_NS6detail45device_block_merge_mergepath_partition_kernelINS1_37wrapped_merge_sort_block_merge_configINS0_14default_configEiN2at4cuda3cub6detail10OpaqueTypeILi8EEEEEPijNS1_19radix_merge_compareILb1ELb0EiNS0_19identity_decomposerEEEEEvT0_T1_jPSH_T2_SH_.kd
    .uniform_work_group_size: 1
    .uses_dynamic_stack: false
    .vgpr_count:     17
    .vgpr_spill_count: 0
    .wavefront_size: 64
  - .agpr_count:     0
    .args:
      - .address_space:  global
        .offset:         0
        .size:           8
        .value_kind:     global_buffer
      - .address_space:  global
        .offset:         8
        .size:           8
        .value_kind:     global_buffer
      - .address_space:  global
        .offset:         16
        .size:           8
        .value_kind:     global_buffer
      - .address_space:  global
        .offset:         24
        .size:           8
        .value_kind:     global_buffer
      - .offset:         32
        .size:           4
        .value_kind:     by_value
      - .offset:         36
        .size:           4
        .value_kind:     by_value
      - .offset:         40
        .size:           4
        .value_kind:     by_value
      - .offset:         44
        .size:           1
        .value_kind:     by_value
      - .address_space:  global
        .offset:         48
        .size:           8
        .value_kind:     global_buffer
      - .address_space:  global
        .offset:         56
        .size:           8
        .value_kind:     global_buffer
      - .offset:         64
        .size:           4
        .value_kind:     hidden_block_count_x
      - .offset:         68
        .size:           4
        .value_kind:     hidden_block_count_y
      - .offset:         72
        .size:           4
        .value_kind:     hidden_block_count_z
      - .offset:         76
        .size:           2
        .value_kind:     hidden_group_size_x
      - .offset:         78
        .size:           2
        .value_kind:     hidden_group_size_y
      - .offset:         80
        .size:           2
        .value_kind:     hidden_group_size_z
      - .offset:         82
        .size:           2
        .value_kind:     hidden_remainder_x
      - .offset:         84
        .size:           2
        .value_kind:     hidden_remainder_y
      - .offset:         86
        .size:           2
        .value_kind:     hidden_remainder_z
      - .offset:         104
        .size:           8
        .value_kind:     hidden_global_offset_x
      - .offset:         112
        .size:           8
        .value_kind:     hidden_global_offset_y
      - .offset:         120
        .size:           8
        .value_kind:     hidden_global_offset_z
      - .offset:         128
        .size:           2
        .value_kind:     hidden_grid_dims
    .group_segment_fixed_size: 8208
    .kernarg_segment_align: 8
    .kernarg_segment_size: 320
    .language:       OpenCL C
    .language_version:
      - 2
      - 0
    .max_flat_workgroup_size: 256
    .name:           _ZN7rocprim17ROCPRIM_304000_NS6detail35device_block_merge_mergepath_kernelINS1_37wrapped_merge_sort_block_merge_configINS0_14default_configEiN2at4cuda3cub6detail10OpaqueTypeILi8EEEEEPiSC_PSA_SD_jNS1_19radix_merge_compareILb1ELb0EiNS0_19identity_decomposerEEEEEvT0_T1_T2_T3_T4_SL_jT5_PKSL_NS1_7vsmem_tE
    .private_segment_fixed_size: 0
    .sgpr_count:     35
    .sgpr_spill_count: 0
    .symbol:         _ZN7rocprim17ROCPRIM_304000_NS6detail35device_block_merge_mergepath_kernelINS1_37wrapped_merge_sort_block_merge_configINS0_14default_configEiN2at4cuda3cub6detail10OpaqueTypeILi8EEEEEPiSC_PSA_SD_jNS1_19radix_merge_compareILb1ELb0EiNS0_19identity_decomposerEEEEEvT0_T1_T2_T3_T4_SL_jT5_PKSL_NS1_7vsmem_tE.kd
    .uniform_work_group_size: 1
    .uses_dynamic_stack: false
    .vgpr_count:     24
    .vgpr_spill_count: 0
    .wavefront_size: 64
  - .agpr_count:     0
    .args:
      - .address_space:  global
        .offset:         0
        .size:           8
        .value_kind:     global_buffer
      - .address_space:  global
        .offset:         8
        .size:           8
        .value_kind:     global_buffer
      - .address_space:  global
        .offset:         16
        .size:           8
        .value_kind:     global_buffer
      - .address_space:  global
        .offset:         24
        .size:           8
        .value_kind:     global_buffer
      - .offset:         32
        .size:           4
        .value_kind:     by_value
      - .offset:         36
        .size:           4
        .value_kind:     by_value
      - .offset:         40
        .size:           1
        .value_kind:     by_value
    .group_segment_fixed_size: 0
    .kernarg_segment_align: 8
    .kernarg_segment_size: 44
    .language:       OpenCL C
    .language_version:
      - 2
      - 0
    .max_flat_workgroup_size: 256
    .name:           _ZN7rocprim17ROCPRIM_304000_NS6detail33device_block_merge_oddeven_kernelINS1_37wrapped_merge_sort_block_merge_configINS0_14default_configEiN2at4cuda3cub6detail10OpaqueTypeILi8EEEEEPiSC_PSA_SD_jNS1_19radix_merge_compareILb1ELb0EiNS0_19identity_decomposerEEEEEvT0_T1_T2_T3_T4_SL_T5_
    .private_segment_fixed_size: 0
    .sgpr_count:     27
    .sgpr_spill_count: 0
    .symbol:         _ZN7rocprim17ROCPRIM_304000_NS6detail33device_block_merge_oddeven_kernelINS1_37wrapped_merge_sort_block_merge_configINS0_14default_configEiN2at4cuda3cub6detail10OpaqueTypeILi8EEEEEPiSC_PSA_SD_jNS1_19radix_merge_compareILb1ELb0EiNS0_19identity_decomposerEEEEEvT0_T1_T2_T3_T4_SL_T5_.kd
    .uniform_work_group_size: 1
    .uses_dynamic_stack: false
    .vgpr_count:     12
    .vgpr_spill_count: 0
    .wavefront_size: 64
  - .agpr_count:     0
    .args:
      - .address_space:  global
        .offset:         0
        .size:           8
        .value_kind:     global_buffer
      - .offset:         8
        .size:           8
        .value_kind:     by_value
      - .address_space:  global
        .offset:         16
        .size:           8
        .value_kind:     global_buffer
      - .offset:         24
        .size:           1
        .value_kind:     by_value
      - .offset:         32
        .size:           4
        .value_kind:     hidden_block_count_x
      - .offset:         36
        .size:           4
        .value_kind:     hidden_block_count_y
      - .offset:         40
        .size:           4
        .value_kind:     hidden_block_count_z
      - .offset:         44
        .size:           2
        .value_kind:     hidden_group_size_x
      - .offset:         46
        .size:           2
        .value_kind:     hidden_group_size_y
      - .offset:         48
        .size:           2
        .value_kind:     hidden_group_size_z
      - .offset:         50
        .size:           2
        .value_kind:     hidden_remainder_x
      - .offset:         52
        .size:           2
        .value_kind:     hidden_remainder_y
      - .offset:         54
        .size:           2
        .value_kind:     hidden_remainder_z
      - .offset:         72
        .size:           8
        .value_kind:     hidden_global_offset_x
      - .offset:         80
        .size:           8
        .value_kind:     hidden_global_offset_y
      - .offset:         88
        .size:           8
        .value_kind:     hidden_global_offset_z
      - .offset:         96
        .size:           2
        .value_kind:     hidden_grid_dims
    .group_segment_fixed_size: 0
    .kernarg_segment_align: 8
    .kernarg_segment_size: 288
    .language:       OpenCL C
    .language_version:
      - 2
      - 0
    .max_flat_workgroup_size: 1024
    .name:           _ZN7rocprim17ROCPRIM_304000_NS6detail16transform_kernelINS1_24wrapped_transform_configINS0_14default_configEiEEiPiS6_NS0_8identityIiEEEEvT1_mT2_T3_
    .private_segment_fixed_size: 0
    .sgpr_count:     16
    .sgpr_spill_count: 0
    .symbol:         _ZN7rocprim17ROCPRIM_304000_NS6detail16transform_kernelINS1_24wrapped_transform_configINS0_14default_configEiEEiPiS6_NS0_8identityIiEEEEvT1_mT2_T3_.kd
    .uniform_work_group_size: 1
    .uses_dynamic_stack: false
    .vgpr_count:     7
    .vgpr_spill_count: 0
    .wavefront_size: 64
  - .agpr_count:     0
    .args:
      - .address_space:  global
        .offset:         0
        .size:           8
        .value_kind:     global_buffer
      - .offset:         8
        .size:           4
        .value_kind:     by_value
      - .offset:         12
        .size:           4
        .value_kind:     by_value
      - .address_space:  global
        .offset:         16
        .size:           8
        .value_kind:     global_buffer
      - .offset:         24
        .size:           4
        .value_kind:     by_value
      - .offset:         28
        .size:           4
        .value_kind:     by_value
    .group_segment_fixed_size: 0
    .kernarg_segment_align: 8
    .kernarg_segment_size: 32
    .language:       OpenCL C
    .language_version:
      - 2
      - 0
    .max_flat_workgroup_size: 128
    .name:           _ZN7rocprim17ROCPRIM_304000_NS6detail45device_block_merge_mergepath_partition_kernelINS1_37wrapped_merge_sort_block_merge_configINS0_14default_configEiN2at4cuda3cub6detail10OpaqueTypeILi8EEEEEPijNS1_19radix_merge_compareILb1ELb1EiNS0_19identity_decomposerEEEEEvT0_T1_jPSH_T2_SH_
    .private_segment_fixed_size: 0
    .sgpr_count:     12
    .sgpr_spill_count: 0
    .symbol:         _ZN7rocprim17ROCPRIM_304000_NS6detail45device_block_merge_mergepath_partition_kernelINS1_37wrapped_merge_sort_block_merge_configINS0_14default_configEiN2at4cuda3cub6detail10OpaqueTypeILi8EEEEEPijNS1_19radix_merge_compareILb1ELb1EiNS0_19identity_decomposerEEEEEvT0_T1_jPSH_T2_SH_.kd
    .uniform_work_group_size: 1
    .uses_dynamic_stack: false
    .vgpr_count:     17
    .vgpr_spill_count: 0
    .wavefront_size: 64
  - .agpr_count:     0
    .args:
      - .address_space:  global
        .offset:         0
        .size:           8
        .value_kind:     global_buffer
      - .address_space:  global
        .offset:         8
        .size:           8
        .value_kind:     global_buffer
      - .address_space:  global
        .offset:         16
        .size:           8
        .value_kind:     global_buffer
      - .address_space:  global
        .offset:         24
        .size:           8
        .value_kind:     global_buffer
      - .offset:         32
        .size:           4
        .value_kind:     by_value
      - .offset:         36
        .size:           4
        .value_kind:     by_value
      - .offset:         40
        .size:           4
        .value_kind:     by_value
      - .offset:         44
        .size:           4
        .value_kind:     by_value
      - .address_space:  global
        .offset:         48
        .size:           8
        .value_kind:     global_buffer
      - .address_space:  global
        .offset:         56
        .size:           8
        .value_kind:     global_buffer
      - .offset:         64
        .size:           4
        .value_kind:     hidden_block_count_x
      - .offset:         68
        .size:           4
        .value_kind:     hidden_block_count_y
      - .offset:         72
        .size:           4
        .value_kind:     hidden_block_count_z
      - .offset:         76
        .size:           2
        .value_kind:     hidden_group_size_x
      - .offset:         78
        .size:           2
        .value_kind:     hidden_group_size_y
      - .offset:         80
        .size:           2
        .value_kind:     hidden_group_size_z
      - .offset:         82
        .size:           2
        .value_kind:     hidden_remainder_x
      - .offset:         84
        .size:           2
        .value_kind:     hidden_remainder_y
      - .offset:         86
        .size:           2
        .value_kind:     hidden_remainder_z
      - .offset:         104
        .size:           8
        .value_kind:     hidden_global_offset_x
      - .offset:         112
        .size:           8
        .value_kind:     hidden_global_offset_y
      - .offset:         120
        .size:           8
        .value_kind:     hidden_global_offset_z
      - .offset:         128
        .size:           2
        .value_kind:     hidden_grid_dims
    .group_segment_fixed_size: 8208
    .kernarg_segment_align: 8
    .kernarg_segment_size: 320
    .language:       OpenCL C
    .language_version:
      - 2
      - 0
    .max_flat_workgroup_size: 256
    .name:           _ZN7rocprim17ROCPRIM_304000_NS6detail35device_block_merge_mergepath_kernelINS1_37wrapped_merge_sort_block_merge_configINS0_14default_configEiN2at4cuda3cub6detail10OpaqueTypeILi8EEEEEPiSC_PSA_SD_jNS1_19radix_merge_compareILb1ELb1EiNS0_19identity_decomposerEEEEEvT0_T1_T2_T3_T4_SL_jT5_PKSL_NS1_7vsmem_tE
    .private_segment_fixed_size: 0
    .sgpr_count:     35
    .sgpr_spill_count: 0
    .symbol:         _ZN7rocprim17ROCPRIM_304000_NS6detail35device_block_merge_mergepath_kernelINS1_37wrapped_merge_sort_block_merge_configINS0_14default_configEiN2at4cuda3cub6detail10OpaqueTypeILi8EEEEEPiSC_PSA_SD_jNS1_19radix_merge_compareILb1ELb1EiNS0_19identity_decomposerEEEEEvT0_T1_T2_T3_T4_SL_jT5_PKSL_NS1_7vsmem_tE.kd
    .uniform_work_group_size: 1
    .uses_dynamic_stack: false
    .vgpr_count:     24
    .vgpr_spill_count: 0
    .wavefront_size: 64
  - .agpr_count:     0
    .args:
      - .address_space:  global
        .offset:         0
        .size:           8
        .value_kind:     global_buffer
      - .address_space:  global
        .offset:         8
        .size:           8
        .value_kind:     global_buffer
      - .address_space:  global
        .offset:         16
        .size:           8
        .value_kind:     global_buffer
      - .address_space:  global
        .offset:         24
        .size:           8
        .value_kind:     global_buffer
      - .offset:         32
        .size:           4
        .value_kind:     by_value
      - .offset:         36
        .size:           4
        .value_kind:     by_value
      - .offset:         40
        .size:           4
        .value_kind:     by_value
    .group_segment_fixed_size: 0
    .kernarg_segment_align: 8
    .kernarg_segment_size: 44
    .language:       OpenCL C
    .language_version:
      - 2
      - 0
    .max_flat_workgroup_size: 256
    .name:           _ZN7rocprim17ROCPRIM_304000_NS6detail33device_block_merge_oddeven_kernelINS1_37wrapped_merge_sort_block_merge_configINS0_14default_configEiN2at4cuda3cub6detail10OpaqueTypeILi8EEEEEPiSC_PSA_SD_jNS1_19radix_merge_compareILb1ELb1EiNS0_19identity_decomposerEEEEEvT0_T1_T2_T3_T4_SL_T5_
    .private_segment_fixed_size: 0
    .sgpr_count:     28
    .sgpr_spill_count: 0
    .symbol:         _ZN7rocprim17ROCPRIM_304000_NS6detail33device_block_merge_oddeven_kernelINS1_37wrapped_merge_sort_block_merge_configINS0_14default_configEiN2at4cuda3cub6detail10OpaqueTypeILi8EEEEEPiSC_PSA_SD_jNS1_19radix_merge_compareILb1ELb1EiNS0_19identity_decomposerEEEEEvT0_T1_T2_T3_T4_SL_T5_.kd
    .uniform_work_group_size: 1
    .uses_dynamic_stack: false
    .vgpr_count:     13
    .vgpr_spill_count: 0
    .wavefront_size: 64
  - .agpr_count:     0
    .args:
      - .address_space:  global
        .offset:         0
        .size:           8
        .value_kind:     global_buffer
      - .address_space:  global
        .offset:         8
        .size:           8
        .value_kind:     global_buffer
      - .offset:         16
        .size:           8
        .value_kind:     by_value
      - .offset:         24
        .size:           8
        .value_kind:     by_value
      - .offset:         32
        .size:           1
        .value_kind:     by_value
      - .offset:         36
        .size:           4
        .value_kind:     by_value
      - .offset:         40
        .size:           4
        .value_kind:     by_value
    .group_segment_fixed_size: 16384
    .kernarg_segment_align: 8
    .kernarg_segment_size: 44
    .language:       OpenCL C
    .language_version:
      - 2
      - 0
    .max_flat_workgroup_size: 512
    .name:           _ZN7rocprim17ROCPRIM_304000_NS6detail26onesweep_histograms_kernelINS1_34wrapped_radix_sort_onesweep_configINS0_14default_configEiN2at4cuda3cub6detail10OpaqueTypeILi8EEEEELb1EPKimNS0_19identity_decomposerEEEvT1_PT2_SG_SG_T3_jj
    .private_segment_fixed_size: 0
    .sgpr_count:     30
    .sgpr_spill_count: 0
    .symbol:         _ZN7rocprim17ROCPRIM_304000_NS6detail26onesweep_histograms_kernelINS1_34wrapped_radix_sort_onesweep_configINS0_14default_configEiN2at4cuda3cub6detail10OpaqueTypeILi8EEEEELb1EPKimNS0_19identity_decomposerEEEvT1_PT2_SG_SG_T3_jj.kd
    .uniform_work_group_size: 1
    .uses_dynamic_stack: false
    .vgpr_count:     18
    .vgpr_spill_count: 0
    .wavefront_size: 64
  - .agpr_count:     0
    .args:
      - .address_space:  global
        .offset:         0
        .size:           8
        .value_kind:     global_buffer
    .group_segment_fixed_size: 64
    .kernarg_segment_align: 8
    .kernarg_segment_size: 8
    .language:       OpenCL C
    .language_version:
      - 2
      - 0
    .max_flat_workgroup_size: 512
    .name:           _ZN7rocprim17ROCPRIM_304000_NS6detail31onesweep_scan_histograms_kernelINS1_34wrapped_radix_sort_onesweep_configINS0_14default_configEiN2at4cuda3cub6detail10OpaqueTypeILi8EEEEEmEEvPT0_
    .private_segment_fixed_size: 0
    .sgpr_count:     14
    .sgpr_spill_count: 0
    .symbol:         _ZN7rocprim17ROCPRIM_304000_NS6detail31onesweep_scan_histograms_kernelINS1_34wrapped_radix_sort_onesweep_configINS0_14default_configEiN2at4cuda3cub6detail10OpaqueTypeILi8EEEEEmEEvPT0_.kd
    .uniform_work_group_size: 1
    .uses_dynamic_stack: false
    .vgpr_count:     14
    .vgpr_spill_count: 0
    .wavefront_size: 64
  - .agpr_count:     0
    .args:
      - .address_space:  global
        .offset:         0
        .size:           8
        .value_kind:     global_buffer
      - .offset:         8
        .size:           8
        .value_kind:     by_value
      - .address_space:  global
        .offset:         16
        .size:           8
        .value_kind:     global_buffer
      - .offset:         24
        .size:           1
        .value_kind:     by_value
      - .offset:         32
        .size:           4
        .value_kind:     hidden_block_count_x
      - .offset:         36
        .size:           4
        .value_kind:     hidden_block_count_y
      - .offset:         40
        .size:           4
        .value_kind:     hidden_block_count_z
      - .offset:         44
        .size:           2
        .value_kind:     hidden_group_size_x
      - .offset:         46
        .size:           2
        .value_kind:     hidden_group_size_y
      - .offset:         48
        .size:           2
        .value_kind:     hidden_group_size_z
      - .offset:         50
        .size:           2
        .value_kind:     hidden_remainder_x
      - .offset:         52
        .size:           2
        .value_kind:     hidden_remainder_y
      - .offset:         54
        .size:           2
        .value_kind:     hidden_remainder_z
      - .offset:         72
        .size:           8
        .value_kind:     hidden_global_offset_x
      - .offset:         80
        .size:           8
        .value_kind:     hidden_global_offset_y
      - .offset:         88
        .size:           8
        .value_kind:     hidden_global_offset_z
      - .offset:         96
        .size:           2
        .value_kind:     hidden_grid_dims
    .group_segment_fixed_size: 0
    .kernarg_segment_align: 8
    .kernarg_segment_size: 288
    .language:       OpenCL C
    .language_version:
      - 2
      - 0
    .max_flat_workgroup_size: 1024
    .name:           _ZN7rocprim17ROCPRIM_304000_NS6detail16transform_kernelINS1_24wrapped_transform_configINS0_14default_configEiEEiPKiPiNS0_8identityIiEEEEvT1_mT2_T3_
    .private_segment_fixed_size: 0
    .sgpr_count:     16
    .sgpr_spill_count: 0
    .symbol:         _ZN7rocprim17ROCPRIM_304000_NS6detail16transform_kernelINS1_24wrapped_transform_configINS0_14default_configEiEEiPKiPiNS0_8identityIiEEEEvT1_mT2_T3_.kd
    .uniform_work_group_size: 1
    .uses_dynamic_stack: false
    .vgpr_count:     7
    .vgpr_spill_count: 0
    .wavefront_size: 64
  - .agpr_count:     0
    .args:
      - .address_space:  global
        .offset:         0
        .size:           8
        .value_kind:     global_buffer
      - .address_space:  global
        .offset:         8
        .size:           8
        .value_kind:     global_buffer
      - .address_space:  global
        .offset:         16
        .size:           8
        .value_kind:     global_buffer
      - .address_space:  global
        .offset:         24
        .size:           8
        .value_kind:     global_buffer
      - .offset:         32
        .size:           4
        .value_kind:     by_value
      - .address_space:  global
        .offset:         40
        .size:           8
        .value_kind:     global_buffer
      - .address_space:  global
        .offset:         48
        .size:           8
        .value_kind:     global_buffer
      - .address_space:  global
        .offset:         56
        .size:           8
        .value_kind:     global_buffer
      - .offset:         64
        .size:           1
        .value_kind:     by_value
      - .offset:         68
        .size:           4
        .value_kind:     by_value
      - .offset:         72
        .size:           4
        .value_kind:     by_value
      - .offset:         76
        .size:           4
        .value_kind:     by_value
      - .offset:         80
        .size:           4
        .value_kind:     hidden_block_count_x
      - .offset:         84
        .size:           4
        .value_kind:     hidden_block_count_y
      - .offset:         88
        .size:           4
        .value_kind:     hidden_block_count_z
      - .offset:         92
        .size:           2
        .value_kind:     hidden_group_size_x
      - .offset:         94
        .size:           2
        .value_kind:     hidden_group_size_y
      - .offset:         96
        .size:           2
        .value_kind:     hidden_group_size_z
      - .offset:         98
        .size:           2
        .value_kind:     hidden_remainder_x
      - .offset:         100
        .size:           2
        .value_kind:     hidden_remainder_y
      - .offset:         102
        .size:           2
        .value_kind:     hidden_remainder_z
      - .offset:         120
        .size:           8
        .value_kind:     hidden_global_offset_x
      - .offset:         128
        .size:           8
        .value_kind:     hidden_global_offset_y
      - .offset:         136
        .size:           8
        .value_kind:     hidden_global_offset_z
      - .offset:         144
        .size:           2
        .value_kind:     hidden_grid_dims
    .group_segment_fixed_size: 26624
    .kernarg_segment_align: 8
    .kernarg_segment_size: 336
    .language:       OpenCL C
    .language_version:
      - 2
      - 0
    .max_flat_workgroup_size: 512
    .name:           _ZN7rocprim17ROCPRIM_304000_NS6detail25onesweep_iteration_kernelINS1_34wrapped_radix_sort_onesweep_configINS0_14default_configEiN2at4cuda3cub6detail10OpaqueTypeILi8EEEEELb1EPKiPiPKSA_PSA_mNS0_19identity_decomposerEEEvT1_T2_T3_T4_jPT5_SO_PNS1_23onesweep_lookback_stateET6_jjj
    .private_segment_fixed_size: 0
    .sgpr_count:     56
    .sgpr_spill_count: 0
    .symbol:         _ZN7rocprim17ROCPRIM_304000_NS6detail25onesweep_iteration_kernelINS1_34wrapped_radix_sort_onesweep_configINS0_14default_configEiN2at4cuda3cub6detail10OpaqueTypeILi8EEEEELb1EPKiPiPKSA_PSA_mNS0_19identity_decomposerEEEvT1_T2_T3_T4_jPT5_SO_PNS1_23onesweep_lookback_stateET6_jjj.kd
    .uniform_work_group_size: 1
    .uses_dynamic_stack: false
    .vgpr_count:     50
    .vgpr_spill_count: 0
    .wavefront_size: 64
  - .agpr_count:     0
    .args:
      - .address_space:  global
        .offset:         0
        .size:           8
        .value_kind:     global_buffer
      - .address_space:  global
        .offset:         8
        .size:           8
        .value_kind:     global_buffer
      - .address_space:  global
        .offset:         16
        .size:           8
        .value_kind:     global_buffer
      - .address_space:  global
        .offset:         24
        .size:           8
        .value_kind:     global_buffer
      - .offset:         32
        .size:           4
        .value_kind:     by_value
      - .address_space:  global
        .offset:         40
        .size:           8
        .value_kind:     global_buffer
      - .address_space:  global
        .offset:         48
        .size:           8
        .value_kind:     global_buffer
      - .address_space:  global
        .offset:         56
        .size:           8
        .value_kind:     global_buffer
      - .offset:         64
        .size:           1
        .value_kind:     by_value
      - .offset:         68
        .size:           4
        .value_kind:     by_value
      - .offset:         72
        .size:           4
        .value_kind:     by_value
      - .offset:         76
        .size:           4
        .value_kind:     by_value
      - .offset:         80
        .size:           4
        .value_kind:     hidden_block_count_x
      - .offset:         84
        .size:           4
        .value_kind:     hidden_block_count_y
      - .offset:         88
        .size:           4
        .value_kind:     hidden_block_count_z
      - .offset:         92
        .size:           2
        .value_kind:     hidden_group_size_x
      - .offset:         94
        .size:           2
        .value_kind:     hidden_group_size_y
      - .offset:         96
        .size:           2
        .value_kind:     hidden_group_size_z
      - .offset:         98
        .size:           2
        .value_kind:     hidden_remainder_x
      - .offset:         100
        .size:           2
        .value_kind:     hidden_remainder_y
      - .offset:         102
        .size:           2
        .value_kind:     hidden_remainder_z
      - .offset:         120
        .size:           8
        .value_kind:     hidden_global_offset_x
      - .offset:         128
        .size:           8
        .value_kind:     hidden_global_offset_y
      - .offset:         136
        .size:           8
        .value_kind:     hidden_global_offset_z
      - .offset:         144
        .size:           2
        .value_kind:     hidden_grid_dims
    .group_segment_fixed_size: 26624
    .kernarg_segment_align: 8
    .kernarg_segment_size: 336
    .language:       OpenCL C
    .language_version:
      - 2
      - 0
    .max_flat_workgroup_size: 512
    .name:           _ZN7rocprim17ROCPRIM_304000_NS6detail25onesweep_iteration_kernelINS1_34wrapped_radix_sort_onesweep_configINS0_14default_configEiN2at4cuda3cub6detail10OpaqueTypeILi8EEEEELb1EPiSC_PSA_SD_mNS0_19identity_decomposerEEEvT1_T2_T3_T4_jPT5_SK_PNS1_23onesweep_lookback_stateET6_jjj
    .private_segment_fixed_size: 0
    .sgpr_count:     56
    .sgpr_spill_count: 0
    .symbol:         _ZN7rocprim17ROCPRIM_304000_NS6detail25onesweep_iteration_kernelINS1_34wrapped_radix_sort_onesweep_configINS0_14default_configEiN2at4cuda3cub6detail10OpaqueTypeILi8EEEEELb1EPiSC_PSA_SD_mNS0_19identity_decomposerEEEvT1_T2_T3_T4_jPT5_SK_PNS1_23onesweep_lookback_stateET6_jjj.kd
    .uniform_work_group_size: 1
    .uses_dynamic_stack: false
    .vgpr_count:     50
    .vgpr_spill_count: 0
    .wavefront_size: 64
  - .agpr_count:     0
    .args:
      - .address_space:  global
        .offset:         0
        .size:           8
        .value_kind:     global_buffer
      - .address_space:  global
        .offset:         8
        .size:           8
        .value_kind:     global_buffer
      - .address_space:  global
        .offset:         16
        .size:           8
        .value_kind:     global_buffer
      - .address_space:  global
        .offset:         24
        .size:           8
        .value_kind:     global_buffer
      - .offset:         32
        .size:           4
        .value_kind:     by_value
      - .offset:         36
        .size:           1
        .value_kind:     by_value
      - .offset:         40
        .size:           4
        .value_kind:     by_value
      - .offset:         44
        .size:           4
        .value_kind:     by_value
      - .offset:         48
        .size:           4
        .value_kind:     hidden_block_count_x
      - .offset:         52
        .size:           4
        .value_kind:     hidden_block_count_y
      - .offset:         56
        .size:           4
        .value_kind:     hidden_block_count_z
      - .offset:         60
        .size:           2
        .value_kind:     hidden_group_size_x
      - .offset:         62
        .size:           2
        .value_kind:     hidden_group_size_y
      - .offset:         64
        .size:           2
        .value_kind:     hidden_group_size_z
      - .offset:         66
        .size:           2
        .value_kind:     hidden_remainder_x
      - .offset:         68
        .size:           2
        .value_kind:     hidden_remainder_y
      - .offset:         70
        .size:           2
        .value_kind:     hidden_remainder_z
      - .offset:         88
        .size:           8
        .value_kind:     hidden_global_offset_x
      - .offset:         96
        .size:           8
        .value_kind:     hidden_global_offset_y
      - .offset:         104
        .size:           8
        .value_kind:     hidden_global_offset_z
      - .offset:         112
        .size:           2
        .value_kind:     hidden_grid_dims
    .group_segment_fixed_size: 8192
    .kernarg_segment_align: 8
    .kernarg_segment_size: 304
    .language:       OpenCL C
    .language_version:
      - 2
      - 0
    .max_flat_workgroup_size: 256
    .name:           _ZN7rocprim17ROCPRIM_304000_NS6detail28radix_sort_block_sort_kernelINS1_36wrapped_radix_sort_block_sort_configINS0_13kernel_configILj256ELj4ELj4294967295EEEiN2at4cuda3cub6detail10OpaqueTypeILi8EEEEELb0EPKiPiPKSB_PSB_NS0_19identity_decomposerEEEvT1_T2_T3_T4_jT5_jj
    .private_segment_fixed_size: 0
    .sgpr_count:     50
    .sgpr_spill_count: 0
    .symbol:         _ZN7rocprim17ROCPRIM_304000_NS6detail28radix_sort_block_sort_kernelINS1_36wrapped_radix_sort_block_sort_configINS0_13kernel_configILj256ELj4ELj4294967295EEEiN2at4cuda3cub6detail10OpaqueTypeILi8EEEEELb0EPKiPiPKSB_PSB_NS0_19identity_decomposerEEEvT1_T2_T3_T4_jT5_jj.kd
    .uniform_work_group_size: 1
    .uses_dynamic_stack: false
    .vgpr_count:     53
    .vgpr_spill_count: 0
    .wavefront_size: 64
  - .agpr_count:     0
    .args:
      - .address_space:  global
        .offset:         0
        .size:           8
        .value_kind:     global_buffer
      - .offset:         8
        .size:           4
        .value_kind:     by_value
      - .offset:         12
        .size:           4
        .value_kind:     by_value
      - .address_space:  global
        .offset:         16
        .size:           8
        .value_kind:     global_buffer
      - .offset:         24
        .size:           1
        .value_kind:     by_value
      - .offset:         28
        .size:           4
        .value_kind:     by_value
    .group_segment_fixed_size: 0
    .kernarg_segment_align: 8
    .kernarg_segment_size: 32
    .language:       OpenCL C
    .language_version:
      - 2
      - 0
    .max_flat_workgroup_size: 128
    .name:           _ZN7rocprim17ROCPRIM_304000_NS6detail45device_block_merge_mergepath_partition_kernelINS1_37wrapped_merge_sort_block_merge_configINS0_14default_configEiN2at4cuda3cub6detail10OpaqueTypeILi8EEEEEPijNS1_19radix_merge_compareILb0ELb0EiNS0_19identity_decomposerEEEEEvT0_T1_jPSH_T2_SH_
    .private_segment_fixed_size: 0
    .sgpr_count:     11
    .sgpr_spill_count: 0
    .symbol:         _ZN7rocprim17ROCPRIM_304000_NS6detail45device_block_merge_mergepath_partition_kernelINS1_37wrapped_merge_sort_block_merge_configINS0_14default_configEiN2at4cuda3cub6detail10OpaqueTypeILi8EEEEEPijNS1_19radix_merge_compareILb0ELb0EiNS0_19identity_decomposerEEEEEvT0_T1_jPSH_T2_SH_.kd
    .uniform_work_group_size: 1
    .uses_dynamic_stack: false
    .vgpr_count:     17
    .vgpr_spill_count: 0
    .wavefront_size: 64
  - .agpr_count:     0
    .args:
      - .address_space:  global
        .offset:         0
        .size:           8
        .value_kind:     global_buffer
      - .address_space:  global
        .offset:         8
        .size:           8
        .value_kind:     global_buffer
      - .address_space:  global
        .offset:         16
        .size:           8
        .value_kind:     global_buffer
      - .address_space:  global
        .offset:         24
        .size:           8
        .value_kind:     global_buffer
      - .offset:         32
        .size:           4
        .value_kind:     by_value
      - .offset:         36
        .size:           4
        .value_kind:     by_value
      - .offset:         40
        .size:           4
        .value_kind:     by_value
      - .offset:         44
        .size:           1
        .value_kind:     by_value
      - .address_space:  global
        .offset:         48
        .size:           8
        .value_kind:     global_buffer
      - .address_space:  global
        .offset:         56
        .size:           8
        .value_kind:     global_buffer
      - .offset:         64
        .size:           4
        .value_kind:     hidden_block_count_x
      - .offset:         68
        .size:           4
        .value_kind:     hidden_block_count_y
      - .offset:         72
        .size:           4
        .value_kind:     hidden_block_count_z
      - .offset:         76
        .size:           2
        .value_kind:     hidden_group_size_x
      - .offset:         78
        .size:           2
        .value_kind:     hidden_group_size_y
      - .offset:         80
        .size:           2
        .value_kind:     hidden_group_size_z
      - .offset:         82
        .size:           2
        .value_kind:     hidden_remainder_x
      - .offset:         84
        .size:           2
        .value_kind:     hidden_remainder_y
      - .offset:         86
        .size:           2
        .value_kind:     hidden_remainder_z
      - .offset:         104
        .size:           8
        .value_kind:     hidden_global_offset_x
      - .offset:         112
        .size:           8
        .value_kind:     hidden_global_offset_y
      - .offset:         120
        .size:           8
        .value_kind:     hidden_global_offset_z
      - .offset:         128
        .size:           2
        .value_kind:     hidden_grid_dims
    .group_segment_fixed_size: 8208
    .kernarg_segment_align: 8
    .kernarg_segment_size: 320
    .language:       OpenCL C
    .language_version:
      - 2
      - 0
    .max_flat_workgroup_size: 256
    .name:           _ZN7rocprim17ROCPRIM_304000_NS6detail35device_block_merge_mergepath_kernelINS1_37wrapped_merge_sort_block_merge_configINS0_14default_configEiN2at4cuda3cub6detail10OpaqueTypeILi8EEEEEPiSC_PSA_SD_jNS1_19radix_merge_compareILb0ELb0EiNS0_19identity_decomposerEEEEEvT0_T1_T2_T3_T4_SL_jT5_PKSL_NS1_7vsmem_tE
    .private_segment_fixed_size: 0
    .sgpr_count:     35
    .sgpr_spill_count: 0
    .symbol:         _ZN7rocprim17ROCPRIM_304000_NS6detail35device_block_merge_mergepath_kernelINS1_37wrapped_merge_sort_block_merge_configINS0_14default_configEiN2at4cuda3cub6detail10OpaqueTypeILi8EEEEEPiSC_PSA_SD_jNS1_19radix_merge_compareILb0ELb0EiNS0_19identity_decomposerEEEEEvT0_T1_T2_T3_T4_SL_jT5_PKSL_NS1_7vsmem_tE.kd
    .uniform_work_group_size: 1
    .uses_dynamic_stack: false
    .vgpr_count:     24
    .vgpr_spill_count: 0
    .wavefront_size: 64
  - .agpr_count:     0
    .args:
      - .address_space:  global
        .offset:         0
        .size:           8
        .value_kind:     global_buffer
      - .address_space:  global
        .offset:         8
        .size:           8
        .value_kind:     global_buffer
      - .address_space:  global
        .offset:         16
        .size:           8
        .value_kind:     global_buffer
      - .address_space:  global
        .offset:         24
        .size:           8
        .value_kind:     global_buffer
      - .offset:         32
        .size:           4
        .value_kind:     by_value
      - .offset:         36
        .size:           4
        .value_kind:     by_value
      - .offset:         40
        .size:           1
        .value_kind:     by_value
    .group_segment_fixed_size: 0
    .kernarg_segment_align: 8
    .kernarg_segment_size: 44
    .language:       OpenCL C
    .language_version:
      - 2
      - 0
    .max_flat_workgroup_size: 256
    .name:           _ZN7rocprim17ROCPRIM_304000_NS6detail33device_block_merge_oddeven_kernelINS1_37wrapped_merge_sort_block_merge_configINS0_14default_configEiN2at4cuda3cub6detail10OpaqueTypeILi8EEEEEPiSC_PSA_SD_jNS1_19radix_merge_compareILb0ELb0EiNS0_19identity_decomposerEEEEEvT0_T1_T2_T3_T4_SL_T5_
    .private_segment_fixed_size: 0
    .sgpr_count:     27
    .sgpr_spill_count: 0
    .symbol:         _ZN7rocprim17ROCPRIM_304000_NS6detail33device_block_merge_oddeven_kernelINS1_37wrapped_merge_sort_block_merge_configINS0_14default_configEiN2at4cuda3cub6detail10OpaqueTypeILi8EEEEEPiSC_PSA_SD_jNS1_19radix_merge_compareILb0ELb0EiNS0_19identity_decomposerEEEEEvT0_T1_T2_T3_T4_SL_T5_.kd
    .uniform_work_group_size: 1
    .uses_dynamic_stack: false
    .vgpr_count:     12
    .vgpr_spill_count: 0
    .wavefront_size: 64
  - .agpr_count:     0
    .args:
      - .address_space:  global
        .offset:         0
        .size:           8
        .value_kind:     global_buffer
      - .offset:         8
        .size:           4
        .value_kind:     by_value
      - .offset:         12
        .size:           4
        .value_kind:     by_value
      - .address_space:  global
        .offset:         16
        .size:           8
        .value_kind:     global_buffer
      - .offset:         24
        .size:           4
        .value_kind:     by_value
      - .offset:         28
        .size:           4
        .value_kind:     by_value
    .group_segment_fixed_size: 0
    .kernarg_segment_align: 8
    .kernarg_segment_size: 32
    .language:       OpenCL C
    .language_version:
      - 2
      - 0
    .max_flat_workgroup_size: 128
    .name:           _ZN7rocprim17ROCPRIM_304000_NS6detail45device_block_merge_mergepath_partition_kernelINS1_37wrapped_merge_sort_block_merge_configINS0_14default_configEiN2at4cuda3cub6detail10OpaqueTypeILi8EEEEEPijNS1_19radix_merge_compareILb0ELb1EiNS0_19identity_decomposerEEEEEvT0_T1_jPSH_T2_SH_
    .private_segment_fixed_size: 0
    .sgpr_count:     12
    .sgpr_spill_count: 0
    .symbol:         _ZN7rocprim17ROCPRIM_304000_NS6detail45device_block_merge_mergepath_partition_kernelINS1_37wrapped_merge_sort_block_merge_configINS0_14default_configEiN2at4cuda3cub6detail10OpaqueTypeILi8EEEEEPijNS1_19radix_merge_compareILb0ELb1EiNS0_19identity_decomposerEEEEEvT0_T1_jPSH_T2_SH_.kd
    .uniform_work_group_size: 1
    .uses_dynamic_stack: false
    .vgpr_count:     17
    .vgpr_spill_count: 0
    .wavefront_size: 64
  - .agpr_count:     0
    .args:
      - .address_space:  global
        .offset:         0
        .size:           8
        .value_kind:     global_buffer
      - .address_space:  global
        .offset:         8
        .size:           8
        .value_kind:     global_buffer
      - .address_space:  global
        .offset:         16
        .size:           8
        .value_kind:     global_buffer
      - .address_space:  global
        .offset:         24
        .size:           8
        .value_kind:     global_buffer
      - .offset:         32
        .size:           4
        .value_kind:     by_value
      - .offset:         36
        .size:           4
        .value_kind:     by_value
      - .offset:         40
        .size:           4
        .value_kind:     by_value
      - .offset:         44
        .size:           4
        .value_kind:     by_value
      - .address_space:  global
        .offset:         48
        .size:           8
        .value_kind:     global_buffer
      - .address_space:  global
        .offset:         56
        .size:           8
        .value_kind:     global_buffer
      - .offset:         64
        .size:           4
        .value_kind:     hidden_block_count_x
      - .offset:         68
        .size:           4
        .value_kind:     hidden_block_count_y
      - .offset:         72
        .size:           4
        .value_kind:     hidden_block_count_z
      - .offset:         76
        .size:           2
        .value_kind:     hidden_group_size_x
      - .offset:         78
        .size:           2
        .value_kind:     hidden_group_size_y
      - .offset:         80
        .size:           2
        .value_kind:     hidden_group_size_z
      - .offset:         82
        .size:           2
        .value_kind:     hidden_remainder_x
      - .offset:         84
        .size:           2
        .value_kind:     hidden_remainder_y
      - .offset:         86
        .size:           2
        .value_kind:     hidden_remainder_z
      - .offset:         104
        .size:           8
        .value_kind:     hidden_global_offset_x
      - .offset:         112
        .size:           8
        .value_kind:     hidden_global_offset_y
      - .offset:         120
        .size:           8
        .value_kind:     hidden_global_offset_z
      - .offset:         128
        .size:           2
        .value_kind:     hidden_grid_dims
    .group_segment_fixed_size: 8208
    .kernarg_segment_align: 8
    .kernarg_segment_size: 320
    .language:       OpenCL C
    .language_version:
      - 2
      - 0
    .max_flat_workgroup_size: 256
    .name:           _ZN7rocprim17ROCPRIM_304000_NS6detail35device_block_merge_mergepath_kernelINS1_37wrapped_merge_sort_block_merge_configINS0_14default_configEiN2at4cuda3cub6detail10OpaqueTypeILi8EEEEEPiSC_PSA_SD_jNS1_19radix_merge_compareILb0ELb1EiNS0_19identity_decomposerEEEEEvT0_T1_T2_T3_T4_SL_jT5_PKSL_NS1_7vsmem_tE
    .private_segment_fixed_size: 0
    .sgpr_count:     35
    .sgpr_spill_count: 0
    .symbol:         _ZN7rocprim17ROCPRIM_304000_NS6detail35device_block_merge_mergepath_kernelINS1_37wrapped_merge_sort_block_merge_configINS0_14default_configEiN2at4cuda3cub6detail10OpaqueTypeILi8EEEEEPiSC_PSA_SD_jNS1_19radix_merge_compareILb0ELb1EiNS0_19identity_decomposerEEEEEvT0_T1_T2_T3_T4_SL_jT5_PKSL_NS1_7vsmem_tE.kd
    .uniform_work_group_size: 1
    .uses_dynamic_stack: false
    .vgpr_count:     24
    .vgpr_spill_count: 0
    .wavefront_size: 64
  - .agpr_count:     0
    .args:
      - .address_space:  global
        .offset:         0
        .size:           8
        .value_kind:     global_buffer
      - .address_space:  global
        .offset:         8
        .size:           8
        .value_kind:     global_buffer
      - .address_space:  global
        .offset:         16
        .size:           8
        .value_kind:     global_buffer
      - .address_space:  global
        .offset:         24
        .size:           8
        .value_kind:     global_buffer
      - .offset:         32
        .size:           4
        .value_kind:     by_value
      - .offset:         36
        .size:           4
        .value_kind:     by_value
      - .offset:         40
        .size:           4
        .value_kind:     by_value
    .group_segment_fixed_size: 0
    .kernarg_segment_align: 8
    .kernarg_segment_size: 44
    .language:       OpenCL C
    .language_version:
      - 2
      - 0
    .max_flat_workgroup_size: 256
    .name:           _ZN7rocprim17ROCPRIM_304000_NS6detail33device_block_merge_oddeven_kernelINS1_37wrapped_merge_sort_block_merge_configINS0_14default_configEiN2at4cuda3cub6detail10OpaqueTypeILi8EEEEEPiSC_PSA_SD_jNS1_19radix_merge_compareILb0ELb1EiNS0_19identity_decomposerEEEEEvT0_T1_T2_T3_T4_SL_T5_
    .private_segment_fixed_size: 0
    .sgpr_count:     28
    .sgpr_spill_count: 0
    .symbol:         _ZN7rocprim17ROCPRIM_304000_NS6detail33device_block_merge_oddeven_kernelINS1_37wrapped_merge_sort_block_merge_configINS0_14default_configEiN2at4cuda3cub6detail10OpaqueTypeILi8EEEEEPiSC_PSA_SD_jNS1_19radix_merge_compareILb0ELb1EiNS0_19identity_decomposerEEEEEvT0_T1_T2_T3_T4_SL_T5_.kd
    .uniform_work_group_size: 1
    .uses_dynamic_stack: false
    .vgpr_count:     13
    .vgpr_spill_count: 0
    .wavefront_size: 64
  - .agpr_count:     0
    .args:
      - .address_space:  global
        .offset:         0
        .size:           8
        .value_kind:     global_buffer
      - .address_space:  global
        .offset:         8
        .size:           8
        .value_kind:     global_buffer
      - .offset:         16
        .size:           8
        .value_kind:     by_value
      - .offset:         24
        .size:           8
        .value_kind:     by_value
      - .offset:         32
        .size:           1
        .value_kind:     by_value
      - .offset:         36
        .size:           4
        .value_kind:     by_value
      - .offset:         40
        .size:           4
        .value_kind:     by_value
    .group_segment_fixed_size: 16384
    .kernarg_segment_align: 8
    .kernarg_segment_size: 44
    .language:       OpenCL C
    .language_version:
      - 2
      - 0
    .max_flat_workgroup_size: 512
    .name:           _ZN7rocprim17ROCPRIM_304000_NS6detail26onesweep_histograms_kernelINS1_34wrapped_radix_sort_onesweep_configINS0_14default_configEiN2at4cuda3cub6detail10OpaqueTypeILi8EEEEELb0EPKimNS0_19identity_decomposerEEEvT1_PT2_SG_SG_T3_jj
    .private_segment_fixed_size: 0
    .sgpr_count:     30
    .sgpr_spill_count: 0
    .symbol:         _ZN7rocprim17ROCPRIM_304000_NS6detail26onesweep_histograms_kernelINS1_34wrapped_radix_sort_onesweep_configINS0_14default_configEiN2at4cuda3cub6detail10OpaqueTypeILi8EEEEELb0EPKimNS0_19identity_decomposerEEEvT1_PT2_SG_SG_T3_jj.kd
    .uniform_work_group_size: 1
    .uses_dynamic_stack: false
    .vgpr_count:     18
    .vgpr_spill_count: 0
    .wavefront_size: 64
  - .agpr_count:     0
    .args:
      - .address_space:  global
        .offset:         0
        .size:           8
        .value_kind:     global_buffer
      - .address_space:  global
        .offset:         8
        .size:           8
        .value_kind:     global_buffer
      - .address_space:  global
        .offset:         16
        .size:           8
        .value_kind:     global_buffer
      - .address_space:  global
        .offset:         24
        .size:           8
        .value_kind:     global_buffer
      - .offset:         32
        .size:           4
        .value_kind:     by_value
      - .address_space:  global
        .offset:         40
        .size:           8
        .value_kind:     global_buffer
      - .address_space:  global
        .offset:         48
        .size:           8
        .value_kind:     global_buffer
      - .address_space:  global
        .offset:         56
        .size:           8
        .value_kind:     global_buffer
      - .offset:         64
        .size:           1
        .value_kind:     by_value
      - .offset:         68
        .size:           4
        .value_kind:     by_value
      - .offset:         72
        .size:           4
        .value_kind:     by_value
      - .offset:         76
        .size:           4
        .value_kind:     by_value
      - .offset:         80
        .size:           4
        .value_kind:     hidden_block_count_x
      - .offset:         84
        .size:           4
        .value_kind:     hidden_block_count_y
      - .offset:         88
        .size:           4
        .value_kind:     hidden_block_count_z
      - .offset:         92
        .size:           2
        .value_kind:     hidden_group_size_x
      - .offset:         94
        .size:           2
        .value_kind:     hidden_group_size_y
      - .offset:         96
        .size:           2
        .value_kind:     hidden_group_size_z
      - .offset:         98
        .size:           2
        .value_kind:     hidden_remainder_x
      - .offset:         100
        .size:           2
        .value_kind:     hidden_remainder_y
      - .offset:         102
        .size:           2
        .value_kind:     hidden_remainder_z
      - .offset:         120
        .size:           8
        .value_kind:     hidden_global_offset_x
      - .offset:         128
        .size:           8
        .value_kind:     hidden_global_offset_y
      - .offset:         136
        .size:           8
        .value_kind:     hidden_global_offset_z
      - .offset:         144
        .size:           2
        .value_kind:     hidden_grid_dims
    .group_segment_fixed_size: 26624
    .kernarg_segment_align: 8
    .kernarg_segment_size: 336
    .language:       OpenCL C
    .language_version:
      - 2
      - 0
    .max_flat_workgroup_size: 512
    .name:           _ZN7rocprim17ROCPRIM_304000_NS6detail25onesweep_iteration_kernelINS1_34wrapped_radix_sort_onesweep_configINS0_14default_configEiN2at4cuda3cub6detail10OpaqueTypeILi8EEEEELb0EPKiPiPKSA_PSA_mNS0_19identity_decomposerEEEvT1_T2_T3_T4_jPT5_SO_PNS1_23onesweep_lookback_stateET6_jjj
    .private_segment_fixed_size: 0
    .sgpr_count:     56
    .sgpr_spill_count: 0
    .symbol:         _ZN7rocprim17ROCPRIM_304000_NS6detail25onesweep_iteration_kernelINS1_34wrapped_radix_sort_onesweep_configINS0_14default_configEiN2at4cuda3cub6detail10OpaqueTypeILi8EEEEELb0EPKiPiPKSA_PSA_mNS0_19identity_decomposerEEEvT1_T2_T3_T4_jPT5_SO_PNS1_23onesweep_lookback_stateET6_jjj.kd
    .uniform_work_group_size: 1
    .uses_dynamic_stack: false
    .vgpr_count:     50
    .vgpr_spill_count: 0
    .wavefront_size: 64
  - .agpr_count:     0
    .args:
      - .address_space:  global
        .offset:         0
        .size:           8
        .value_kind:     global_buffer
      - .address_space:  global
        .offset:         8
        .size:           8
        .value_kind:     global_buffer
      - .address_space:  global
        .offset:         16
        .size:           8
        .value_kind:     global_buffer
      - .address_space:  global
        .offset:         24
        .size:           8
        .value_kind:     global_buffer
      - .offset:         32
        .size:           4
        .value_kind:     by_value
      - .address_space:  global
        .offset:         40
        .size:           8
        .value_kind:     global_buffer
      - .address_space:  global
        .offset:         48
        .size:           8
        .value_kind:     global_buffer
      - .address_space:  global
        .offset:         56
        .size:           8
        .value_kind:     global_buffer
      - .offset:         64
        .size:           1
        .value_kind:     by_value
      - .offset:         68
        .size:           4
        .value_kind:     by_value
      - .offset:         72
        .size:           4
        .value_kind:     by_value
      - .offset:         76
        .size:           4
        .value_kind:     by_value
      - .offset:         80
        .size:           4
        .value_kind:     hidden_block_count_x
      - .offset:         84
        .size:           4
        .value_kind:     hidden_block_count_y
      - .offset:         88
        .size:           4
        .value_kind:     hidden_block_count_z
      - .offset:         92
        .size:           2
        .value_kind:     hidden_group_size_x
      - .offset:         94
        .size:           2
        .value_kind:     hidden_group_size_y
      - .offset:         96
        .size:           2
        .value_kind:     hidden_group_size_z
      - .offset:         98
        .size:           2
        .value_kind:     hidden_remainder_x
      - .offset:         100
        .size:           2
        .value_kind:     hidden_remainder_y
      - .offset:         102
        .size:           2
        .value_kind:     hidden_remainder_z
      - .offset:         120
        .size:           8
        .value_kind:     hidden_global_offset_x
      - .offset:         128
        .size:           8
        .value_kind:     hidden_global_offset_y
      - .offset:         136
        .size:           8
        .value_kind:     hidden_global_offset_z
      - .offset:         144
        .size:           2
        .value_kind:     hidden_grid_dims
    .group_segment_fixed_size: 26624
    .kernarg_segment_align: 8
    .kernarg_segment_size: 336
    .language:       OpenCL C
    .language_version:
      - 2
      - 0
    .max_flat_workgroup_size: 512
    .name:           _ZN7rocprim17ROCPRIM_304000_NS6detail25onesweep_iteration_kernelINS1_34wrapped_radix_sort_onesweep_configINS0_14default_configEiN2at4cuda3cub6detail10OpaqueTypeILi8EEEEELb0EPiSC_PSA_SD_mNS0_19identity_decomposerEEEvT1_T2_T3_T4_jPT5_SK_PNS1_23onesweep_lookback_stateET6_jjj
    .private_segment_fixed_size: 0
    .sgpr_count:     56
    .sgpr_spill_count: 0
    .symbol:         _ZN7rocprim17ROCPRIM_304000_NS6detail25onesweep_iteration_kernelINS1_34wrapped_radix_sort_onesweep_configINS0_14default_configEiN2at4cuda3cub6detail10OpaqueTypeILi8EEEEELb0EPiSC_PSA_SD_mNS0_19identity_decomposerEEEvT1_T2_T3_T4_jPT5_SK_PNS1_23onesweep_lookback_stateET6_jjj.kd
    .uniform_work_group_size: 1
    .uses_dynamic_stack: false
    .vgpr_count:     50
    .vgpr_spill_count: 0
    .wavefront_size: 64
  - .agpr_count:     0
    .args:
      - .address_space:  global
        .offset:         0
        .size:           8
        .value_kind:     global_buffer
      - .address_space:  global
        .offset:         8
        .size:           8
        .value_kind:     global_buffer
      - .address_space:  global
        .offset:         16
        .size:           8
        .value_kind:     global_buffer
      - .address_space:  global
        .offset:         24
        .size:           8
        .value_kind:     global_buffer
      - .offset:         32
        .size:           4
        .value_kind:     by_value
      - .offset:         36
        .size:           1
        .value_kind:     by_value
      - .offset:         40
        .size:           4
        .value_kind:     by_value
      - .offset:         44
        .size:           4
        .value_kind:     by_value
      - .offset:         48
        .size:           4
        .value_kind:     hidden_block_count_x
      - .offset:         52
        .size:           4
        .value_kind:     hidden_block_count_y
      - .offset:         56
        .size:           4
        .value_kind:     hidden_block_count_z
      - .offset:         60
        .size:           2
        .value_kind:     hidden_group_size_x
      - .offset:         62
        .size:           2
        .value_kind:     hidden_group_size_y
      - .offset:         64
        .size:           2
        .value_kind:     hidden_group_size_z
      - .offset:         66
        .size:           2
        .value_kind:     hidden_remainder_x
      - .offset:         68
        .size:           2
        .value_kind:     hidden_remainder_y
      - .offset:         70
        .size:           2
        .value_kind:     hidden_remainder_z
      - .offset:         88
        .size:           8
        .value_kind:     hidden_global_offset_x
      - .offset:         96
        .size:           8
        .value_kind:     hidden_global_offset_y
      - .offset:         104
        .size:           8
        .value_kind:     hidden_global_offset_z
      - .offset:         112
        .size:           2
        .value_kind:     hidden_grid_dims
    .group_segment_fixed_size: 8192
    .kernarg_segment_align: 8
    .kernarg_segment_size: 304
    .language:       OpenCL C
    .language_version:
      - 2
      - 0
    .max_flat_workgroup_size: 256
    .name:           _ZN7rocprim17ROCPRIM_304000_NS6detail28radix_sort_block_sort_kernelINS1_36wrapped_radix_sort_block_sort_configINS0_13kernel_configILj256ELj4ELj4294967295EEElN2at4cuda3cub6detail10OpaqueTypeILi8EEEEELb1EPKlPlPKSB_PSB_NS0_19identity_decomposerEEEvT1_T2_T3_T4_jT5_jj
    .private_segment_fixed_size: 0
    .sgpr_count:     48
    .sgpr_spill_count: 0
    .symbol:         _ZN7rocprim17ROCPRIM_304000_NS6detail28radix_sort_block_sort_kernelINS1_36wrapped_radix_sort_block_sort_configINS0_13kernel_configILj256ELj4ELj4294967295EEElN2at4cuda3cub6detail10OpaqueTypeILi8EEEEELb1EPKlPlPKSB_PSB_NS0_19identity_decomposerEEEvT1_T2_T3_T4_jT5_jj.kd
    .uniform_work_group_size: 1
    .uses_dynamic_stack: false
    .vgpr_count:     52
    .vgpr_spill_count: 0
    .wavefront_size: 64
  - .agpr_count:     0
    .args:           []
    .group_segment_fixed_size: 0
    .kernarg_segment_align: 4
    .kernarg_segment_size: 0
    .language:       OpenCL C
    .language_version:
      - 2
      - 0
    .max_flat_workgroup_size: 1024
    .name:           _ZN7rocprim17ROCPRIM_304000_NS6detail39device_merge_sort_compile_time_verifierINS1_36wrapped_merge_sort_block_sort_configINS1_28merge_sort_block_sort_configILj256ELj4ELNS0_20block_sort_algorithmE0EEElN2at4cuda3cub6detail10OpaqueTypeILi8EEEEENS1_37wrapped_merge_sort_block_merge_configINS0_14default_configElSC_EEEEvv
    .private_segment_fixed_size: 0
    .sgpr_count:     4
    .sgpr_spill_count: 0
    .symbol:         _ZN7rocprim17ROCPRIM_304000_NS6detail39device_merge_sort_compile_time_verifierINS1_36wrapped_merge_sort_block_sort_configINS1_28merge_sort_block_sort_configILj256ELj4ELNS0_20block_sort_algorithmE0EEElN2at4cuda3cub6detail10OpaqueTypeILi8EEEEENS1_37wrapped_merge_sort_block_merge_configINS0_14default_configElSC_EEEEvv.kd
    .uniform_work_group_size: 1
    .uses_dynamic_stack: false
    .vgpr_count:     0
    .vgpr_spill_count: 0
    .wavefront_size: 64
  - .agpr_count:     0
    .args:
      - .address_space:  global
        .offset:         0
        .size:           8
        .value_kind:     global_buffer
      - .offset:         8
        .size:           4
        .value_kind:     by_value
      - .offset:         12
        .size:           4
        .value_kind:     by_value
      - .address_space:  global
        .offset:         16
        .size:           8
        .value_kind:     global_buffer
      - .offset:         24
        .size:           1
        .value_kind:     by_value
      - .offset:         28
        .size:           4
        .value_kind:     by_value
    .group_segment_fixed_size: 0
    .kernarg_segment_align: 8
    .kernarg_segment_size: 32
    .language:       OpenCL C
    .language_version:
      - 2
      - 0
    .max_flat_workgroup_size: 128
    .name:           _ZN7rocprim17ROCPRIM_304000_NS6detail45device_block_merge_mergepath_partition_kernelINS1_37wrapped_merge_sort_block_merge_configINS0_14default_configElN2at4cuda3cub6detail10OpaqueTypeILi8EEEEEPljNS1_19radix_merge_compareILb1ELb0ElNS0_19identity_decomposerEEEEEvT0_T1_jPSH_T2_SH_
    .private_segment_fixed_size: 0
    .sgpr_count:     11
    .sgpr_spill_count: 0
    .symbol:         _ZN7rocprim17ROCPRIM_304000_NS6detail45device_block_merge_mergepath_partition_kernelINS1_37wrapped_merge_sort_block_merge_configINS0_14default_configElN2at4cuda3cub6detail10OpaqueTypeILi8EEEEEPljNS1_19radix_merge_compareILb1ELb0ElNS0_19identity_decomposerEEEEEvT0_T1_jPSH_T2_SH_.kd
    .uniform_work_group_size: 1
    .uses_dynamic_stack: false
    .vgpr_count:     20
    .vgpr_spill_count: 0
    .wavefront_size: 64
  - .agpr_count:     0
    .args:
      - .address_space:  global
        .offset:         0
        .size:           8
        .value_kind:     global_buffer
      - .address_space:  global
        .offset:         8
        .size:           8
        .value_kind:     global_buffer
      - .address_space:  global
        .offset:         16
        .size:           8
        .value_kind:     global_buffer
      - .address_space:  global
        .offset:         24
        .size:           8
        .value_kind:     global_buffer
      - .offset:         32
        .size:           4
        .value_kind:     by_value
      - .offset:         36
        .size:           4
        .value_kind:     by_value
      - .offset:         40
        .size:           4
        .value_kind:     by_value
      - .offset:         44
        .size:           1
        .value_kind:     by_value
      - .address_space:  global
        .offset:         48
        .size:           8
        .value_kind:     global_buffer
      - .address_space:  global
        .offset:         56
        .size:           8
        .value_kind:     global_buffer
      - .offset:         64
        .size:           4
        .value_kind:     hidden_block_count_x
      - .offset:         68
        .size:           4
        .value_kind:     hidden_block_count_y
      - .offset:         72
        .size:           4
        .value_kind:     hidden_block_count_z
      - .offset:         76
        .size:           2
        .value_kind:     hidden_group_size_x
      - .offset:         78
        .size:           2
        .value_kind:     hidden_group_size_y
      - .offset:         80
        .size:           2
        .value_kind:     hidden_group_size_z
      - .offset:         82
        .size:           2
        .value_kind:     hidden_remainder_x
      - .offset:         84
        .size:           2
        .value_kind:     hidden_remainder_y
      - .offset:         86
        .size:           2
        .value_kind:     hidden_remainder_z
      - .offset:         104
        .size:           8
        .value_kind:     hidden_global_offset_x
      - .offset:         112
        .size:           8
        .value_kind:     hidden_global_offset_y
      - .offset:         120
        .size:           8
        .value_kind:     hidden_global_offset_z
      - .offset:         128
        .size:           2
        .value_kind:     hidden_grid_dims
    .group_segment_fixed_size: 8448
    .kernarg_segment_align: 8
    .kernarg_segment_size: 320
    .language:       OpenCL C
    .language_version:
      - 2
      - 0
    .max_flat_workgroup_size: 512
    .name:           _ZN7rocprim17ROCPRIM_304000_NS6detail35device_block_merge_mergepath_kernelINS1_37wrapped_merge_sort_block_merge_configINS0_14default_configElN2at4cuda3cub6detail10OpaqueTypeILi8EEEEEPlSC_PSA_SD_jNS1_19radix_merge_compareILb1ELb0ElNS0_19identity_decomposerEEEEEvT0_T1_T2_T3_T4_SL_jT5_PKSL_NS1_7vsmem_tE
    .private_segment_fixed_size: 0
    .sgpr_count:     33
    .sgpr_spill_count: 0
    .symbol:         _ZN7rocprim17ROCPRIM_304000_NS6detail35device_block_merge_mergepath_kernelINS1_37wrapped_merge_sort_block_merge_configINS0_14default_configElN2at4cuda3cub6detail10OpaqueTypeILi8EEEEEPlSC_PSA_SD_jNS1_19radix_merge_compareILb1ELb0ElNS0_19identity_decomposerEEEEEvT0_T1_T2_T3_T4_SL_jT5_PKSL_NS1_7vsmem_tE.kd
    .uniform_work_group_size: 1
    .uses_dynamic_stack: false
    .vgpr_count:     17
    .vgpr_spill_count: 0
    .wavefront_size: 64
  - .agpr_count:     0
    .args:
      - .address_space:  global
        .offset:         0
        .size:           8
        .value_kind:     global_buffer
      - .address_space:  global
        .offset:         8
        .size:           8
        .value_kind:     global_buffer
      - .address_space:  global
        .offset:         16
        .size:           8
        .value_kind:     global_buffer
      - .address_space:  global
        .offset:         24
        .size:           8
        .value_kind:     global_buffer
      - .offset:         32
        .size:           4
        .value_kind:     by_value
      - .offset:         36
        .size:           4
        .value_kind:     by_value
      - .offset:         40
        .size:           1
        .value_kind:     by_value
    .group_segment_fixed_size: 0
    .kernarg_segment_align: 8
    .kernarg_segment_size: 44
    .language:       OpenCL C
    .language_version:
      - 2
      - 0
    .max_flat_workgroup_size: 256
    .name:           _ZN7rocprim17ROCPRIM_304000_NS6detail33device_block_merge_oddeven_kernelINS1_37wrapped_merge_sort_block_merge_configINS0_14default_configElN2at4cuda3cub6detail10OpaqueTypeILi8EEEEEPlSC_PSA_SD_jNS1_19radix_merge_compareILb1ELb0ElNS0_19identity_decomposerEEEEEvT0_T1_T2_T3_T4_SL_T5_
    .private_segment_fixed_size: 0
    .sgpr_count:     27
    .sgpr_spill_count: 0
    .symbol:         _ZN7rocprim17ROCPRIM_304000_NS6detail33device_block_merge_oddeven_kernelINS1_37wrapped_merge_sort_block_merge_configINS0_14default_configElN2at4cuda3cub6detail10OpaqueTypeILi8EEEEEPlSC_PSA_SD_jNS1_19radix_merge_compareILb1ELb0ElNS0_19identity_decomposerEEEEEvT0_T1_T2_T3_T4_SL_T5_.kd
    .uniform_work_group_size: 1
    .uses_dynamic_stack: false
    .vgpr_count:     14
    .vgpr_spill_count: 0
    .wavefront_size: 64
  - .agpr_count:     0
    .args:
      - .address_space:  global
        .offset:         0
        .size:           8
        .value_kind:     global_buffer
      - .offset:         8
        .size:           8
        .value_kind:     by_value
      - .address_space:  global
        .offset:         16
        .size:           8
        .value_kind:     global_buffer
      - .offset:         24
        .size:           1
        .value_kind:     by_value
      - .offset:         32
        .size:           4
        .value_kind:     hidden_block_count_x
      - .offset:         36
        .size:           4
        .value_kind:     hidden_block_count_y
      - .offset:         40
        .size:           4
        .value_kind:     hidden_block_count_z
      - .offset:         44
        .size:           2
        .value_kind:     hidden_group_size_x
      - .offset:         46
        .size:           2
        .value_kind:     hidden_group_size_y
      - .offset:         48
        .size:           2
        .value_kind:     hidden_group_size_z
      - .offset:         50
        .size:           2
        .value_kind:     hidden_remainder_x
      - .offset:         52
        .size:           2
        .value_kind:     hidden_remainder_y
      - .offset:         54
        .size:           2
        .value_kind:     hidden_remainder_z
      - .offset:         72
        .size:           8
        .value_kind:     hidden_global_offset_x
      - .offset:         80
        .size:           8
        .value_kind:     hidden_global_offset_y
      - .offset:         88
        .size:           8
        .value_kind:     hidden_global_offset_z
      - .offset:         96
        .size:           2
        .value_kind:     hidden_grid_dims
    .group_segment_fixed_size: 0
    .kernarg_segment_align: 8
    .kernarg_segment_size: 288
    .language:       OpenCL C
    .language_version:
      - 2
      - 0
    .max_flat_workgroup_size: 256
    .name:           _ZN7rocprim17ROCPRIM_304000_NS6detail16transform_kernelINS1_24wrapped_transform_configINS0_14default_configElEElPlS6_NS0_8identityIlEEEEvT1_mT2_T3_
    .private_segment_fixed_size: 0
    .sgpr_count:     16
    .sgpr_spill_count: 0
    .symbol:         _ZN7rocprim17ROCPRIM_304000_NS6detail16transform_kernelINS1_24wrapped_transform_configINS0_14default_configElEElPlS6_NS0_8identityIlEEEEvT1_mT2_T3_.kd
    .uniform_work_group_size: 1
    .uses_dynamic_stack: false
    .vgpr_count:     8
    .vgpr_spill_count: 0
    .wavefront_size: 64
  - .agpr_count:     0
    .args:
      - .address_space:  global
        .offset:         0
        .size:           8
        .value_kind:     global_buffer
      - .offset:         8
        .size:           4
        .value_kind:     by_value
      - .offset:         12
        .size:           4
        .value_kind:     by_value
      - .address_space:  global
        .offset:         16
        .size:           8
        .value_kind:     global_buffer
      - .offset:         24
        .size:           8
        .value_kind:     by_value
      - .offset:         32
        .size:           4
        .value_kind:     by_value
    .group_segment_fixed_size: 0
    .kernarg_segment_align: 8
    .kernarg_segment_size: 36
    .language:       OpenCL C
    .language_version:
      - 2
      - 0
    .max_flat_workgroup_size: 128
    .name:           _ZN7rocprim17ROCPRIM_304000_NS6detail45device_block_merge_mergepath_partition_kernelINS1_37wrapped_merge_sort_block_merge_configINS0_14default_configElN2at4cuda3cub6detail10OpaqueTypeILi8EEEEEPljNS1_19radix_merge_compareILb1ELb1ElNS0_19identity_decomposerEEEEEvT0_T1_jPSH_T2_SH_
    .private_segment_fixed_size: 0
    .sgpr_count:     14
    .sgpr_spill_count: 0
    .symbol:         _ZN7rocprim17ROCPRIM_304000_NS6detail45device_block_merge_mergepath_partition_kernelINS1_37wrapped_merge_sort_block_merge_configINS0_14default_configElN2at4cuda3cub6detail10OpaqueTypeILi8EEEEEPljNS1_19radix_merge_compareILb1ELb1ElNS0_19identity_decomposerEEEEEvT0_T1_jPSH_T2_SH_.kd
    .uniform_work_group_size: 1
    .uses_dynamic_stack: false
    .vgpr_count:     16
    .vgpr_spill_count: 0
    .wavefront_size: 64
  - .agpr_count:     0
    .args:
      - .address_space:  global
        .offset:         0
        .size:           8
        .value_kind:     global_buffer
      - .address_space:  global
        .offset:         8
        .size:           8
        .value_kind:     global_buffer
      - .address_space:  global
        .offset:         16
        .size:           8
        .value_kind:     global_buffer
      - .address_space:  global
        .offset:         24
        .size:           8
        .value_kind:     global_buffer
      - .offset:         32
        .size:           4
        .value_kind:     by_value
      - .offset:         36
        .size:           4
        .value_kind:     by_value
      - .offset:         40
        .size:           4
        .value_kind:     by_value
      - .offset:         48
        .size:           8
        .value_kind:     by_value
      - .address_space:  global
        .offset:         56
        .size:           8
        .value_kind:     global_buffer
      - .address_space:  global
        .offset:         64
        .size:           8
        .value_kind:     global_buffer
      - .offset:         72
        .size:           4
        .value_kind:     hidden_block_count_x
      - .offset:         76
        .size:           4
        .value_kind:     hidden_block_count_y
      - .offset:         80
        .size:           4
        .value_kind:     hidden_block_count_z
      - .offset:         84
        .size:           2
        .value_kind:     hidden_group_size_x
      - .offset:         86
        .size:           2
        .value_kind:     hidden_group_size_y
      - .offset:         88
        .size:           2
        .value_kind:     hidden_group_size_z
      - .offset:         90
        .size:           2
        .value_kind:     hidden_remainder_x
      - .offset:         92
        .size:           2
        .value_kind:     hidden_remainder_y
      - .offset:         94
        .size:           2
        .value_kind:     hidden_remainder_z
      - .offset:         112
        .size:           8
        .value_kind:     hidden_global_offset_x
      - .offset:         120
        .size:           8
        .value_kind:     hidden_global_offset_y
      - .offset:         128
        .size:           8
        .value_kind:     hidden_global_offset_z
      - .offset:         136
        .size:           2
        .value_kind:     hidden_grid_dims
    .group_segment_fixed_size: 8448
    .kernarg_segment_align: 8
    .kernarg_segment_size: 328
    .language:       OpenCL C
    .language_version:
      - 2
      - 0
    .max_flat_workgroup_size: 512
    .name:           _ZN7rocprim17ROCPRIM_304000_NS6detail35device_block_merge_mergepath_kernelINS1_37wrapped_merge_sort_block_merge_configINS0_14default_configElN2at4cuda3cub6detail10OpaqueTypeILi8EEEEEPlSC_PSA_SD_jNS1_19radix_merge_compareILb1ELb1ElNS0_19identity_decomposerEEEEEvT0_T1_T2_T3_T4_SL_jT5_PKSL_NS1_7vsmem_tE
    .private_segment_fixed_size: 0
    .sgpr_count:     35
    .sgpr_spill_count: 0
    .symbol:         _ZN7rocprim17ROCPRIM_304000_NS6detail35device_block_merge_mergepath_kernelINS1_37wrapped_merge_sort_block_merge_configINS0_14default_configElN2at4cuda3cub6detail10OpaqueTypeILi8EEEEEPlSC_PSA_SD_jNS1_19radix_merge_compareILb1ELb1ElNS0_19identity_decomposerEEEEEvT0_T1_T2_T3_T4_SL_jT5_PKSL_NS1_7vsmem_tE.kd
    .uniform_work_group_size: 1
    .uses_dynamic_stack: false
    .vgpr_count:     17
    .vgpr_spill_count: 0
    .wavefront_size: 64
  - .agpr_count:     0
    .args:
      - .address_space:  global
        .offset:         0
        .size:           8
        .value_kind:     global_buffer
      - .address_space:  global
        .offset:         8
        .size:           8
        .value_kind:     global_buffer
      - .address_space:  global
        .offset:         16
        .size:           8
        .value_kind:     global_buffer
      - .address_space:  global
        .offset:         24
        .size:           8
        .value_kind:     global_buffer
      - .offset:         32
        .size:           4
        .value_kind:     by_value
      - .offset:         36
        .size:           4
        .value_kind:     by_value
      - .offset:         40
        .size:           8
        .value_kind:     by_value
    .group_segment_fixed_size: 0
    .kernarg_segment_align: 8
    .kernarg_segment_size: 48
    .language:       OpenCL C
    .language_version:
      - 2
      - 0
    .max_flat_workgroup_size: 256
    .name:           _ZN7rocprim17ROCPRIM_304000_NS6detail33device_block_merge_oddeven_kernelINS1_37wrapped_merge_sort_block_merge_configINS0_14default_configElN2at4cuda3cub6detail10OpaqueTypeILi8EEEEEPlSC_PSA_SD_jNS1_19radix_merge_compareILb1ELb1ElNS0_19identity_decomposerEEEEEvT0_T1_T2_T3_T4_SL_T5_
    .private_segment_fixed_size: 0
    .sgpr_count:     28
    .sgpr_spill_count: 0
    .symbol:         _ZN7rocprim17ROCPRIM_304000_NS6detail33device_block_merge_oddeven_kernelINS1_37wrapped_merge_sort_block_merge_configINS0_14default_configElN2at4cuda3cub6detail10OpaqueTypeILi8EEEEEPlSC_PSA_SD_jNS1_19radix_merge_compareILb1ELb1ElNS0_19identity_decomposerEEEEEvT0_T1_T2_T3_T4_SL_T5_.kd
    .uniform_work_group_size: 1
    .uses_dynamic_stack: false
    .vgpr_count:     16
    .vgpr_spill_count: 0
    .wavefront_size: 64
  - .agpr_count:     0
    .args:
      - .address_space:  global
        .offset:         0
        .size:           8
        .value_kind:     global_buffer
      - .address_space:  global
        .offset:         8
        .size:           8
        .value_kind:     global_buffer
      - .offset:         16
        .size:           8
        .value_kind:     by_value
      - .offset:         24
        .size:           8
        .value_kind:     by_value
      - .offset:         32
        .size:           1
        .value_kind:     by_value
      - .offset:         36
        .size:           4
        .value_kind:     by_value
      - .offset:         40
        .size:           4
        .value_kind:     by_value
    .group_segment_fixed_size: 32768
    .kernarg_segment_align: 8
    .kernarg_segment_size: 44
    .language:       OpenCL C
    .language_version:
      - 2
      - 0
    .max_flat_workgroup_size: 1024
    .name:           _ZN7rocprim17ROCPRIM_304000_NS6detail26onesweep_histograms_kernelINS1_34wrapped_radix_sort_onesweep_configINS0_14default_configElN2at4cuda3cub6detail10OpaqueTypeILi8EEEEELb1EPKlmNS0_19identity_decomposerEEEvT1_PT2_SG_SG_T3_jj
    .private_segment_fixed_size: 0
    .sgpr_count:     30
    .sgpr_spill_count: 0
    .symbol:         _ZN7rocprim17ROCPRIM_304000_NS6detail26onesweep_histograms_kernelINS1_34wrapped_radix_sort_onesweep_configINS0_14default_configElN2at4cuda3cub6detail10OpaqueTypeILi8EEEEELb1EPKlmNS0_19identity_decomposerEEEvT1_PT2_SG_SG_T3_jj.kd
    .uniform_work_group_size: 1
    .uses_dynamic_stack: false
    .vgpr_count:     25
    .vgpr_spill_count: 0
    .wavefront_size: 64
  - .agpr_count:     0
    .args:
      - .address_space:  global
        .offset:         0
        .size:           8
        .value_kind:     global_buffer
    .group_segment_fixed_size: 128
    .kernarg_segment_align: 8
    .kernarg_segment_size: 8
    .language:       OpenCL C
    .language_version:
      - 2
      - 0
    .max_flat_workgroup_size: 1024
    .name:           _ZN7rocprim17ROCPRIM_304000_NS6detail31onesweep_scan_histograms_kernelINS1_34wrapped_radix_sort_onesweep_configINS0_14default_configElN2at4cuda3cub6detail10OpaqueTypeILi8EEEEEmEEvPT0_
    .private_segment_fixed_size: 0
    .sgpr_count:     22
    .sgpr_spill_count: 0
    .symbol:         _ZN7rocprim17ROCPRIM_304000_NS6detail31onesweep_scan_histograms_kernelINS1_34wrapped_radix_sort_onesweep_configINS0_14default_configElN2at4cuda3cub6detail10OpaqueTypeILi8EEEEEmEEvPT0_.kd
    .uniform_work_group_size: 1
    .uses_dynamic_stack: false
    .vgpr_count:     13
    .vgpr_spill_count: 0
    .wavefront_size: 64
  - .agpr_count:     0
    .args:
      - .address_space:  global
        .offset:         0
        .size:           8
        .value_kind:     global_buffer
      - .offset:         8
        .size:           8
        .value_kind:     by_value
      - .address_space:  global
        .offset:         16
        .size:           8
        .value_kind:     global_buffer
      - .offset:         24
        .size:           1
        .value_kind:     by_value
      - .offset:         32
        .size:           4
        .value_kind:     hidden_block_count_x
      - .offset:         36
        .size:           4
        .value_kind:     hidden_block_count_y
      - .offset:         40
        .size:           4
        .value_kind:     hidden_block_count_z
      - .offset:         44
        .size:           2
        .value_kind:     hidden_group_size_x
      - .offset:         46
        .size:           2
        .value_kind:     hidden_group_size_y
      - .offset:         48
        .size:           2
        .value_kind:     hidden_group_size_z
      - .offset:         50
        .size:           2
        .value_kind:     hidden_remainder_x
      - .offset:         52
        .size:           2
        .value_kind:     hidden_remainder_y
      - .offset:         54
        .size:           2
        .value_kind:     hidden_remainder_z
      - .offset:         72
        .size:           8
        .value_kind:     hidden_global_offset_x
      - .offset:         80
        .size:           8
        .value_kind:     hidden_global_offset_y
      - .offset:         88
        .size:           8
        .value_kind:     hidden_global_offset_z
      - .offset:         96
        .size:           2
        .value_kind:     hidden_grid_dims
    .group_segment_fixed_size: 0
    .kernarg_segment_align: 8
    .kernarg_segment_size: 288
    .language:       OpenCL C
    .language_version:
      - 2
      - 0
    .max_flat_workgroup_size: 256
    .name:           _ZN7rocprim17ROCPRIM_304000_NS6detail16transform_kernelINS1_24wrapped_transform_configINS0_14default_configElEElPKlPlNS0_8identityIlEEEEvT1_mT2_T3_
    .private_segment_fixed_size: 0
    .sgpr_count:     16
    .sgpr_spill_count: 0
    .symbol:         _ZN7rocprim17ROCPRIM_304000_NS6detail16transform_kernelINS1_24wrapped_transform_configINS0_14default_configElEElPKlPlNS0_8identityIlEEEEvT1_mT2_T3_.kd
    .uniform_work_group_size: 1
    .uses_dynamic_stack: false
    .vgpr_count:     8
    .vgpr_spill_count: 0
    .wavefront_size: 64
  - .agpr_count:     0
    .args:
      - .address_space:  global
        .offset:         0
        .size:           8
        .value_kind:     global_buffer
      - .address_space:  global
        .offset:         8
        .size:           8
        .value_kind:     global_buffer
      - .address_space:  global
        .offset:         16
        .size:           8
        .value_kind:     global_buffer
      - .address_space:  global
        .offset:         24
        .size:           8
        .value_kind:     global_buffer
      - .offset:         32
        .size:           4
        .value_kind:     by_value
      - .address_space:  global
        .offset:         40
        .size:           8
        .value_kind:     global_buffer
      - .address_space:  global
        .offset:         48
        .size:           8
        .value_kind:     global_buffer
      - .address_space:  global
        .offset:         56
        .size:           8
        .value_kind:     global_buffer
      - .offset:         64
        .size:           1
        .value_kind:     by_value
      - .offset:         68
        .size:           4
        .value_kind:     by_value
      - .offset:         72
        .size:           4
        .value_kind:     by_value
      - .offset:         76
        .size:           4
        .value_kind:     by_value
      - .offset:         80
        .size:           4
        .value_kind:     hidden_block_count_x
      - .offset:         84
        .size:           4
        .value_kind:     hidden_block_count_y
      - .offset:         88
        .size:           4
        .value_kind:     hidden_block_count_z
      - .offset:         92
        .size:           2
        .value_kind:     hidden_group_size_x
      - .offset:         94
        .size:           2
        .value_kind:     hidden_group_size_y
      - .offset:         96
        .size:           2
        .value_kind:     hidden_group_size_z
      - .offset:         98
        .size:           2
        .value_kind:     hidden_remainder_x
      - .offset:         100
        .size:           2
        .value_kind:     hidden_remainder_y
      - .offset:         102
        .size:           2
        .value_kind:     hidden_remainder_z
      - .offset:         120
        .size:           8
        .value_kind:     hidden_global_offset_x
      - .offset:         128
        .size:           8
        .value_kind:     hidden_global_offset_y
      - .offset:         136
        .size:           8
        .value_kind:     hidden_global_offset_z
      - .offset:         144
        .size:           2
        .value_kind:     hidden_grid_dims
    .group_segment_fixed_size: 51200
    .kernarg_segment_align: 8
    .kernarg_segment_size: 336
    .language:       OpenCL C
    .language_version:
      - 2
      - 0
    .max_flat_workgroup_size: 1024
    .name:           _ZN7rocprim17ROCPRIM_304000_NS6detail25onesweep_iteration_kernelINS1_34wrapped_radix_sort_onesweep_configINS0_14default_configElN2at4cuda3cub6detail10OpaqueTypeILi8EEEEELb1EPKlPlPKSA_PSA_mNS0_19identity_decomposerEEEvT1_T2_T3_T4_jPT5_SO_PNS1_23onesweep_lookback_stateET6_jjj
    .private_segment_fixed_size: 0
    .sgpr_count:     58
    .sgpr_spill_count: 0
    .symbol:         _ZN7rocprim17ROCPRIM_304000_NS6detail25onesweep_iteration_kernelINS1_34wrapped_radix_sort_onesweep_configINS0_14default_configElN2at4cuda3cub6detail10OpaqueTypeILi8EEEEELb1EPKlPlPKSA_PSA_mNS0_19identity_decomposerEEEvT1_T2_T3_T4_jPT5_SO_PNS1_23onesweep_lookback_stateET6_jjj.kd
    .uniform_work_group_size: 1
    .uses_dynamic_stack: false
    .vgpr_count:     48
    .vgpr_spill_count: 0
    .wavefront_size: 64
  - .agpr_count:     0
    .args:
      - .address_space:  global
        .offset:         0
        .size:           8
        .value_kind:     global_buffer
      - .address_space:  global
        .offset:         8
        .size:           8
        .value_kind:     global_buffer
      - .address_space:  global
        .offset:         16
        .size:           8
        .value_kind:     global_buffer
      - .address_space:  global
        .offset:         24
        .size:           8
        .value_kind:     global_buffer
      - .offset:         32
        .size:           4
        .value_kind:     by_value
      - .address_space:  global
        .offset:         40
        .size:           8
        .value_kind:     global_buffer
      - .address_space:  global
        .offset:         48
        .size:           8
        .value_kind:     global_buffer
      - .address_space:  global
        .offset:         56
        .size:           8
        .value_kind:     global_buffer
      - .offset:         64
        .size:           1
        .value_kind:     by_value
      - .offset:         68
        .size:           4
        .value_kind:     by_value
      - .offset:         72
        .size:           4
        .value_kind:     by_value
      - .offset:         76
        .size:           4
        .value_kind:     by_value
      - .offset:         80
        .size:           4
        .value_kind:     hidden_block_count_x
      - .offset:         84
        .size:           4
        .value_kind:     hidden_block_count_y
      - .offset:         88
        .size:           4
        .value_kind:     hidden_block_count_z
      - .offset:         92
        .size:           2
        .value_kind:     hidden_group_size_x
      - .offset:         94
        .size:           2
        .value_kind:     hidden_group_size_y
      - .offset:         96
        .size:           2
        .value_kind:     hidden_group_size_z
      - .offset:         98
        .size:           2
        .value_kind:     hidden_remainder_x
      - .offset:         100
        .size:           2
        .value_kind:     hidden_remainder_y
      - .offset:         102
        .size:           2
        .value_kind:     hidden_remainder_z
      - .offset:         120
        .size:           8
        .value_kind:     hidden_global_offset_x
      - .offset:         128
        .size:           8
        .value_kind:     hidden_global_offset_y
      - .offset:         136
        .size:           8
        .value_kind:     hidden_global_offset_z
      - .offset:         144
        .size:           2
        .value_kind:     hidden_grid_dims
    .group_segment_fixed_size: 51200
    .kernarg_segment_align: 8
    .kernarg_segment_size: 336
    .language:       OpenCL C
    .language_version:
      - 2
      - 0
    .max_flat_workgroup_size: 1024
    .name:           _ZN7rocprim17ROCPRIM_304000_NS6detail25onesweep_iteration_kernelINS1_34wrapped_radix_sort_onesweep_configINS0_14default_configElN2at4cuda3cub6detail10OpaqueTypeILi8EEEEELb1EPlSC_PSA_SD_mNS0_19identity_decomposerEEEvT1_T2_T3_T4_jPT5_SK_PNS1_23onesweep_lookback_stateET6_jjj
    .private_segment_fixed_size: 0
    .sgpr_count:     58
    .sgpr_spill_count: 0
    .symbol:         _ZN7rocprim17ROCPRIM_304000_NS6detail25onesweep_iteration_kernelINS1_34wrapped_radix_sort_onesweep_configINS0_14default_configElN2at4cuda3cub6detail10OpaqueTypeILi8EEEEELb1EPlSC_PSA_SD_mNS0_19identity_decomposerEEEvT1_T2_T3_T4_jPT5_SK_PNS1_23onesweep_lookback_stateET6_jjj.kd
    .uniform_work_group_size: 1
    .uses_dynamic_stack: false
    .vgpr_count:     48
    .vgpr_spill_count: 0
    .wavefront_size: 64
  - .agpr_count:     0
    .args:
      - .address_space:  global
        .offset:         0
        .size:           8
        .value_kind:     global_buffer
      - .address_space:  global
        .offset:         8
        .size:           8
        .value_kind:     global_buffer
      - .address_space:  global
        .offset:         16
        .size:           8
        .value_kind:     global_buffer
      - .address_space:  global
        .offset:         24
        .size:           8
        .value_kind:     global_buffer
      - .offset:         32
        .size:           4
        .value_kind:     by_value
      - .offset:         36
        .size:           1
        .value_kind:     by_value
      - .offset:         40
        .size:           4
        .value_kind:     by_value
      - .offset:         44
        .size:           4
        .value_kind:     by_value
      - .offset:         48
        .size:           4
        .value_kind:     hidden_block_count_x
      - .offset:         52
        .size:           4
        .value_kind:     hidden_block_count_y
      - .offset:         56
        .size:           4
        .value_kind:     hidden_block_count_z
      - .offset:         60
        .size:           2
        .value_kind:     hidden_group_size_x
      - .offset:         62
        .size:           2
        .value_kind:     hidden_group_size_y
      - .offset:         64
        .size:           2
        .value_kind:     hidden_group_size_z
      - .offset:         66
        .size:           2
        .value_kind:     hidden_remainder_x
      - .offset:         68
        .size:           2
        .value_kind:     hidden_remainder_y
      - .offset:         70
        .size:           2
        .value_kind:     hidden_remainder_z
      - .offset:         88
        .size:           8
        .value_kind:     hidden_global_offset_x
      - .offset:         96
        .size:           8
        .value_kind:     hidden_global_offset_y
      - .offset:         104
        .size:           8
        .value_kind:     hidden_global_offset_z
      - .offset:         112
        .size:           2
        .value_kind:     hidden_grid_dims
    .group_segment_fixed_size: 8192
    .kernarg_segment_align: 8
    .kernarg_segment_size: 304
    .language:       OpenCL C
    .language_version:
      - 2
      - 0
    .max_flat_workgroup_size: 256
    .name:           _ZN7rocprim17ROCPRIM_304000_NS6detail28radix_sort_block_sort_kernelINS1_36wrapped_radix_sort_block_sort_configINS0_13kernel_configILj256ELj4ELj4294967295EEElN2at4cuda3cub6detail10OpaqueTypeILi8EEEEELb0EPKlPlPKSB_PSB_NS0_19identity_decomposerEEEvT1_T2_T3_T4_jT5_jj
    .private_segment_fixed_size: 0
    .sgpr_count:     48
    .sgpr_spill_count: 0
    .symbol:         _ZN7rocprim17ROCPRIM_304000_NS6detail28radix_sort_block_sort_kernelINS1_36wrapped_radix_sort_block_sort_configINS0_13kernel_configILj256ELj4ELj4294967295EEElN2at4cuda3cub6detail10OpaqueTypeILi8EEEEELb0EPKlPlPKSB_PSB_NS0_19identity_decomposerEEEvT1_T2_T3_T4_jT5_jj.kd
    .uniform_work_group_size: 1
    .uses_dynamic_stack: false
    .vgpr_count:     53
    .vgpr_spill_count: 0
    .wavefront_size: 64
  - .agpr_count:     0
    .args:
      - .address_space:  global
        .offset:         0
        .size:           8
        .value_kind:     global_buffer
      - .offset:         8
        .size:           4
        .value_kind:     by_value
      - .offset:         12
        .size:           4
        .value_kind:     by_value
      - .address_space:  global
        .offset:         16
        .size:           8
        .value_kind:     global_buffer
      - .offset:         24
        .size:           1
        .value_kind:     by_value
      - .offset:         28
        .size:           4
        .value_kind:     by_value
    .group_segment_fixed_size: 0
    .kernarg_segment_align: 8
    .kernarg_segment_size: 32
    .language:       OpenCL C
    .language_version:
      - 2
      - 0
    .max_flat_workgroup_size: 128
    .name:           _ZN7rocprim17ROCPRIM_304000_NS6detail45device_block_merge_mergepath_partition_kernelINS1_37wrapped_merge_sort_block_merge_configINS0_14default_configElN2at4cuda3cub6detail10OpaqueTypeILi8EEEEEPljNS1_19radix_merge_compareILb0ELb0ElNS0_19identity_decomposerEEEEEvT0_T1_jPSH_T2_SH_
    .private_segment_fixed_size: 0
    .sgpr_count:     11
    .sgpr_spill_count: 0
    .symbol:         _ZN7rocprim17ROCPRIM_304000_NS6detail45device_block_merge_mergepath_partition_kernelINS1_37wrapped_merge_sort_block_merge_configINS0_14default_configElN2at4cuda3cub6detail10OpaqueTypeILi8EEEEEPljNS1_19radix_merge_compareILb0ELb0ElNS0_19identity_decomposerEEEEEvT0_T1_jPSH_T2_SH_.kd
    .uniform_work_group_size: 1
    .uses_dynamic_stack: false
    .vgpr_count:     20
    .vgpr_spill_count: 0
    .wavefront_size: 64
  - .agpr_count:     0
    .args:
      - .address_space:  global
        .offset:         0
        .size:           8
        .value_kind:     global_buffer
      - .address_space:  global
        .offset:         8
        .size:           8
        .value_kind:     global_buffer
      - .address_space:  global
        .offset:         16
        .size:           8
        .value_kind:     global_buffer
      - .address_space:  global
        .offset:         24
        .size:           8
        .value_kind:     global_buffer
      - .offset:         32
        .size:           4
        .value_kind:     by_value
      - .offset:         36
        .size:           4
        .value_kind:     by_value
      - .offset:         40
        .size:           4
        .value_kind:     by_value
      - .offset:         44
        .size:           1
        .value_kind:     by_value
      - .address_space:  global
        .offset:         48
        .size:           8
        .value_kind:     global_buffer
      - .address_space:  global
        .offset:         56
        .size:           8
        .value_kind:     global_buffer
      - .offset:         64
        .size:           4
        .value_kind:     hidden_block_count_x
      - .offset:         68
        .size:           4
        .value_kind:     hidden_block_count_y
      - .offset:         72
        .size:           4
        .value_kind:     hidden_block_count_z
      - .offset:         76
        .size:           2
        .value_kind:     hidden_group_size_x
      - .offset:         78
        .size:           2
        .value_kind:     hidden_group_size_y
      - .offset:         80
        .size:           2
        .value_kind:     hidden_group_size_z
      - .offset:         82
        .size:           2
        .value_kind:     hidden_remainder_x
      - .offset:         84
        .size:           2
        .value_kind:     hidden_remainder_y
      - .offset:         86
        .size:           2
        .value_kind:     hidden_remainder_z
      - .offset:         104
        .size:           8
        .value_kind:     hidden_global_offset_x
      - .offset:         112
        .size:           8
        .value_kind:     hidden_global_offset_y
      - .offset:         120
        .size:           8
        .value_kind:     hidden_global_offset_z
      - .offset:         128
        .size:           2
        .value_kind:     hidden_grid_dims
    .group_segment_fixed_size: 8448
    .kernarg_segment_align: 8
    .kernarg_segment_size: 320
    .language:       OpenCL C
    .language_version:
      - 2
      - 0
    .max_flat_workgroup_size: 512
    .name:           _ZN7rocprim17ROCPRIM_304000_NS6detail35device_block_merge_mergepath_kernelINS1_37wrapped_merge_sort_block_merge_configINS0_14default_configElN2at4cuda3cub6detail10OpaqueTypeILi8EEEEEPlSC_PSA_SD_jNS1_19radix_merge_compareILb0ELb0ElNS0_19identity_decomposerEEEEEvT0_T1_T2_T3_T4_SL_jT5_PKSL_NS1_7vsmem_tE
    .private_segment_fixed_size: 0
    .sgpr_count:     33
    .sgpr_spill_count: 0
    .symbol:         _ZN7rocprim17ROCPRIM_304000_NS6detail35device_block_merge_mergepath_kernelINS1_37wrapped_merge_sort_block_merge_configINS0_14default_configElN2at4cuda3cub6detail10OpaqueTypeILi8EEEEEPlSC_PSA_SD_jNS1_19radix_merge_compareILb0ELb0ElNS0_19identity_decomposerEEEEEvT0_T1_T2_T3_T4_SL_jT5_PKSL_NS1_7vsmem_tE.kd
    .uniform_work_group_size: 1
    .uses_dynamic_stack: false
    .vgpr_count:     17
    .vgpr_spill_count: 0
    .wavefront_size: 64
  - .agpr_count:     0
    .args:
      - .address_space:  global
        .offset:         0
        .size:           8
        .value_kind:     global_buffer
      - .address_space:  global
        .offset:         8
        .size:           8
        .value_kind:     global_buffer
      - .address_space:  global
        .offset:         16
        .size:           8
        .value_kind:     global_buffer
      - .address_space:  global
        .offset:         24
        .size:           8
        .value_kind:     global_buffer
      - .offset:         32
        .size:           4
        .value_kind:     by_value
      - .offset:         36
        .size:           4
        .value_kind:     by_value
      - .offset:         40
        .size:           1
        .value_kind:     by_value
    .group_segment_fixed_size: 0
    .kernarg_segment_align: 8
    .kernarg_segment_size: 44
    .language:       OpenCL C
    .language_version:
      - 2
      - 0
    .max_flat_workgroup_size: 256
    .name:           _ZN7rocprim17ROCPRIM_304000_NS6detail33device_block_merge_oddeven_kernelINS1_37wrapped_merge_sort_block_merge_configINS0_14default_configElN2at4cuda3cub6detail10OpaqueTypeILi8EEEEEPlSC_PSA_SD_jNS1_19radix_merge_compareILb0ELb0ElNS0_19identity_decomposerEEEEEvT0_T1_T2_T3_T4_SL_T5_
    .private_segment_fixed_size: 0
    .sgpr_count:     27
    .sgpr_spill_count: 0
    .symbol:         _ZN7rocprim17ROCPRIM_304000_NS6detail33device_block_merge_oddeven_kernelINS1_37wrapped_merge_sort_block_merge_configINS0_14default_configElN2at4cuda3cub6detail10OpaqueTypeILi8EEEEEPlSC_PSA_SD_jNS1_19radix_merge_compareILb0ELb0ElNS0_19identity_decomposerEEEEEvT0_T1_T2_T3_T4_SL_T5_.kd
    .uniform_work_group_size: 1
    .uses_dynamic_stack: false
    .vgpr_count:     14
    .vgpr_spill_count: 0
    .wavefront_size: 64
  - .agpr_count:     0
    .args:
      - .address_space:  global
        .offset:         0
        .size:           8
        .value_kind:     global_buffer
      - .offset:         8
        .size:           4
        .value_kind:     by_value
      - .offset:         12
        .size:           4
        .value_kind:     by_value
      - .address_space:  global
        .offset:         16
        .size:           8
        .value_kind:     global_buffer
      - .offset:         24
        .size:           8
        .value_kind:     by_value
      - .offset:         32
        .size:           4
        .value_kind:     by_value
    .group_segment_fixed_size: 0
    .kernarg_segment_align: 8
    .kernarg_segment_size: 36
    .language:       OpenCL C
    .language_version:
      - 2
      - 0
    .max_flat_workgroup_size: 128
    .name:           _ZN7rocprim17ROCPRIM_304000_NS6detail45device_block_merge_mergepath_partition_kernelINS1_37wrapped_merge_sort_block_merge_configINS0_14default_configElN2at4cuda3cub6detail10OpaqueTypeILi8EEEEEPljNS1_19radix_merge_compareILb0ELb1ElNS0_19identity_decomposerEEEEEvT0_T1_jPSH_T2_SH_
    .private_segment_fixed_size: 0
    .sgpr_count:     14
    .sgpr_spill_count: 0
    .symbol:         _ZN7rocprim17ROCPRIM_304000_NS6detail45device_block_merge_mergepath_partition_kernelINS1_37wrapped_merge_sort_block_merge_configINS0_14default_configElN2at4cuda3cub6detail10OpaqueTypeILi8EEEEEPljNS1_19radix_merge_compareILb0ELb1ElNS0_19identity_decomposerEEEEEvT0_T1_jPSH_T2_SH_.kd
    .uniform_work_group_size: 1
    .uses_dynamic_stack: false
    .vgpr_count:     16
    .vgpr_spill_count: 0
    .wavefront_size: 64
  - .agpr_count:     0
    .args:
      - .address_space:  global
        .offset:         0
        .size:           8
        .value_kind:     global_buffer
      - .address_space:  global
        .offset:         8
        .size:           8
        .value_kind:     global_buffer
      - .address_space:  global
        .offset:         16
        .size:           8
        .value_kind:     global_buffer
      - .address_space:  global
        .offset:         24
        .size:           8
        .value_kind:     global_buffer
      - .offset:         32
        .size:           4
        .value_kind:     by_value
      - .offset:         36
        .size:           4
        .value_kind:     by_value
      - .offset:         40
        .size:           4
        .value_kind:     by_value
      - .offset:         48
        .size:           8
        .value_kind:     by_value
      - .address_space:  global
        .offset:         56
        .size:           8
        .value_kind:     global_buffer
      - .address_space:  global
        .offset:         64
        .size:           8
        .value_kind:     global_buffer
      - .offset:         72
        .size:           4
        .value_kind:     hidden_block_count_x
      - .offset:         76
        .size:           4
        .value_kind:     hidden_block_count_y
      - .offset:         80
        .size:           4
        .value_kind:     hidden_block_count_z
      - .offset:         84
        .size:           2
        .value_kind:     hidden_group_size_x
      - .offset:         86
        .size:           2
        .value_kind:     hidden_group_size_y
      - .offset:         88
        .size:           2
        .value_kind:     hidden_group_size_z
      - .offset:         90
        .size:           2
        .value_kind:     hidden_remainder_x
      - .offset:         92
        .size:           2
        .value_kind:     hidden_remainder_y
      - .offset:         94
        .size:           2
        .value_kind:     hidden_remainder_z
      - .offset:         112
        .size:           8
        .value_kind:     hidden_global_offset_x
      - .offset:         120
        .size:           8
        .value_kind:     hidden_global_offset_y
      - .offset:         128
        .size:           8
        .value_kind:     hidden_global_offset_z
      - .offset:         136
        .size:           2
        .value_kind:     hidden_grid_dims
    .group_segment_fixed_size: 8448
    .kernarg_segment_align: 8
    .kernarg_segment_size: 328
    .language:       OpenCL C
    .language_version:
      - 2
      - 0
    .max_flat_workgroup_size: 512
    .name:           _ZN7rocprim17ROCPRIM_304000_NS6detail35device_block_merge_mergepath_kernelINS1_37wrapped_merge_sort_block_merge_configINS0_14default_configElN2at4cuda3cub6detail10OpaqueTypeILi8EEEEEPlSC_PSA_SD_jNS1_19radix_merge_compareILb0ELb1ElNS0_19identity_decomposerEEEEEvT0_T1_T2_T3_T4_SL_jT5_PKSL_NS1_7vsmem_tE
    .private_segment_fixed_size: 0
    .sgpr_count:     35
    .sgpr_spill_count: 0
    .symbol:         _ZN7rocprim17ROCPRIM_304000_NS6detail35device_block_merge_mergepath_kernelINS1_37wrapped_merge_sort_block_merge_configINS0_14default_configElN2at4cuda3cub6detail10OpaqueTypeILi8EEEEEPlSC_PSA_SD_jNS1_19radix_merge_compareILb0ELb1ElNS0_19identity_decomposerEEEEEvT0_T1_T2_T3_T4_SL_jT5_PKSL_NS1_7vsmem_tE.kd
    .uniform_work_group_size: 1
    .uses_dynamic_stack: false
    .vgpr_count:     17
    .vgpr_spill_count: 0
    .wavefront_size: 64
  - .agpr_count:     0
    .args:
      - .address_space:  global
        .offset:         0
        .size:           8
        .value_kind:     global_buffer
      - .address_space:  global
        .offset:         8
        .size:           8
        .value_kind:     global_buffer
      - .address_space:  global
        .offset:         16
        .size:           8
        .value_kind:     global_buffer
      - .address_space:  global
        .offset:         24
        .size:           8
        .value_kind:     global_buffer
      - .offset:         32
        .size:           4
        .value_kind:     by_value
      - .offset:         36
        .size:           4
        .value_kind:     by_value
      - .offset:         40
        .size:           8
        .value_kind:     by_value
    .group_segment_fixed_size: 0
    .kernarg_segment_align: 8
    .kernarg_segment_size: 48
    .language:       OpenCL C
    .language_version:
      - 2
      - 0
    .max_flat_workgroup_size: 256
    .name:           _ZN7rocprim17ROCPRIM_304000_NS6detail33device_block_merge_oddeven_kernelINS1_37wrapped_merge_sort_block_merge_configINS0_14default_configElN2at4cuda3cub6detail10OpaqueTypeILi8EEEEEPlSC_PSA_SD_jNS1_19radix_merge_compareILb0ELb1ElNS0_19identity_decomposerEEEEEvT0_T1_T2_T3_T4_SL_T5_
    .private_segment_fixed_size: 0
    .sgpr_count:     28
    .sgpr_spill_count: 0
    .symbol:         _ZN7rocprim17ROCPRIM_304000_NS6detail33device_block_merge_oddeven_kernelINS1_37wrapped_merge_sort_block_merge_configINS0_14default_configElN2at4cuda3cub6detail10OpaqueTypeILi8EEEEEPlSC_PSA_SD_jNS1_19radix_merge_compareILb0ELb1ElNS0_19identity_decomposerEEEEEvT0_T1_T2_T3_T4_SL_T5_.kd
    .uniform_work_group_size: 1
    .uses_dynamic_stack: false
    .vgpr_count:     16
    .vgpr_spill_count: 0
    .wavefront_size: 64
  - .agpr_count:     0
    .args:
      - .address_space:  global
        .offset:         0
        .size:           8
        .value_kind:     global_buffer
      - .address_space:  global
        .offset:         8
        .size:           8
        .value_kind:     global_buffer
      - .offset:         16
        .size:           8
        .value_kind:     by_value
      - .offset:         24
        .size:           8
        .value_kind:     by_value
      - .offset:         32
        .size:           1
        .value_kind:     by_value
      - .offset:         36
        .size:           4
        .value_kind:     by_value
      - .offset:         40
        .size:           4
        .value_kind:     by_value
    .group_segment_fixed_size: 32768
    .kernarg_segment_align: 8
    .kernarg_segment_size: 44
    .language:       OpenCL C
    .language_version:
      - 2
      - 0
    .max_flat_workgroup_size: 1024
    .name:           _ZN7rocprim17ROCPRIM_304000_NS6detail26onesweep_histograms_kernelINS1_34wrapped_radix_sort_onesweep_configINS0_14default_configElN2at4cuda3cub6detail10OpaqueTypeILi8EEEEELb0EPKlmNS0_19identity_decomposerEEEvT1_PT2_SG_SG_T3_jj
    .private_segment_fixed_size: 0
    .sgpr_count:     30
    .sgpr_spill_count: 0
    .symbol:         _ZN7rocprim17ROCPRIM_304000_NS6detail26onesweep_histograms_kernelINS1_34wrapped_radix_sort_onesweep_configINS0_14default_configElN2at4cuda3cub6detail10OpaqueTypeILi8EEEEELb0EPKlmNS0_19identity_decomposerEEEvT1_PT2_SG_SG_T3_jj.kd
    .uniform_work_group_size: 1
    .uses_dynamic_stack: false
    .vgpr_count:     25
    .vgpr_spill_count: 0
    .wavefront_size: 64
  - .agpr_count:     0
    .args:
      - .address_space:  global
        .offset:         0
        .size:           8
        .value_kind:     global_buffer
      - .address_space:  global
        .offset:         8
        .size:           8
        .value_kind:     global_buffer
      - .address_space:  global
        .offset:         16
        .size:           8
        .value_kind:     global_buffer
      - .address_space:  global
        .offset:         24
        .size:           8
        .value_kind:     global_buffer
      - .offset:         32
        .size:           4
        .value_kind:     by_value
      - .address_space:  global
        .offset:         40
        .size:           8
        .value_kind:     global_buffer
      - .address_space:  global
        .offset:         48
        .size:           8
        .value_kind:     global_buffer
      - .address_space:  global
        .offset:         56
        .size:           8
        .value_kind:     global_buffer
      - .offset:         64
        .size:           1
        .value_kind:     by_value
      - .offset:         68
        .size:           4
        .value_kind:     by_value
      - .offset:         72
        .size:           4
        .value_kind:     by_value
      - .offset:         76
        .size:           4
        .value_kind:     by_value
      - .offset:         80
        .size:           4
        .value_kind:     hidden_block_count_x
      - .offset:         84
        .size:           4
        .value_kind:     hidden_block_count_y
      - .offset:         88
        .size:           4
        .value_kind:     hidden_block_count_z
      - .offset:         92
        .size:           2
        .value_kind:     hidden_group_size_x
      - .offset:         94
        .size:           2
        .value_kind:     hidden_group_size_y
      - .offset:         96
        .size:           2
        .value_kind:     hidden_group_size_z
      - .offset:         98
        .size:           2
        .value_kind:     hidden_remainder_x
      - .offset:         100
        .size:           2
        .value_kind:     hidden_remainder_y
      - .offset:         102
        .size:           2
        .value_kind:     hidden_remainder_z
      - .offset:         120
        .size:           8
        .value_kind:     hidden_global_offset_x
      - .offset:         128
        .size:           8
        .value_kind:     hidden_global_offset_y
      - .offset:         136
        .size:           8
        .value_kind:     hidden_global_offset_z
      - .offset:         144
        .size:           2
        .value_kind:     hidden_grid_dims
    .group_segment_fixed_size: 51200
    .kernarg_segment_align: 8
    .kernarg_segment_size: 336
    .language:       OpenCL C
    .language_version:
      - 2
      - 0
    .max_flat_workgroup_size: 1024
    .name:           _ZN7rocprim17ROCPRIM_304000_NS6detail25onesweep_iteration_kernelINS1_34wrapped_radix_sort_onesweep_configINS0_14default_configElN2at4cuda3cub6detail10OpaqueTypeILi8EEEEELb0EPKlPlPKSA_PSA_mNS0_19identity_decomposerEEEvT1_T2_T3_T4_jPT5_SO_PNS1_23onesweep_lookback_stateET6_jjj
    .private_segment_fixed_size: 0
    .sgpr_count:     58
    .sgpr_spill_count: 0
    .symbol:         _ZN7rocprim17ROCPRIM_304000_NS6detail25onesweep_iteration_kernelINS1_34wrapped_radix_sort_onesweep_configINS0_14default_configElN2at4cuda3cub6detail10OpaqueTypeILi8EEEEELb0EPKlPlPKSA_PSA_mNS0_19identity_decomposerEEEvT1_T2_T3_T4_jPT5_SO_PNS1_23onesweep_lookback_stateET6_jjj.kd
    .uniform_work_group_size: 1
    .uses_dynamic_stack: false
    .vgpr_count:     48
    .vgpr_spill_count: 0
    .wavefront_size: 64
  - .agpr_count:     0
    .args:
      - .address_space:  global
        .offset:         0
        .size:           8
        .value_kind:     global_buffer
      - .address_space:  global
        .offset:         8
        .size:           8
        .value_kind:     global_buffer
      - .address_space:  global
        .offset:         16
        .size:           8
        .value_kind:     global_buffer
      - .address_space:  global
        .offset:         24
        .size:           8
        .value_kind:     global_buffer
      - .offset:         32
        .size:           4
        .value_kind:     by_value
      - .address_space:  global
        .offset:         40
        .size:           8
        .value_kind:     global_buffer
      - .address_space:  global
        .offset:         48
        .size:           8
        .value_kind:     global_buffer
      - .address_space:  global
        .offset:         56
        .size:           8
        .value_kind:     global_buffer
      - .offset:         64
        .size:           1
        .value_kind:     by_value
      - .offset:         68
        .size:           4
        .value_kind:     by_value
      - .offset:         72
        .size:           4
        .value_kind:     by_value
      - .offset:         76
        .size:           4
        .value_kind:     by_value
      - .offset:         80
        .size:           4
        .value_kind:     hidden_block_count_x
      - .offset:         84
        .size:           4
        .value_kind:     hidden_block_count_y
      - .offset:         88
        .size:           4
        .value_kind:     hidden_block_count_z
      - .offset:         92
        .size:           2
        .value_kind:     hidden_group_size_x
      - .offset:         94
        .size:           2
        .value_kind:     hidden_group_size_y
      - .offset:         96
        .size:           2
        .value_kind:     hidden_group_size_z
      - .offset:         98
        .size:           2
        .value_kind:     hidden_remainder_x
      - .offset:         100
        .size:           2
        .value_kind:     hidden_remainder_y
      - .offset:         102
        .size:           2
        .value_kind:     hidden_remainder_z
      - .offset:         120
        .size:           8
        .value_kind:     hidden_global_offset_x
      - .offset:         128
        .size:           8
        .value_kind:     hidden_global_offset_y
      - .offset:         136
        .size:           8
        .value_kind:     hidden_global_offset_z
      - .offset:         144
        .size:           2
        .value_kind:     hidden_grid_dims
    .group_segment_fixed_size: 51200
    .kernarg_segment_align: 8
    .kernarg_segment_size: 336
    .language:       OpenCL C
    .language_version:
      - 2
      - 0
    .max_flat_workgroup_size: 1024
    .name:           _ZN7rocprim17ROCPRIM_304000_NS6detail25onesweep_iteration_kernelINS1_34wrapped_radix_sort_onesweep_configINS0_14default_configElN2at4cuda3cub6detail10OpaqueTypeILi8EEEEELb0EPlSC_PSA_SD_mNS0_19identity_decomposerEEEvT1_T2_T3_T4_jPT5_SK_PNS1_23onesweep_lookback_stateET6_jjj
    .private_segment_fixed_size: 0
    .sgpr_count:     58
    .sgpr_spill_count: 0
    .symbol:         _ZN7rocprim17ROCPRIM_304000_NS6detail25onesweep_iteration_kernelINS1_34wrapped_radix_sort_onesweep_configINS0_14default_configElN2at4cuda3cub6detail10OpaqueTypeILi8EEEEELb0EPlSC_PSA_SD_mNS0_19identity_decomposerEEEvT1_T2_T3_T4_jPT5_SK_PNS1_23onesweep_lookback_stateET6_jjj.kd
    .uniform_work_group_size: 1
    .uses_dynamic_stack: false
    .vgpr_count:     48
    .vgpr_spill_count: 0
    .wavefront_size: 64
  - .agpr_count:     0
    .args:
      - .address_space:  global
        .offset:         0
        .size:           8
        .value_kind:     global_buffer
      - .address_space:  global
        .offset:         8
        .size:           8
        .value_kind:     global_buffer
      - .address_space:  global
        .offset:         16
        .size:           8
        .value_kind:     global_buffer
      - .address_space:  global
        .offset:         24
        .size:           8
        .value_kind:     global_buffer
      - .offset:         32
        .size:           4
        .value_kind:     by_value
      - .offset:         36
        .size:           1
        .value_kind:     by_value
      - .offset:         40
        .size:           4
        .value_kind:     by_value
      - .offset:         44
        .size:           4
        .value_kind:     by_value
      - .offset:         48
        .size:           4
        .value_kind:     hidden_block_count_x
      - .offset:         52
        .size:           4
        .value_kind:     hidden_block_count_y
      - .offset:         56
        .size:           4
        .value_kind:     hidden_block_count_z
      - .offset:         60
        .size:           2
        .value_kind:     hidden_group_size_x
      - .offset:         62
        .size:           2
        .value_kind:     hidden_group_size_y
      - .offset:         64
        .size:           2
        .value_kind:     hidden_group_size_z
      - .offset:         66
        .size:           2
        .value_kind:     hidden_remainder_x
      - .offset:         68
        .size:           2
        .value_kind:     hidden_remainder_y
      - .offset:         70
        .size:           2
        .value_kind:     hidden_remainder_z
      - .offset:         88
        .size:           8
        .value_kind:     hidden_global_offset_x
      - .offset:         96
        .size:           8
        .value_kind:     hidden_global_offset_y
      - .offset:         104
        .size:           8
        .value_kind:     hidden_global_offset_z
      - .offset:         112
        .size:           2
        .value_kind:     hidden_grid_dims
    .group_segment_fixed_size: 8192
    .kernarg_segment_align: 8
    .kernarg_segment_size: 304
    .language:       OpenCL C
    .language_version:
      - 2
      - 0
    .max_flat_workgroup_size: 256
    .name:           _ZN7rocprim17ROCPRIM_304000_NS6detail28radix_sort_block_sort_kernelINS1_36wrapped_radix_sort_block_sort_configINS0_13kernel_configILj256ELj4ELj4294967295EEEfN2at4cuda3cub6detail10OpaqueTypeILi8EEEEELb1EPKfPfPKSB_PSB_NS0_19identity_decomposerEEEvT1_T2_T3_T4_jT5_jj
    .private_segment_fixed_size: 0
    .sgpr_count:     52
    .sgpr_spill_count: 0
    .symbol:         _ZN7rocprim17ROCPRIM_304000_NS6detail28radix_sort_block_sort_kernelINS1_36wrapped_radix_sort_block_sort_configINS0_13kernel_configILj256ELj4ELj4294967295EEEfN2at4cuda3cub6detail10OpaqueTypeILi8EEEEELb1EPKfPfPKSB_PSB_NS0_19identity_decomposerEEEvT1_T2_T3_T4_jT5_jj.kd
    .uniform_work_group_size: 1
    .uses_dynamic_stack: false
    .vgpr_count:     54
    .vgpr_spill_count: 0
    .wavefront_size: 64
  - .agpr_count:     0
    .args:           []
    .group_segment_fixed_size: 0
    .kernarg_segment_align: 4
    .kernarg_segment_size: 0
    .language:       OpenCL C
    .language_version:
      - 2
      - 0
    .max_flat_workgroup_size: 1024
    .name:           _ZN7rocprim17ROCPRIM_304000_NS6detail39device_merge_sort_compile_time_verifierINS1_36wrapped_merge_sort_block_sort_configINS1_28merge_sort_block_sort_configILj256ELj4ELNS0_20block_sort_algorithmE0EEEfN2at4cuda3cub6detail10OpaqueTypeILi8EEEEENS1_37wrapped_merge_sort_block_merge_configINS0_14default_configEfSC_EEEEvv
    .private_segment_fixed_size: 0
    .sgpr_count:     4
    .sgpr_spill_count: 0
    .symbol:         _ZN7rocprim17ROCPRIM_304000_NS6detail39device_merge_sort_compile_time_verifierINS1_36wrapped_merge_sort_block_sort_configINS1_28merge_sort_block_sort_configILj256ELj4ELNS0_20block_sort_algorithmE0EEEfN2at4cuda3cub6detail10OpaqueTypeILi8EEEEENS1_37wrapped_merge_sort_block_merge_configINS0_14default_configEfSC_EEEEvv.kd
    .uniform_work_group_size: 1
    .uses_dynamic_stack: false
    .vgpr_count:     0
    .vgpr_spill_count: 0
    .wavefront_size: 64
  - .agpr_count:     0
    .args:
      - .address_space:  global
        .offset:         0
        .size:           8
        .value_kind:     global_buffer
      - .offset:         8
        .size:           4
        .value_kind:     by_value
      - .offset:         12
        .size:           4
        .value_kind:     by_value
      - .address_space:  global
        .offset:         16
        .size:           8
        .value_kind:     global_buffer
      - .offset:         24
        .size:           1
        .value_kind:     by_value
      - .offset:         28
        .size:           4
        .value_kind:     by_value
    .group_segment_fixed_size: 0
    .kernarg_segment_align: 8
    .kernarg_segment_size: 32
    .language:       OpenCL C
    .language_version:
      - 2
      - 0
    .max_flat_workgroup_size: 128
    .name:           _ZN7rocprim17ROCPRIM_304000_NS6detail45device_block_merge_mergepath_partition_kernelINS1_37wrapped_merge_sort_block_merge_configINS0_14default_configEfN2at4cuda3cub6detail10OpaqueTypeILi8EEEEEPfjNS1_19radix_merge_compareILb1ELb0EfNS0_19identity_decomposerEEEEEvT0_T1_jPSH_T2_SH_
    .private_segment_fixed_size: 0
    .sgpr_count:     11
    .sgpr_spill_count: 0
    .symbol:         _ZN7rocprim17ROCPRIM_304000_NS6detail45device_block_merge_mergepath_partition_kernelINS1_37wrapped_merge_sort_block_merge_configINS0_14default_configEfN2at4cuda3cub6detail10OpaqueTypeILi8EEEEEPfjNS1_19radix_merge_compareILb1ELb0EfNS0_19identity_decomposerEEEEEvT0_T1_jPSH_T2_SH_.kd
    .uniform_work_group_size: 1
    .uses_dynamic_stack: false
    .vgpr_count:     17
    .vgpr_spill_count: 0
    .wavefront_size: 64
  - .agpr_count:     0
    .args:
      - .address_space:  global
        .offset:         0
        .size:           8
        .value_kind:     global_buffer
      - .address_space:  global
        .offset:         8
        .size:           8
        .value_kind:     global_buffer
      - .address_space:  global
        .offset:         16
        .size:           8
        .value_kind:     global_buffer
      - .address_space:  global
        .offset:         24
        .size:           8
        .value_kind:     global_buffer
      - .offset:         32
        .size:           4
        .value_kind:     by_value
      - .offset:         36
        .size:           4
        .value_kind:     by_value
      - .offset:         40
        .size:           4
        .value_kind:     by_value
      - .offset:         44
        .size:           1
        .value_kind:     by_value
      - .address_space:  global
        .offset:         48
        .size:           8
        .value_kind:     global_buffer
      - .address_space:  global
        .offset:         56
        .size:           8
        .value_kind:     global_buffer
      - .offset:         64
        .size:           4
        .value_kind:     hidden_block_count_x
      - .offset:         68
        .size:           4
        .value_kind:     hidden_block_count_y
      - .offset:         72
        .size:           4
        .value_kind:     hidden_block_count_z
      - .offset:         76
        .size:           2
        .value_kind:     hidden_group_size_x
      - .offset:         78
        .size:           2
        .value_kind:     hidden_group_size_y
      - .offset:         80
        .size:           2
        .value_kind:     hidden_group_size_z
      - .offset:         82
        .size:           2
        .value_kind:     hidden_remainder_x
      - .offset:         84
        .size:           2
        .value_kind:     hidden_remainder_y
      - .offset:         86
        .size:           2
        .value_kind:     hidden_remainder_z
      - .offset:         104
        .size:           8
        .value_kind:     hidden_global_offset_x
      - .offset:         112
        .size:           8
        .value_kind:     hidden_global_offset_y
      - .offset:         120
        .size:           8
        .value_kind:     hidden_global_offset_z
      - .offset:         128
        .size:           2
        .value_kind:     hidden_grid_dims
    .group_segment_fixed_size: 8208
    .kernarg_segment_align: 8
    .kernarg_segment_size: 320
    .language:       OpenCL C
    .language_version:
      - 2
      - 0
    .max_flat_workgroup_size: 256
    .name:           _ZN7rocprim17ROCPRIM_304000_NS6detail35device_block_merge_mergepath_kernelINS1_37wrapped_merge_sort_block_merge_configINS0_14default_configEfN2at4cuda3cub6detail10OpaqueTypeILi8EEEEEPfSC_PSA_SD_jNS1_19radix_merge_compareILb1ELb0EfNS0_19identity_decomposerEEEEEvT0_T1_T2_T3_T4_SL_jT5_PKSL_NS1_7vsmem_tE
    .private_segment_fixed_size: 0
    .sgpr_count:     35
    .sgpr_spill_count: 0
    .symbol:         _ZN7rocprim17ROCPRIM_304000_NS6detail35device_block_merge_mergepath_kernelINS1_37wrapped_merge_sort_block_merge_configINS0_14default_configEfN2at4cuda3cub6detail10OpaqueTypeILi8EEEEEPfSC_PSA_SD_jNS1_19radix_merge_compareILb1ELb0EfNS0_19identity_decomposerEEEEEvT0_T1_T2_T3_T4_SL_jT5_PKSL_NS1_7vsmem_tE.kd
    .uniform_work_group_size: 1
    .uses_dynamic_stack: false
    .vgpr_count:     24
    .vgpr_spill_count: 0
    .wavefront_size: 64
  - .agpr_count:     0
    .args:
      - .address_space:  global
        .offset:         0
        .size:           8
        .value_kind:     global_buffer
      - .address_space:  global
        .offset:         8
        .size:           8
        .value_kind:     global_buffer
      - .address_space:  global
        .offset:         16
        .size:           8
        .value_kind:     global_buffer
      - .address_space:  global
        .offset:         24
        .size:           8
        .value_kind:     global_buffer
      - .offset:         32
        .size:           4
        .value_kind:     by_value
      - .offset:         36
        .size:           4
        .value_kind:     by_value
      - .offset:         40
        .size:           1
        .value_kind:     by_value
    .group_segment_fixed_size: 0
    .kernarg_segment_align: 8
    .kernarg_segment_size: 44
    .language:       OpenCL C
    .language_version:
      - 2
      - 0
    .max_flat_workgroup_size: 256
    .name:           _ZN7rocprim17ROCPRIM_304000_NS6detail33device_block_merge_oddeven_kernelINS1_37wrapped_merge_sort_block_merge_configINS0_14default_configEfN2at4cuda3cub6detail10OpaqueTypeILi8EEEEEPfSC_PSA_SD_jNS1_19radix_merge_compareILb1ELb0EfNS0_19identity_decomposerEEEEEvT0_T1_T2_T3_T4_SL_T5_
    .private_segment_fixed_size: 0
    .sgpr_count:     27
    .sgpr_spill_count: 0
    .symbol:         _ZN7rocprim17ROCPRIM_304000_NS6detail33device_block_merge_oddeven_kernelINS1_37wrapped_merge_sort_block_merge_configINS0_14default_configEfN2at4cuda3cub6detail10OpaqueTypeILi8EEEEEPfSC_PSA_SD_jNS1_19radix_merge_compareILb1ELb0EfNS0_19identity_decomposerEEEEEvT0_T1_T2_T3_T4_SL_T5_.kd
    .uniform_work_group_size: 1
    .uses_dynamic_stack: false
    .vgpr_count:     14
    .vgpr_spill_count: 0
    .wavefront_size: 64
  - .agpr_count:     0
    .args:
      - .address_space:  global
        .offset:         0
        .size:           8
        .value_kind:     global_buffer
      - .offset:         8
        .size:           8
        .value_kind:     by_value
      - .address_space:  global
        .offset:         16
        .size:           8
        .value_kind:     global_buffer
      - .offset:         24
        .size:           1
        .value_kind:     by_value
      - .offset:         32
        .size:           4
        .value_kind:     hidden_block_count_x
      - .offset:         36
        .size:           4
        .value_kind:     hidden_block_count_y
      - .offset:         40
        .size:           4
        .value_kind:     hidden_block_count_z
      - .offset:         44
        .size:           2
        .value_kind:     hidden_group_size_x
      - .offset:         46
        .size:           2
        .value_kind:     hidden_group_size_y
      - .offset:         48
        .size:           2
        .value_kind:     hidden_group_size_z
      - .offset:         50
        .size:           2
        .value_kind:     hidden_remainder_x
      - .offset:         52
        .size:           2
        .value_kind:     hidden_remainder_y
      - .offset:         54
        .size:           2
        .value_kind:     hidden_remainder_z
      - .offset:         72
        .size:           8
        .value_kind:     hidden_global_offset_x
      - .offset:         80
        .size:           8
        .value_kind:     hidden_global_offset_y
      - .offset:         88
        .size:           8
        .value_kind:     hidden_global_offset_z
      - .offset:         96
        .size:           2
        .value_kind:     hidden_grid_dims
    .group_segment_fixed_size: 0
    .kernarg_segment_align: 8
    .kernarg_segment_size: 288
    .language:       OpenCL C
    .language_version:
      - 2
      - 0
    .max_flat_workgroup_size: 1024
    .name:           _ZN7rocprim17ROCPRIM_304000_NS6detail16transform_kernelINS1_24wrapped_transform_configINS0_14default_configEfEEfPfS6_NS0_8identityIfEEEEvT1_mT2_T3_
    .private_segment_fixed_size: 0
    .sgpr_count:     16
    .sgpr_spill_count: 0
    .symbol:         _ZN7rocprim17ROCPRIM_304000_NS6detail16transform_kernelINS1_24wrapped_transform_configINS0_14default_configEfEEfPfS6_NS0_8identityIfEEEEvT1_mT2_T3_.kd
    .uniform_work_group_size: 1
    .uses_dynamic_stack: false
    .vgpr_count:     7
    .vgpr_spill_count: 0
    .wavefront_size: 64
  - .agpr_count:     0
    .args:
      - .address_space:  global
        .offset:         0
        .size:           8
        .value_kind:     global_buffer
      - .address_space:  global
        .offset:         8
        .size:           8
        .value_kind:     global_buffer
      - .offset:         16
        .size:           8
        .value_kind:     by_value
      - .offset:         24
        .size:           8
        .value_kind:     by_value
      - .offset:         32
        .size:           1
        .value_kind:     by_value
      - .offset:         36
        .size:           4
        .value_kind:     by_value
      - .offset:         40
        .size:           4
        .value_kind:     by_value
    .group_segment_fixed_size: 16384
    .kernarg_segment_align: 8
    .kernarg_segment_size: 44
    .language:       OpenCL C
    .language_version:
      - 2
      - 0
    .max_flat_workgroup_size: 512
    .name:           _ZN7rocprim17ROCPRIM_304000_NS6detail26onesweep_histograms_kernelINS1_34wrapped_radix_sort_onesweep_configINS0_14default_configEfN2at4cuda3cub6detail10OpaqueTypeILi8EEEEELb1EPKfmNS0_19identity_decomposerEEEvT1_PT2_SG_SG_T3_jj
    .private_segment_fixed_size: 0
    .sgpr_count:     30
    .sgpr_spill_count: 0
    .symbol:         _ZN7rocprim17ROCPRIM_304000_NS6detail26onesweep_histograms_kernelINS1_34wrapped_radix_sort_onesweep_configINS0_14default_configEfN2at4cuda3cub6detail10OpaqueTypeILi8EEEEELb1EPKfmNS0_19identity_decomposerEEEvT1_PT2_SG_SG_T3_jj.kd
    .uniform_work_group_size: 1
    .uses_dynamic_stack: false
    .vgpr_count:     18
    .vgpr_spill_count: 0
    .wavefront_size: 64
  - .agpr_count:     0
    .args:
      - .address_space:  global
        .offset:         0
        .size:           8
        .value_kind:     global_buffer
    .group_segment_fixed_size: 64
    .kernarg_segment_align: 8
    .kernarg_segment_size: 8
    .language:       OpenCL C
    .language_version:
      - 2
      - 0
    .max_flat_workgroup_size: 512
    .name:           _ZN7rocprim17ROCPRIM_304000_NS6detail31onesweep_scan_histograms_kernelINS1_34wrapped_radix_sort_onesweep_configINS0_14default_configEfN2at4cuda3cub6detail10OpaqueTypeILi8EEEEEmEEvPT0_
    .private_segment_fixed_size: 0
    .sgpr_count:     14
    .sgpr_spill_count: 0
    .symbol:         _ZN7rocprim17ROCPRIM_304000_NS6detail31onesweep_scan_histograms_kernelINS1_34wrapped_radix_sort_onesweep_configINS0_14default_configEfN2at4cuda3cub6detail10OpaqueTypeILi8EEEEEmEEvPT0_.kd
    .uniform_work_group_size: 1
    .uses_dynamic_stack: false
    .vgpr_count:     14
    .vgpr_spill_count: 0
    .wavefront_size: 64
  - .agpr_count:     0
    .args:
      - .address_space:  global
        .offset:         0
        .size:           8
        .value_kind:     global_buffer
      - .offset:         8
        .size:           8
        .value_kind:     by_value
      - .address_space:  global
        .offset:         16
        .size:           8
        .value_kind:     global_buffer
      - .offset:         24
        .size:           1
        .value_kind:     by_value
      - .offset:         32
        .size:           4
        .value_kind:     hidden_block_count_x
      - .offset:         36
        .size:           4
        .value_kind:     hidden_block_count_y
      - .offset:         40
        .size:           4
        .value_kind:     hidden_block_count_z
      - .offset:         44
        .size:           2
        .value_kind:     hidden_group_size_x
      - .offset:         46
        .size:           2
        .value_kind:     hidden_group_size_y
      - .offset:         48
        .size:           2
        .value_kind:     hidden_group_size_z
      - .offset:         50
        .size:           2
        .value_kind:     hidden_remainder_x
      - .offset:         52
        .size:           2
        .value_kind:     hidden_remainder_y
      - .offset:         54
        .size:           2
        .value_kind:     hidden_remainder_z
      - .offset:         72
        .size:           8
        .value_kind:     hidden_global_offset_x
      - .offset:         80
        .size:           8
        .value_kind:     hidden_global_offset_y
      - .offset:         88
        .size:           8
        .value_kind:     hidden_global_offset_z
      - .offset:         96
        .size:           2
        .value_kind:     hidden_grid_dims
    .group_segment_fixed_size: 0
    .kernarg_segment_align: 8
    .kernarg_segment_size: 288
    .language:       OpenCL C
    .language_version:
      - 2
      - 0
    .max_flat_workgroup_size: 1024
    .name:           _ZN7rocprim17ROCPRIM_304000_NS6detail16transform_kernelINS1_24wrapped_transform_configINS0_14default_configEfEEfPKfPfNS0_8identityIfEEEEvT1_mT2_T3_
    .private_segment_fixed_size: 0
    .sgpr_count:     16
    .sgpr_spill_count: 0
    .symbol:         _ZN7rocprim17ROCPRIM_304000_NS6detail16transform_kernelINS1_24wrapped_transform_configINS0_14default_configEfEEfPKfPfNS0_8identityIfEEEEvT1_mT2_T3_.kd
    .uniform_work_group_size: 1
    .uses_dynamic_stack: false
    .vgpr_count:     7
    .vgpr_spill_count: 0
    .wavefront_size: 64
  - .agpr_count:     0
    .args:
      - .address_space:  global
        .offset:         0
        .size:           8
        .value_kind:     global_buffer
      - .address_space:  global
        .offset:         8
        .size:           8
        .value_kind:     global_buffer
      - .address_space:  global
        .offset:         16
        .size:           8
        .value_kind:     global_buffer
      - .address_space:  global
        .offset:         24
        .size:           8
        .value_kind:     global_buffer
      - .offset:         32
        .size:           4
        .value_kind:     by_value
      - .address_space:  global
        .offset:         40
        .size:           8
        .value_kind:     global_buffer
      - .address_space:  global
        .offset:         48
        .size:           8
        .value_kind:     global_buffer
      - .address_space:  global
        .offset:         56
        .size:           8
        .value_kind:     global_buffer
      - .offset:         64
        .size:           1
        .value_kind:     by_value
      - .offset:         68
        .size:           4
        .value_kind:     by_value
      - .offset:         72
        .size:           4
        .value_kind:     by_value
      - .offset:         76
        .size:           4
        .value_kind:     by_value
      - .offset:         80
        .size:           4
        .value_kind:     hidden_block_count_x
      - .offset:         84
        .size:           4
        .value_kind:     hidden_block_count_y
      - .offset:         88
        .size:           4
        .value_kind:     hidden_block_count_z
      - .offset:         92
        .size:           2
        .value_kind:     hidden_group_size_x
      - .offset:         94
        .size:           2
        .value_kind:     hidden_group_size_y
      - .offset:         96
        .size:           2
        .value_kind:     hidden_group_size_z
      - .offset:         98
        .size:           2
        .value_kind:     hidden_remainder_x
      - .offset:         100
        .size:           2
        .value_kind:     hidden_remainder_y
      - .offset:         102
        .size:           2
        .value_kind:     hidden_remainder_z
      - .offset:         120
        .size:           8
        .value_kind:     hidden_global_offset_x
      - .offset:         128
        .size:           8
        .value_kind:     hidden_global_offset_y
      - .offset:         136
        .size:           8
        .value_kind:     hidden_global_offset_z
      - .offset:         144
        .size:           2
        .value_kind:     hidden_grid_dims
    .group_segment_fixed_size: 26624
    .kernarg_segment_align: 8
    .kernarg_segment_size: 336
    .language:       OpenCL C
    .language_version:
      - 2
      - 0
    .max_flat_workgroup_size: 512
    .name:           _ZN7rocprim17ROCPRIM_304000_NS6detail25onesweep_iteration_kernelINS1_34wrapped_radix_sort_onesweep_configINS0_14default_configEfN2at4cuda3cub6detail10OpaqueTypeILi8EEEEELb1EPKfPfPKSA_PSA_mNS0_19identity_decomposerEEEvT1_T2_T3_T4_jPT5_SO_PNS1_23onesweep_lookback_stateET6_jjj
    .private_segment_fixed_size: 0
    .sgpr_count:     56
    .sgpr_spill_count: 0
    .symbol:         _ZN7rocprim17ROCPRIM_304000_NS6detail25onesweep_iteration_kernelINS1_34wrapped_radix_sort_onesweep_configINS0_14default_configEfN2at4cuda3cub6detail10OpaqueTypeILi8EEEEELb1EPKfPfPKSA_PSA_mNS0_19identity_decomposerEEEvT1_T2_T3_T4_jPT5_SO_PNS1_23onesweep_lookback_stateET6_jjj.kd
    .uniform_work_group_size: 1
    .uses_dynamic_stack: false
    .vgpr_count:     46
    .vgpr_spill_count: 0
    .wavefront_size: 64
  - .agpr_count:     0
    .args:
      - .address_space:  global
        .offset:         0
        .size:           8
        .value_kind:     global_buffer
      - .address_space:  global
        .offset:         8
        .size:           8
        .value_kind:     global_buffer
      - .address_space:  global
        .offset:         16
        .size:           8
        .value_kind:     global_buffer
      - .address_space:  global
        .offset:         24
        .size:           8
        .value_kind:     global_buffer
      - .offset:         32
        .size:           4
        .value_kind:     by_value
      - .address_space:  global
        .offset:         40
        .size:           8
        .value_kind:     global_buffer
      - .address_space:  global
        .offset:         48
        .size:           8
        .value_kind:     global_buffer
      - .address_space:  global
        .offset:         56
        .size:           8
        .value_kind:     global_buffer
      - .offset:         64
        .size:           1
        .value_kind:     by_value
      - .offset:         68
        .size:           4
        .value_kind:     by_value
      - .offset:         72
        .size:           4
        .value_kind:     by_value
      - .offset:         76
        .size:           4
        .value_kind:     by_value
      - .offset:         80
        .size:           4
        .value_kind:     hidden_block_count_x
      - .offset:         84
        .size:           4
        .value_kind:     hidden_block_count_y
      - .offset:         88
        .size:           4
        .value_kind:     hidden_block_count_z
      - .offset:         92
        .size:           2
        .value_kind:     hidden_group_size_x
      - .offset:         94
        .size:           2
        .value_kind:     hidden_group_size_y
      - .offset:         96
        .size:           2
        .value_kind:     hidden_group_size_z
      - .offset:         98
        .size:           2
        .value_kind:     hidden_remainder_x
      - .offset:         100
        .size:           2
        .value_kind:     hidden_remainder_y
      - .offset:         102
        .size:           2
        .value_kind:     hidden_remainder_z
      - .offset:         120
        .size:           8
        .value_kind:     hidden_global_offset_x
      - .offset:         128
        .size:           8
        .value_kind:     hidden_global_offset_y
      - .offset:         136
        .size:           8
        .value_kind:     hidden_global_offset_z
      - .offset:         144
        .size:           2
        .value_kind:     hidden_grid_dims
    .group_segment_fixed_size: 26624
    .kernarg_segment_align: 8
    .kernarg_segment_size: 336
    .language:       OpenCL C
    .language_version:
      - 2
      - 0
    .max_flat_workgroup_size: 512
    .name:           _ZN7rocprim17ROCPRIM_304000_NS6detail25onesweep_iteration_kernelINS1_34wrapped_radix_sort_onesweep_configINS0_14default_configEfN2at4cuda3cub6detail10OpaqueTypeILi8EEEEELb1EPfSC_PSA_SD_mNS0_19identity_decomposerEEEvT1_T2_T3_T4_jPT5_SK_PNS1_23onesweep_lookback_stateET6_jjj
    .private_segment_fixed_size: 0
    .sgpr_count:     56
    .sgpr_spill_count: 0
    .symbol:         _ZN7rocprim17ROCPRIM_304000_NS6detail25onesweep_iteration_kernelINS1_34wrapped_radix_sort_onesweep_configINS0_14default_configEfN2at4cuda3cub6detail10OpaqueTypeILi8EEEEELb1EPfSC_PSA_SD_mNS0_19identity_decomposerEEEvT1_T2_T3_T4_jPT5_SK_PNS1_23onesweep_lookback_stateET6_jjj.kd
    .uniform_work_group_size: 1
    .uses_dynamic_stack: false
    .vgpr_count:     46
    .vgpr_spill_count: 0
    .wavefront_size: 64
  - .agpr_count:     0
    .args:
      - .address_space:  global
        .offset:         0
        .size:           8
        .value_kind:     global_buffer
      - .address_space:  global
        .offset:         8
        .size:           8
        .value_kind:     global_buffer
      - .address_space:  global
        .offset:         16
        .size:           8
        .value_kind:     global_buffer
      - .address_space:  global
        .offset:         24
        .size:           8
        .value_kind:     global_buffer
      - .offset:         32
        .size:           4
        .value_kind:     by_value
      - .offset:         36
        .size:           1
        .value_kind:     by_value
      - .offset:         40
        .size:           4
        .value_kind:     by_value
      - .offset:         44
        .size:           4
        .value_kind:     by_value
      - .offset:         48
        .size:           4
        .value_kind:     hidden_block_count_x
      - .offset:         52
        .size:           4
        .value_kind:     hidden_block_count_y
      - .offset:         56
        .size:           4
        .value_kind:     hidden_block_count_z
      - .offset:         60
        .size:           2
        .value_kind:     hidden_group_size_x
      - .offset:         62
        .size:           2
        .value_kind:     hidden_group_size_y
      - .offset:         64
        .size:           2
        .value_kind:     hidden_group_size_z
      - .offset:         66
        .size:           2
        .value_kind:     hidden_remainder_x
      - .offset:         68
        .size:           2
        .value_kind:     hidden_remainder_y
      - .offset:         70
        .size:           2
        .value_kind:     hidden_remainder_z
      - .offset:         88
        .size:           8
        .value_kind:     hidden_global_offset_x
      - .offset:         96
        .size:           8
        .value_kind:     hidden_global_offset_y
      - .offset:         104
        .size:           8
        .value_kind:     hidden_global_offset_z
      - .offset:         112
        .size:           2
        .value_kind:     hidden_grid_dims
    .group_segment_fixed_size: 8192
    .kernarg_segment_align: 8
    .kernarg_segment_size: 304
    .language:       OpenCL C
    .language_version:
      - 2
      - 0
    .max_flat_workgroup_size: 256
    .name:           _ZN7rocprim17ROCPRIM_304000_NS6detail28radix_sort_block_sort_kernelINS1_36wrapped_radix_sort_block_sort_configINS0_13kernel_configILj256ELj4ELj4294967295EEEfN2at4cuda3cub6detail10OpaqueTypeILi8EEEEELb0EPKfPfPKSB_PSB_NS0_19identity_decomposerEEEvT1_T2_T3_T4_jT5_jj
    .private_segment_fixed_size: 0
    .sgpr_count:     52
    .sgpr_spill_count: 0
    .symbol:         _ZN7rocprim17ROCPRIM_304000_NS6detail28radix_sort_block_sort_kernelINS1_36wrapped_radix_sort_block_sort_configINS0_13kernel_configILj256ELj4ELj4294967295EEEfN2at4cuda3cub6detail10OpaqueTypeILi8EEEEELb0EPKfPfPKSB_PSB_NS0_19identity_decomposerEEEvT1_T2_T3_T4_jT5_jj.kd
    .uniform_work_group_size: 1
    .uses_dynamic_stack: false
    .vgpr_count:     54
    .vgpr_spill_count: 0
    .wavefront_size: 64
  - .agpr_count:     0
    .args:
      - .address_space:  global
        .offset:         0
        .size:           8
        .value_kind:     global_buffer
      - .offset:         8
        .size:           4
        .value_kind:     by_value
      - .offset:         12
        .size:           4
        .value_kind:     by_value
      - .address_space:  global
        .offset:         16
        .size:           8
        .value_kind:     global_buffer
      - .offset:         24
        .size:           1
        .value_kind:     by_value
      - .offset:         28
        .size:           4
        .value_kind:     by_value
    .group_segment_fixed_size: 0
    .kernarg_segment_align: 8
    .kernarg_segment_size: 32
    .language:       OpenCL C
    .language_version:
      - 2
      - 0
    .max_flat_workgroup_size: 128
    .name:           _ZN7rocprim17ROCPRIM_304000_NS6detail45device_block_merge_mergepath_partition_kernelINS1_37wrapped_merge_sort_block_merge_configINS0_14default_configEfN2at4cuda3cub6detail10OpaqueTypeILi8EEEEEPfjNS1_19radix_merge_compareILb0ELb0EfNS0_19identity_decomposerEEEEEvT0_T1_jPSH_T2_SH_
    .private_segment_fixed_size: 0
    .sgpr_count:     11
    .sgpr_spill_count: 0
    .symbol:         _ZN7rocprim17ROCPRIM_304000_NS6detail45device_block_merge_mergepath_partition_kernelINS1_37wrapped_merge_sort_block_merge_configINS0_14default_configEfN2at4cuda3cub6detail10OpaqueTypeILi8EEEEEPfjNS1_19radix_merge_compareILb0ELb0EfNS0_19identity_decomposerEEEEEvT0_T1_jPSH_T2_SH_.kd
    .uniform_work_group_size: 1
    .uses_dynamic_stack: false
    .vgpr_count:     16
    .vgpr_spill_count: 0
    .wavefront_size: 64
  - .agpr_count:     0
    .args:
      - .address_space:  global
        .offset:         0
        .size:           8
        .value_kind:     global_buffer
      - .address_space:  global
        .offset:         8
        .size:           8
        .value_kind:     global_buffer
      - .address_space:  global
        .offset:         16
        .size:           8
        .value_kind:     global_buffer
      - .address_space:  global
        .offset:         24
        .size:           8
        .value_kind:     global_buffer
      - .offset:         32
        .size:           4
        .value_kind:     by_value
      - .offset:         36
        .size:           4
        .value_kind:     by_value
      - .offset:         40
        .size:           4
        .value_kind:     by_value
      - .offset:         44
        .size:           1
        .value_kind:     by_value
      - .address_space:  global
        .offset:         48
        .size:           8
        .value_kind:     global_buffer
      - .address_space:  global
        .offset:         56
        .size:           8
        .value_kind:     global_buffer
      - .offset:         64
        .size:           4
        .value_kind:     hidden_block_count_x
      - .offset:         68
        .size:           4
        .value_kind:     hidden_block_count_y
      - .offset:         72
        .size:           4
        .value_kind:     hidden_block_count_z
      - .offset:         76
        .size:           2
        .value_kind:     hidden_group_size_x
      - .offset:         78
        .size:           2
        .value_kind:     hidden_group_size_y
      - .offset:         80
        .size:           2
        .value_kind:     hidden_group_size_z
      - .offset:         82
        .size:           2
        .value_kind:     hidden_remainder_x
      - .offset:         84
        .size:           2
        .value_kind:     hidden_remainder_y
      - .offset:         86
        .size:           2
        .value_kind:     hidden_remainder_z
      - .offset:         104
        .size:           8
        .value_kind:     hidden_global_offset_x
      - .offset:         112
        .size:           8
        .value_kind:     hidden_global_offset_y
      - .offset:         120
        .size:           8
        .value_kind:     hidden_global_offset_z
      - .offset:         128
        .size:           2
        .value_kind:     hidden_grid_dims
    .group_segment_fixed_size: 8208
    .kernarg_segment_align: 8
    .kernarg_segment_size: 320
    .language:       OpenCL C
    .language_version:
      - 2
      - 0
    .max_flat_workgroup_size: 256
    .name:           _ZN7rocprim17ROCPRIM_304000_NS6detail35device_block_merge_mergepath_kernelINS1_37wrapped_merge_sort_block_merge_configINS0_14default_configEfN2at4cuda3cub6detail10OpaqueTypeILi8EEEEEPfSC_PSA_SD_jNS1_19radix_merge_compareILb0ELb0EfNS0_19identity_decomposerEEEEEvT0_T1_T2_T3_T4_SL_jT5_PKSL_NS1_7vsmem_tE
    .private_segment_fixed_size: 0
    .sgpr_count:     35
    .sgpr_spill_count: 0
    .symbol:         _ZN7rocprim17ROCPRIM_304000_NS6detail35device_block_merge_mergepath_kernelINS1_37wrapped_merge_sort_block_merge_configINS0_14default_configEfN2at4cuda3cub6detail10OpaqueTypeILi8EEEEEPfSC_PSA_SD_jNS1_19radix_merge_compareILb0ELb0EfNS0_19identity_decomposerEEEEEvT0_T1_T2_T3_T4_SL_jT5_PKSL_NS1_7vsmem_tE.kd
    .uniform_work_group_size: 1
    .uses_dynamic_stack: false
    .vgpr_count:     24
    .vgpr_spill_count: 0
    .wavefront_size: 64
  - .agpr_count:     0
    .args:
      - .address_space:  global
        .offset:         0
        .size:           8
        .value_kind:     global_buffer
      - .address_space:  global
        .offset:         8
        .size:           8
        .value_kind:     global_buffer
      - .address_space:  global
        .offset:         16
        .size:           8
        .value_kind:     global_buffer
      - .address_space:  global
        .offset:         24
        .size:           8
        .value_kind:     global_buffer
      - .offset:         32
        .size:           4
        .value_kind:     by_value
      - .offset:         36
        .size:           4
        .value_kind:     by_value
      - .offset:         40
        .size:           1
        .value_kind:     by_value
    .group_segment_fixed_size: 0
    .kernarg_segment_align: 8
    .kernarg_segment_size: 44
    .language:       OpenCL C
    .language_version:
      - 2
      - 0
    .max_flat_workgroup_size: 256
    .name:           _ZN7rocprim17ROCPRIM_304000_NS6detail33device_block_merge_oddeven_kernelINS1_37wrapped_merge_sort_block_merge_configINS0_14default_configEfN2at4cuda3cub6detail10OpaqueTypeILi8EEEEEPfSC_PSA_SD_jNS1_19radix_merge_compareILb0ELb0EfNS0_19identity_decomposerEEEEEvT0_T1_T2_T3_T4_SL_T5_
    .private_segment_fixed_size: 0
    .sgpr_count:     27
    .sgpr_spill_count: 0
    .symbol:         _ZN7rocprim17ROCPRIM_304000_NS6detail33device_block_merge_oddeven_kernelINS1_37wrapped_merge_sort_block_merge_configINS0_14default_configEfN2at4cuda3cub6detail10OpaqueTypeILi8EEEEEPfSC_PSA_SD_jNS1_19radix_merge_compareILb0ELb0EfNS0_19identity_decomposerEEEEEvT0_T1_T2_T3_T4_SL_T5_.kd
    .uniform_work_group_size: 1
    .uses_dynamic_stack: false
    .vgpr_count:     14
    .vgpr_spill_count: 0
    .wavefront_size: 64
  - .agpr_count:     0
    .args:
      - .address_space:  global
        .offset:         0
        .size:           8
        .value_kind:     global_buffer
      - .address_space:  global
        .offset:         8
        .size:           8
        .value_kind:     global_buffer
      - .offset:         16
        .size:           8
        .value_kind:     by_value
      - .offset:         24
        .size:           8
        .value_kind:     by_value
      - .offset:         32
        .size:           1
        .value_kind:     by_value
      - .offset:         36
        .size:           4
        .value_kind:     by_value
      - .offset:         40
        .size:           4
        .value_kind:     by_value
    .group_segment_fixed_size: 16384
    .kernarg_segment_align: 8
    .kernarg_segment_size: 44
    .language:       OpenCL C
    .language_version:
      - 2
      - 0
    .max_flat_workgroup_size: 512
    .name:           _ZN7rocprim17ROCPRIM_304000_NS6detail26onesweep_histograms_kernelINS1_34wrapped_radix_sort_onesweep_configINS0_14default_configEfN2at4cuda3cub6detail10OpaqueTypeILi8EEEEELb0EPKfmNS0_19identity_decomposerEEEvT1_PT2_SG_SG_T3_jj
    .private_segment_fixed_size: 0
    .sgpr_count:     30
    .sgpr_spill_count: 0
    .symbol:         _ZN7rocprim17ROCPRIM_304000_NS6detail26onesweep_histograms_kernelINS1_34wrapped_radix_sort_onesweep_configINS0_14default_configEfN2at4cuda3cub6detail10OpaqueTypeILi8EEEEELb0EPKfmNS0_19identity_decomposerEEEvT1_PT2_SG_SG_T3_jj.kd
    .uniform_work_group_size: 1
    .uses_dynamic_stack: false
    .vgpr_count:     18
    .vgpr_spill_count: 0
    .wavefront_size: 64
  - .agpr_count:     0
    .args:
      - .address_space:  global
        .offset:         0
        .size:           8
        .value_kind:     global_buffer
      - .address_space:  global
        .offset:         8
        .size:           8
        .value_kind:     global_buffer
      - .address_space:  global
        .offset:         16
        .size:           8
        .value_kind:     global_buffer
      - .address_space:  global
        .offset:         24
        .size:           8
        .value_kind:     global_buffer
      - .offset:         32
        .size:           4
        .value_kind:     by_value
      - .address_space:  global
        .offset:         40
        .size:           8
        .value_kind:     global_buffer
      - .address_space:  global
        .offset:         48
        .size:           8
        .value_kind:     global_buffer
      - .address_space:  global
        .offset:         56
        .size:           8
        .value_kind:     global_buffer
      - .offset:         64
        .size:           1
        .value_kind:     by_value
      - .offset:         68
        .size:           4
        .value_kind:     by_value
      - .offset:         72
        .size:           4
        .value_kind:     by_value
      - .offset:         76
        .size:           4
        .value_kind:     by_value
      - .offset:         80
        .size:           4
        .value_kind:     hidden_block_count_x
      - .offset:         84
        .size:           4
        .value_kind:     hidden_block_count_y
      - .offset:         88
        .size:           4
        .value_kind:     hidden_block_count_z
      - .offset:         92
        .size:           2
        .value_kind:     hidden_group_size_x
      - .offset:         94
        .size:           2
        .value_kind:     hidden_group_size_y
      - .offset:         96
        .size:           2
        .value_kind:     hidden_group_size_z
      - .offset:         98
        .size:           2
        .value_kind:     hidden_remainder_x
      - .offset:         100
        .size:           2
        .value_kind:     hidden_remainder_y
      - .offset:         102
        .size:           2
        .value_kind:     hidden_remainder_z
      - .offset:         120
        .size:           8
        .value_kind:     hidden_global_offset_x
      - .offset:         128
        .size:           8
        .value_kind:     hidden_global_offset_y
      - .offset:         136
        .size:           8
        .value_kind:     hidden_global_offset_z
      - .offset:         144
        .size:           2
        .value_kind:     hidden_grid_dims
    .group_segment_fixed_size: 26624
    .kernarg_segment_align: 8
    .kernarg_segment_size: 336
    .language:       OpenCL C
    .language_version:
      - 2
      - 0
    .max_flat_workgroup_size: 512
    .name:           _ZN7rocprim17ROCPRIM_304000_NS6detail25onesweep_iteration_kernelINS1_34wrapped_radix_sort_onesweep_configINS0_14default_configEfN2at4cuda3cub6detail10OpaqueTypeILi8EEEEELb0EPKfPfPKSA_PSA_mNS0_19identity_decomposerEEEvT1_T2_T3_T4_jPT5_SO_PNS1_23onesweep_lookback_stateET6_jjj
    .private_segment_fixed_size: 0
    .sgpr_count:     56
    .sgpr_spill_count: 0
    .symbol:         _ZN7rocprim17ROCPRIM_304000_NS6detail25onesweep_iteration_kernelINS1_34wrapped_radix_sort_onesweep_configINS0_14default_configEfN2at4cuda3cub6detail10OpaqueTypeILi8EEEEELb0EPKfPfPKSA_PSA_mNS0_19identity_decomposerEEEvT1_T2_T3_T4_jPT5_SO_PNS1_23onesweep_lookback_stateET6_jjj.kd
    .uniform_work_group_size: 1
    .uses_dynamic_stack: false
    .vgpr_count:     46
    .vgpr_spill_count: 0
    .wavefront_size: 64
  - .agpr_count:     0
    .args:
      - .address_space:  global
        .offset:         0
        .size:           8
        .value_kind:     global_buffer
      - .address_space:  global
        .offset:         8
        .size:           8
        .value_kind:     global_buffer
      - .address_space:  global
        .offset:         16
        .size:           8
        .value_kind:     global_buffer
      - .address_space:  global
        .offset:         24
        .size:           8
        .value_kind:     global_buffer
      - .offset:         32
        .size:           4
        .value_kind:     by_value
      - .address_space:  global
        .offset:         40
        .size:           8
        .value_kind:     global_buffer
      - .address_space:  global
        .offset:         48
        .size:           8
        .value_kind:     global_buffer
      - .address_space:  global
        .offset:         56
        .size:           8
        .value_kind:     global_buffer
      - .offset:         64
        .size:           1
        .value_kind:     by_value
      - .offset:         68
        .size:           4
        .value_kind:     by_value
      - .offset:         72
        .size:           4
        .value_kind:     by_value
      - .offset:         76
        .size:           4
        .value_kind:     by_value
      - .offset:         80
        .size:           4
        .value_kind:     hidden_block_count_x
      - .offset:         84
        .size:           4
        .value_kind:     hidden_block_count_y
      - .offset:         88
        .size:           4
        .value_kind:     hidden_block_count_z
      - .offset:         92
        .size:           2
        .value_kind:     hidden_group_size_x
      - .offset:         94
        .size:           2
        .value_kind:     hidden_group_size_y
      - .offset:         96
        .size:           2
        .value_kind:     hidden_group_size_z
      - .offset:         98
        .size:           2
        .value_kind:     hidden_remainder_x
      - .offset:         100
        .size:           2
        .value_kind:     hidden_remainder_y
      - .offset:         102
        .size:           2
        .value_kind:     hidden_remainder_z
      - .offset:         120
        .size:           8
        .value_kind:     hidden_global_offset_x
      - .offset:         128
        .size:           8
        .value_kind:     hidden_global_offset_y
      - .offset:         136
        .size:           8
        .value_kind:     hidden_global_offset_z
      - .offset:         144
        .size:           2
        .value_kind:     hidden_grid_dims
    .group_segment_fixed_size: 26624
    .kernarg_segment_align: 8
    .kernarg_segment_size: 336
    .language:       OpenCL C
    .language_version:
      - 2
      - 0
    .max_flat_workgroup_size: 512
    .name:           _ZN7rocprim17ROCPRIM_304000_NS6detail25onesweep_iteration_kernelINS1_34wrapped_radix_sort_onesweep_configINS0_14default_configEfN2at4cuda3cub6detail10OpaqueTypeILi8EEEEELb0EPfSC_PSA_SD_mNS0_19identity_decomposerEEEvT1_T2_T3_T4_jPT5_SK_PNS1_23onesweep_lookback_stateET6_jjj
    .private_segment_fixed_size: 0
    .sgpr_count:     56
    .sgpr_spill_count: 0
    .symbol:         _ZN7rocprim17ROCPRIM_304000_NS6detail25onesweep_iteration_kernelINS1_34wrapped_radix_sort_onesweep_configINS0_14default_configEfN2at4cuda3cub6detail10OpaqueTypeILi8EEEEELb0EPfSC_PSA_SD_mNS0_19identity_decomposerEEEvT1_T2_T3_T4_jPT5_SK_PNS1_23onesweep_lookback_stateET6_jjj.kd
    .uniform_work_group_size: 1
    .uses_dynamic_stack: false
    .vgpr_count:     46
    .vgpr_spill_count: 0
    .wavefront_size: 64
  - .agpr_count:     0
    .args:
      - .address_space:  global
        .offset:         0
        .size:           8
        .value_kind:     global_buffer
      - .address_space:  global
        .offset:         8
        .size:           8
        .value_kind:     global_buffer
      - .address_space:  global
        .offset:         16
        .size:           8
        .value_kind:     global_buffer
      - .address_space:  global
        .offset:         24
        .size:           8
        .value_kind:     global_buffer
      - .offset:         32
        .size:           4
        .value_kind:     by_value
      - .offset:         36
        .size:           1
        .value_kind:     by_value
      - .offset:         40
        .size:           4
        .value_kind:     by_value
      - .offset:         44
        .size:           4
        .value_kind:     by_value
      - .offset:         48
        .size:           4
        .value_kind:     hidden_block_count_x
      - .offset:         52
        .size:           4
        .value_kind:     hidden_block_count_y
      - .offset:         56
        .size:           4
        .value_kind:     hidden_block_count_z
      - .offset:         60
        .size:           2
        .value_kind:     hidden_group_size_x
      - .offset:         62
        .size:           2
        .value_kind:     hidden_group_size_y
      - .offset:         64
        .size:           2
        .value_kind:     hidden_group_size_z
      - .offset:         66
        .size:           2
        .value_kind:     hidden_remainder_x
      - .offset:         68
        .size:           2
        .value_kind:     hidden_remainder_y
      - .offset:         70
        .size:           2
        .value_kind:     hidden_remainder_z
      - .offset:         88
        .size:           8
        .value_kind:     hidden_global_offset_x
      - .offset:         96
        .size:           8
        .value_kind:     hidden_global_offset_y
      - .offset:         104
        .size:           8
        .value_kind:     hidden_global_offset_z
      - .offset:         112
        .size:           2
        .value_kind:     hidden_grid_dims
    .group_segment_fixed_size: 8192
    .kernarg_segment_align: 8
    .kernarg_segment_size: 304
    .language:       OpenCL C
    .language_version:
      - 2
      - 0
    .max_flat_workgroup_size: 256
    .name:           _ZN7rocprim17ROCPRIM_304000_NS6detail28radix_sort_block_sort_kernelINS1_36wrapped_radix_sort_block_sort_configINS0_13kernel_configILj256ELj4ELj4294967295EEEdN2at4cuda3cub6detail10OpaqueTypeILi8EEEEELb1EPKdPdPKSB_PSB_NS0_19identity_decomposerEEEvT1_T2_T3_T4_jT5_jj
    .private_segment_fixed_size: 0
    .sgpr_count:     50
    .sgpr_spill_count: 0
    .symbol:         _ZN7rocprim17ROCPRIM_304000_NS6detail28radix_sort_block_sort_kernelINS1_36wrapped_radix_sort_block_sort_configINS0_13kernel_configILj256ELj4ELj4294967295EEEdN2at4cuda3cub6detail10OpaqueTypeILi8EEEEELb1EPKdPdPKSB_PSB_NS0_19identity_decomposerEEEvT1_T2_T3_T4_jT5_jj.kd
    .uniform_work_group_size: 1
    .uses_dynamic_stack: false
    .vgpr_count:     53
    .vgpr_spill_count: 0
    .wavefront_size: 64
  - .agpr_count:     0
    .args:           []
    .group_segment_fixed_size: 0
    .kernarg_segment_align: 4
    .kernarg_segment_size: 0
    .language:       OpenCL C
    .language_version:
      - 2
      - 0
    .max_flat_workgroup_size: 1024
    .name:           _ZN7rocprim17ROCPRIM_304000_NS6detail39device_merge_sort_compile_time_verifierINS1_36wrapped_merge_sort_block_sort_configINS1_28merge_sort_block_sort_configILj256ELj4ELNS0_20block_sort_algorithmE0EEEdN2at4cuda3cub6detail10OpaqueTypeILi8EEEEENS1_37wrapped_merge_sort_block_merge_configINS0_14default_configEdSC_EEEEvv
    .private_segment_fixed_size: 0
    .sgpr_count:     4
    .sgpr_spill_count: 0
    .symbol:         _ZN7rocprim17ROCPRIM_304000_NS6detail39device_merge_sort_compile_time_verifierINS1_36wrapped_merge_sort_block_sort_configINS1_28merge_sort_block_sort_configILj256ELj4ELNS0_20block_sort_algorithmE0EEEdN2at4cuda3cub6detail10OpaqueTypeILi8EEEEENS1_37wrapped_merge_sort_block_merge_configINS0_14default_configEdSC_EEEEvv.kd
    .uniform_work_group_size: 1
    .uses_dynamic_stack: false
    .vgpr_count:     0
    .vgpr_spill_count: 0
    .wavefront_size: 64
  - .agpr_count:     0
    .args:
      - .address_space:  global
        .offset:         0
        .size:           8
        .value_kind:     global_buffer
      - .offset:         8
        .size:           4
        .value_kind:     by_value
      - .offset:         12
        .size:           4
        .value_kind:     by_value
      - .address_space:  global
        .offset:         16
        .size:           8
        .value_kind:     global_buffer
      - .offset:         24
        .size:           1
        .value_kind:     by_value
      - .offset:         28
        .size:           4
        .value_kind:     by_value
    .group_segment_fixed_size: 0
    .kernarg_segment_align: 8
    .kernarg_segment_size: 32
    .language:       OpenCL C
    .language_version:
      - 2
      - 0
    .max_flat_workgroup_size: 128
    .name:           _ZN7rocprim17ROCPRIM_304000_NS6detail45device_block_merge_mergepath_partition_kernelINS1_37wrapped_merge_sort_block_merge_configINS0_14default_configEdN2at4cuda3cub6detail10OpaqueTypeILi8EEEEEPdjNS1_19radix_merge_compareILb1ELb0EdNS0_19identity_decomposerEEEEEvT0_T1_jPSH_T2_SH_
    .private_segment_fixed_size: 0
    .sgpr_count:     14
    .sgpr_spill_count: 0
    .symbol:         _ZN7rocprim17ROCPRIM_304000_NS6detail45device_block_merge_mergepath_partition_kernelINS1_37wrapped_merge_sort_block_merge_configINS0_14default_configEdN2at4cuda3cub6detail10OpaqueTypeILi8EEEEEPdjNS1_19radix_merge_compareILb1ELb0EdNS0_19identity_decomposerEEEEEvT0_T1_jPSH_T2_SH_.kd
    .uniform_work_group_size: 1
    .uses_dynamic_stack: false
    .vgpr_count:     20
    .vgpr_spill_count: 0
    .wavefront_size: 64
  - .agpr_count:     0
    .args:
      - .address_space:  global
        .offset:         0
        .size:           8
        .value_kind:     global_buffer
      - .address_space:  global
        .offset:         8
        .size:           8
        .value_kind:     global_buffer
      - .address_space:  global
        .offset:         16
        .size:           8
        .value_kind:     global_buffer
      - .address_space:  global
        .offset:         24
        .size:           8
        .value_kind:     global_buffer
      - .offset:         32
        .size:           4
        .value_kind:     by_value
      - .offset:         36
        .size:           4
        .value_kind:     by_value
      - .offset:         40
        .size:           4
        .value_kind:     by_value
      - .offset:         44
        .size:           1
        .value_kind:     by_value
      - .address_space:  global
        .offset:         48
        .size:           8
        .value_kind:     global_buffer
      - .address_space:  global
        .offset:         56
        .size:           8
        .value_kind:     global_buffer
      - .offset:         64
        .size:           4
        .value_kind:     hidden_block_count_x
      - .offset:         68
        .size:           4
        .value_kind:     hidden_block_count_y
      - .offset:         72
        .size:           4
        .value_kind:     hidden_block_count_z
      - .offset:         76
        .size:           2
        .value_kind:     hidden_group_size_x
      - .offset:         78
        .size:           2
        .value_kind:     hidden_group_size_y
      - .offset:         80
        .size:           2
        .value_kind:     hidden_group_size_z
      - .offset:         82
        .size:           2
        .value_kind:     hidden_remainder_x
      - .offset:         84
        .size:           2
        .value_kind:     hidden_remainder_y
      - .offset:         86
        .size:           2
        .value_kind:     hidden_remainder_z
      - .offset:         104
        .size:           8
        .value_kind:     hidden_global_offset_x
      - .offset:         112
        .size:           8
        .value_kind:     hidden_global_offset_y
      - .offset:         120
        .size:           8
        .value_kind:     hidden_global_offset_z
      - .offset:         128
        .size:           2
        .value_kind:     hidden_grid_dims
    .group_segment_fixed_size: 8448
    .kernarg_segment_align: 8
    .kernarg_segment_size: 320
    .language:       OpenCL C
    .language_version:
      - 2
      - 0
    .max_flat_workgroup_size: 512
    .name:           _ZN7rocprim17ROCPRIM_304000_NS6detail35device_block_merge_mergepath_kernelINS1_37wrapped_merge_sort_block_merge_configINS0_14default_configEdN2at4cuda3cub6detail10OpaqueTypeILi8EEEEEPdSC_PSA_SD_jNS1_19radix_merge_compareILb1ELb0EdNS0_19identity_decomposerEEEEEvT0_T1_T2_T3_T4_SL_jT5_PKSL_NS1_7vsmem_tE
    .private_segment_fixed_size: 0
    .sgpr_count:     33
    .sgpr_spill_count: 0
    .symbol:         _ZN7rocprim17ROCPRIM_304000_NS6detail35device_block_merge_mergepath_kernelINS1_37wrapped_merge_sort_block_merge_configINS0_14default_configEdN2at4cuda3cub6detail10OpaqueTypeILi8EEEEEPdSC_PSA_SD_jNS1_19radix_merge_compareILb1ELb0EdNS0_19identity_decomposerEEEEEvT0_T1_T2_T3_T4_SL_jT5_PKSL_NS1_7vsmem_tE.kd
    .uniform_work_group_size: 1
    .uses_dynamic_stack: false
    .vgpr_count:     21
    .vgpr_spill_count: 0
    .wavefront_size: 64
  - .agpr_count:     0
    .args:
      - .address_space:  global
        .offset:         0
        .size:           8
        .value_kind:     global_buffer
      - .address_space:  global
        .offset:         8
        .size:           8
        .value_kind:     global_buffer
      - .address_space:  global
        .offset:         16
        .size:           8
        .value_kind:     global_buffer
      - .address_space:  global
        .offset:         24
        .size:           8
        .value_kind:     global_buffer
      - .offset:         32
        .size:           4
        .value_kind:     by_value
      - .offset:         36
        .size:           4
        .value_kind:     by_value
      - .offset:         40
        .size:           1
        .value_kind:     by_value
    .group_segment_fixed_size: 0
    .kernarg_segment_align: 8
    .kernarg_segment_size: 44
    .language:       OpenCL C
    .language_version:
      - 2
      - 0
    .max_flat_workgroup_size: 256
    .name:           _ZN7rocprim17ROCPRIM_304000_NS6detail33device_block_merge_oddeven_kernelINS1_37wrapped_merge_sort_block_merge_configINS0_14default_configEdN2at4cuda3cub6detail10OpaqueTypeILi8EEEEEPdSC_PSA_SD_jNS1_19radix_merge_compareILb1ELb0EdNS0_19identity_decomposerEEEEEvT0_T1_T2_T3_T4_SL_T5_
    .private_segment_fixed_size: 0
    .sgpr_count:     27
    .sgpr_spill_count: 0
    .symbol:         _ZN7rocprim17ROCPRIM_304000_NS6detail33device_block_merge_oddeven_kernelINS1_37wrapped_merge_sort_block_merge_configINS0_14default_configEdN2at4cuda3cub6detail10OpaqueTypeILi8EEEEEPdSC_PSA_SD_jNS1_19radix_merge_compareILb1ELb0EdNS0_19identity_decomposerEEEEEvT0_T1_T2_T3_T4_SL_T5_.kd
    .uniform_work_group_size: 1
    .uses_dynamic_stack: false
    .vgpr_count:     18
    .vgpr_spill_count: 0
    .wavefront_size: 64
  - .agpr_count:     0
    .args:
      - .address_space:  global
        .offset:         0
        .size:           8
        .value_kind:     global_buffer
      - .offset:         8
        .size:           8
        .value_kind:     by_value
      - .address_space:  global
        .offset:         16
        .size:           8
        .value_kind:     global_buffer
      - .offset:         24
        .size:           1
        .value_kind:     by_value
      - .offset:         32
        .size:           4
        .value_kind:     hidden_block_count_x
      - .offset:         36
        .size:           4
        .value_kind:     hidden_block_count_y
      - .offset:         40
        .size:           4
        .value_kind:     hidden_block_count_z
      - .offset:         44
        .size:           2
        .value_kind:     hidden_group_size_x
      - .offset:         46
        .size:           2
        .value_kind:     hidden_group_size_y
      - .offset:         48
        .size:           2
        .value_kind:     hidden_group_size_z
      - .offset:         50
        .size:           2
        .value_kind:     hidden_remainder_x
      - .offset:         52
        .size:           2
        .value_kind:     hidden_remainder_y
      - .offset:         54
        .size:           2
        .value_kind:     hidden_remainder_z
      - .offset:         72
        .size:           8
        .value_kind:     hidden_global_offset_x
      - .offset:         80
        .size:           8
        .value_kind:     hidden_global_offset_y
      - .offset:         88
        .size:           8
        .value_kind:     hidden_global_offset_z
      - .offset:         96
        .size:           2
        .value_kind:     hidden_grid_dims
    .group_segment_fixed_size: 0
    .kernarg_segment_align: 8
    .kernarg_segment_size: 288
    .language:       OpenCL C
    .language_version:
      - 2
      - 0
    .max_flat_workgroup_size: 256
    .name:           _ZN7rocprim17ROCPRIM_304000_NS6detail16transform_kernelINS1_24wrapped_transform_configINS0_14default_configEdEEdPdS6_NS0_8identityIdEEEEvT1_mT2_T3_
    .private_segment_fixed_size: 0
    .sgpr_count:     16
    .sgpr_spill_count: 0
    .symbol:         _ZN7rocprim17ROCPRIM_304000_NS6detail16transform_kernelINS1_24wrapped_transform_configINS0_14default_configEdEEdPdS6_NS0_8identityIdEEEEvT1_mT2_T3_.kd
    .uniform_work_group_size: 1
    .uses_dynamic_stack: false
    .vgpr_count:     8
    .vgpr_spill_count: 0
    .wavefront_size: 64
  - .agpr_count:     0
    .args:
      - .address_space:  global
        .offset:         0
        .size:           8
        .value_kind:     global_buffer
      - .address_space:  global
        .offset:         8
        .size:           8
        .value_kind:     global_buffer
      - .offset:         16
        .size:           8
        .value_kind:     by_value
      - .offset:         24
        .size:           8
        .value_kind:     by_value
      - .offset:         32
        .size:           1
        .value_kind:     by_value
      - .offset:         36
        .size:           4
        .value_kind:     by_value
      - .offset:         40
        .size:           4
        .value_kind:     by_value
    .group_segment_fixed_size: 32768
    .kernarg_segment_align: 8
    .kernarg_segment_size: 44
    .language:       OpenCL C
    .language_version:
      - 2
      - 0
    .max_flat_workgroup_size: 1024
    .name:           _ZN7rocprim17ROCPRIM_304000_NS6detail26onesweep_histograms_kernelINS1_34wrapped_radix_sort_onesweep_configINS0_14default_configEdN2at4cuda3cub6detail10OpaqueTypeILi8EEEEELb1EPKdmNS0_19identity_decomposerEEEvT1_PT2_SG_SG_T3_jj
    .private_segment_fixed_size: 0
    .sgpr_count:     30
    .sgpr_spill_count: 0
    .symbol:         _ZN7rocprim17ROCPRIM_304000_NS6detail26onesweep_histograms_kernelINS1_34wrapped_radix_sort_onesweep_configINS0_14default_configEdN2at4cuda3cub6detail10OpaqueTypeILi8EEEEELb1EPKdmNS0_19identity_decomposerEEEvT1_PT2_SG_SG_T3_jj.kd
    .uniform_work_group_size: 1
    .uses_dynamic_stack: false
    .vgpr_count:     25
    .vgpr_spill_count: 0
    .wavefront_size: 64
  - .agpr_count:     0
    .args:
      - .address_space:  global
        .offset:         0
        .size:           8
        .value_kind:     global_buffer
    .group_segment_fixed_size: 128
    .kernarg_segment_align: 8
    .kernarg_segment_size: 8
    .language:       OpenCL C
    .language_version:
      - 2
      - 0
    .max_flat_workgroup_size: 1024
    .name:           _ZN7rocprim17ROCPRIM_304000_NS6detail31onesweep_scan_histograms_kernelINS1_34wrapped_radix_sort_onesweep_configINS0_14default_configEdN2at4cuda3cub6detail10OpaqueTypeILi8EEEEEmEEvPT0_
    .private_segment_fixed_size: 0
    .sgpr_count:     22
    .sgpr_spill_count: 0
    .symbol:         _ZN7rocprim17ROCPRIM_304000_NS6detail31onesweep_scan_histograms_kernelINS1_34wrapped_radix_sort_onesweep_configINS0_14default_configEdN2at4cuda3cub6detail10OpaqueTypeILi8EEEEEmEEvPT0_.kd
    .uniform_work_group_size: 1
    .uses_dynamic_stack: false
    .vgpr_count:     13
    .vgpr_spill_count: 0
    .wavefront_size: 64
  - .agpr_count:     0
    .args:
      - .address_space:  global
        .offset:         0
        .size:           8
        .value_kind:     global_buffer
      - .offset:         8
        .size:           8
        .value_kind:     by_value
      - .address_space:  global
        .offset:         16
        .size:           8
        .value_kind:     global_buffer
      - .offset:         24
        .size:           1
        .value_kind:     by_value
      - .offset:         32
        .size:           4
        .value_kind:     hidden_block_count_x
      - .offset:         36
        .size:           4
        .value_kind:     hidden_block_count_y
      - .offset:         40
        .size:           4
        .value_kind:     hidden_block_count_z
      - .offset:         44
        .size:           2
        .value_kind:     hidden_group_size_x
      - .offset:         46
        .size:           2
        .value_kind:     hidden_group_size_y
      - .offset:         48
        .size:           2
        .value_kind:     hidden_group_size_z
      - .offset:         50
        .size:           2
        .value_kind:     hidden_remainder_x
      - .offset:         52
        .size:           2
        .value_kind:     hidden_remainder_y
      - .offset:         54
        .size:           2
        .value_kind:     hidden_remainder_z
      - .offset:         72
        .size:           8
        .value_kind:     hidden_global_offset_x
      - .offset:         80
        .size:           8
        .value_kind:     hidden_global_offset_y
      - .offset:         88
        .size:           8
        .value_kind:     hidden_global_offset_z
      - .offset:         96
        .size:           2
        .value_kind:     hidden_grid_dims
    .group_segment_fixed_size: 0
    .kernarg_segment_align: 8
    .kernarg_segment_size: 288
    .language:       OpenCL C
    .language_version:
      - 2
      - 0
    .max_flat_workgroup_size: 256
    .name:           _ZN7rocprim17ROCPRIM_304000_NS6detail16transform_kernelINS1_24wrapped_transform_configINS0_14default_configEdEEdPKdPdNS0_8identityIdEEEEvT1_mT2_T3_
    .private_segment_fixed_size: 0
    .sgpr_count:     16
    .sgpr_spill_count: 0
    .symbol:         _ZN7rocprim17ROCPRIM_304000_NS6detail16transform_kernelINS1_24wrapped_transform_configINS0_14default_configEdEEdPKdPdNS0_8identityIdEEEEvT1_mT2_T3_.kd
    .uniform_work_group_size: 1
    .uses_dynamic_stack: false
    .vgpr_count:     8
    .vgpr_spill_count: 0
    .wavefront_size: 64
  - .agpr_count:     0
    .args:
      - .address_space:  global
        .offset:         0
        .size:           8
        .value_kind:     global_buffer
      - .address_space:  global
        .offset:         8
        .size:           8
        .value_kind:     global_buffer
      - .address_space:  global
        .offset:         16
        .size:           8
        .value_kind:     global_buffer
      - .address_space:  global
        .offset:         24
        .size:           8
        .value_kind:     global_buffer
      - .offset:         32
        .size:           4
        .value_kind:     by_value
      - .address_space:  global
        .offset:         40
        .size:           8
        .value_kind:     global_buffer
      - .address_space:  global
        .offset:         48
        .size:           8
        .value_kind:     global_buffer
      - .address_space:  global
        .offset:         56
        .size:           8
        .value_kind:     global_buffer
      - .offset:         64
        .size:           1
        .value_kind:     by_value
      - .offset:         68
        .size:           4
        .value_kind:     by_value
      - .offset:         72
        .size:           4
        .value_kind:     by_value
      - .offset:         76
        .size:           4
        .value_kind:     by_value
      - .offset:         80
        .size:           4
        .value_kind:     hidden_block_count_x
      - .offset:         84
        .size:           4
        .value_kind:     hidden_block_count_y
      - .offset:         88
        .size:           4
        .value_kind:     hidden_block_count_z
      - .offset:         92
        .size:           2
        .value_kind:     hidden_group_size_x
      - .offset:         94
        .size:           2
        .value_kind:     hidden_group_size_y
      - .offset:         96
        .size:           2
        .value_kind:     hidden_group_size_z
      - .offset:         98
        .size:           2
        .value_kind:     hidden_remainder_x
      - .offset:         100
        .size:           2
        .value_kind:     hidden_remainder_y
      - .offset:         102
        .size:           2
        .value_kind:     hidden_remainder_z
      - .offset:         120
        .size:           8
        .value_kind:     hidden_global_offset_x
      - .offset:         128
        .size:           8
        .value_kind:     hidden_global_offset_y
      - .offset:         136
        .size:           8
        .value_kind:     hidden_global_offset_z
      - .offset:         144
        .size:           2
        .value_kind:     hidden_grid_dims
    .group_segment_fixed_size: 51200
    .kernarg_segment_align: 8
    .kernarg_segment_size: 336
    .language:       OpenCL C
    .language_version:
      - 2
      - 0
    .max_flat_workgroup_size: 1024
    .name:           _ZN7rocprim17ROCPRIM_304000_NS6detail25onesweep_iteration_kernelINS1_34wrapped_radix_sort_onesweep_configINS0_14default_configEdN2at4cuda3cub6detail10OpaqueTypeILi8EEEEELb1EPKdPdPKSA_PSA_mNS0_19identity_decomposerEEEvT1_T2_T3_T4_jPT5_SO_PNS1_23onesweep_lookback_stateET6_jjj
    .private_segment_fixed_size: 0
    .sgpr_count:     58
    .sgpr_spill_count: 0
    .symbol:         _ZN7rocprim17ROCPRIM_304000_NS6detail25onesweep_iteration_kernelINS1_34wrapped_radix_sort_onesweep_configINS0_14default_configEdN2at4cuda3cub6detail10OpaqueTypeILi8EEEEELb1EPKdPdPKSA_PSA_mNS0_19identity_decomposerEEEvT1_T2_T3_T4_jPT5_SO_PNS1_23onesweep_lookback_stateET6_jjj.kd
    .uniform_work_group_size: 1
    .uses_dynamic_stack: false
    .vgpr_count:     54
    .vgpr_spill_count: 0
    .wavefront_size: 64
  - .agpr_count:     0
    .args:
      - .address_space:  global
        .offset:         0
        .size:           8
        .value_kind:     global_buffer
      - .address_space:  global
        .offset:         8
        .size:           8
        .value_kind:     global_buffer
      - .address_space:  global
        .offset:         16
        .size:           8
        .value_kind:     global_buffer
      - .address_space:  global
        .offset:         24
        .size:           8
        .value_kind:     global_buffer
      - .offset:         32
        .size:           4
        .value_kind:     by_value
      - .address_space:  global
        .offset:         40
        .size:           8
        .value_kind:     global_buffer
      - .address_space:  global
        .offset:         48
        .size:           8
        .value_kind:     global_buffer
      - .address_space:  global
        .offset:         56
        .size:           8
        .value_kind:     global_buffer
      - .offset:         64
        .size:           1
        .value_kind:     by_value
      - .offset:         68
        .size:           4
        .value_kind:     by_value
      - .offset:         72
        .size:           4
        .value_kind:     by_value
      - .offset:         76
        .size:           4
        .value_kind:     by_value
      - .offset:         80
        .size:           4
        .value_kind:     hidden_block_count_x
      - .offset:         84
        .size:           4
        .value_kind:     hidden_block_count_y
      - .offset:         88
        .size:           4
        .value_kind:     hidden_block_count_z
      - .offset:         92
        .size:           2
        .value_kind:     hidden_group_size_x
      - .offset:         94
        .size:           2
        .value_kind:     hidden_group_size_y
      - .offset:         96
        .size:           2
        .value_kind:     hidden_group_size_z
      - .offset:         98
        .size:           2
        .value_kind:     hidden_remainder_x
      - .offset:         100
        .size:           2
        .value_kind:     hidden_remainder_y
      - .offset:         102
        .size:           2
        .value_kind:     hidden_remainder_z
      - .offset:         120
        .size:           8
        .value_kind:     hidden_global_offset_x
      - .offset:         128
        .size:           8
        .value_kind:     hidden_global_offset_y
      - .offset:         136
        .size:           8
        .value_kind:     hidden_global_offset_z
      - .offset:         144
        .size:           2
        .value_kind:     hidden_grid_dims
    .group_segment_fixed_size: 51200
    .kernarg_segment_align: 8
    .kernarg_segment_size: 336
    .language:       OpenCL C
    .language_version:
      - 2
      - 0
    .max_flat_workgroup_size: 1024
    .name:           _ZN7rocprim17ROCPRIM_304000_NS6detail25onesweep_iteration_kernelINS1_34wrapped_radix_sort_onesweep_configINS0_14default_configEdN2at4cuda3cub6detail10OpaqueTypeILi8EEEEELb1EPdSC_PSA_SD_mNS0_19identity_decomposerEEEvT1_T2_T3_T4_jPT5_SK_PNS1_23onesweep_lookback_stateET6_jjj
    .private_segment_fixed_size: 0
    .sgpr_count:     58
    .sgpr_spill_count: 0
    .symbol:         _ZN7rocprim17ROCPRIM_304000_NS6detail25onesweep_iteration_kernelINS1_34wrapped_radix_sort_onesweep_configINS0_14default_configEdN2at4cuda3cub6detail10OpaqueTypeILi8EEEEELb1EPdSC_PSA_SD_mNS0_19identity_decomposerEEEvT1_T2_T3_T4_jPT5_SK_PNS1_23onesweep_lookback_stateET6_jjj.kd
    .uniform_work_group_size: 1
    .uses_dynamic_stack: false
    .vgpr_count:     54
    .vgpr_spill_count: 0
    .wavefront_size: 64
  - .agpr_count:     0
    .args:
      - .address_space:  global
        .offset:         0
        .size:           8
        .value_kind:     global_buffer
      - .address_space:  global
        .offset:         8
        .size:           8
        .value_kind:     global_buffer
      - .address_space:  global
        .offset:         16
        .size:           8
        .value_kind:     global_buffer
      - .address_space:  global
        .offset:         24
        .size:           8
        .value_kind:     global_buffer
      - .offset:         32
        .size:           4
        .value_kind:     by_value
      - .offset:         36
        .size:           1
        .value_kind:     by_value
      - .offset:         40
        .size:           4
        .value_kind:     by_value
      - .offset:         44
        .size:           4
        .value_kind:     by_value
      - .offset:         48
        .size:           4
        .value_kind:     hidden_block_count_x
      - .offset:         52
        .size:           4
        .value_kind:     hidden_block_count_y
      - .offset:         56
        .size:           4
        .value_kind:     hidden_block_count_z
      - .offset:         60
        .size:           2
        .value_kind:     hidden_group_size_x
      - .offset:         62
        .size:           2
        .value_kind:     hidden_group_size_y
      - .offset:         64
        .size:           2
        .value_kind:     hidden_group_size_z
      - .offset:         66
        .size:           2
        .value_kind:     hidden_remainder_x
      - .offset:         68
        .size:           2
        .value_kind:     hidden_remainder_y
      - .offset:         70
        .size:           2
        .value_kind:     hidden_remainder_z
      - .offset:         88
        .size:           8
        .value_kind:     hidden_global_offset_x
      - .offset:         96
        .size:           8
        .value_kind:     hidden_global_offset_y
      - .offset:         104
        .size:           8
        .value_kind:     hidden_global_offset_z
      - .offset:         112
        .size:           2
        .value_kind:     hidden_grid_dims
    .group_segment_fixed_size: 8192
    .kernarg_segment_align: 8
    .kernarg_segment_size: 304
    .language:       OpenCL C
    .language_version:
      - 2
      - 0
    .max_flat_workgroup_size: 256
    .name:           _ZN7rocprim17ROCPRIM_304000_NS6detail28radix_sort_block_sort_kernelINS1_36wrapped_radix_sort_block_sort_configINS0_13kernel_configILj256ELj4ELj4294967295EEEdN2at4cuda3cub6detail10OpaqueTypeILi8EEEEELb0EPKdPdPKSB_PSB_NS0_19identity_decomposerEEEvT1_T2_T3_T4_jT5_jj
    .private_segment_fixed_size: 0
    .sgpr_count:     50
    .sgpr_spill_count: 0
    .symbol:         _ZN7rocprim17ROCPRIM_304000_NS6detail28radix_sort_block_sort_kernelINS1_36wrapped_radix_sort_block_sort_configINS0_13kernel_configILj256ELj4ELj4294967295EEEdN2at4cuda3cub6detail10OpaqueTypeILi8EEEEELb0EPKdPdPKSB_PSB_NS0_19identity_decomposerEEEvT1_T2_T3_T4_jT5_jj.kd
    .uniform_work_group_size: 1
    .uses_dynamic_stack: false
    .vgpr_count:     53
    .vgpr_spill_count: 0
    .wavefront_size: 64
  - .agpr_count:     0
    .args:
      - .address_space:  global
        .offset:         0
        .size:           8
        .value_kind:     global_buffer
      - .offset:         8
        .size:           4
        .value_kind:     by_value
      - .offset:         12
        .size:           4
        .value_kind:     by_value
      - .address_space:  global
        .offset:         16
        .size:           8
        .value_kind:     global_buffer
      - .offset:         24
        .size:           1
        .value_kind:     by_value
      - .offset:         28
        .size:           4
        .value_kind:     by_value
    .group_segment_fixed_size: 0
    .kernarg_segment_align: 8
    .kernarg_segment_size: 32
    .language:       OpenCL C
    .language_version:
      - 2
      - 0
    .max_flat_workgroup_size: 128
    .name:           _ZN7rocprim17ROCPRIM_304000_NS6detail45device_block_merge_mergepath_partition_kernelINS1_37wrapped_merge_sort_block_merge_configINS0_14default_configEdN2at4cuda3cub6detail10OpaqueTypeILi8EEEEEPdjNS1_19radix_merge_compareILb0ELb0EdNS0_19identity_decomposerEEEEEvT0_T1_jPSH_T2_SH_
    .private_segment_fixed_size: 0
    .sgpr_count:     12
    .sgpr_spill_count: 0
    .symbol:         _ZN7rocprim17ROCPRIM_304000_NS6detail45device_block_merge_mergepath_partition_kernelINS1_37wrapped_merge_sort_block_merge_configINS0_14default_configEdN2at4cuda3cub6detail10OpaqueTypeILi8EEEEEPdjNS1_19radix_merge_compareILb0ELb0EdNS0_19identity_decomposerEEEEEvT0_T1_jPSH_T2_SH_.kd
    .uniform_work_group_size: 1
    .uses_dynamic_stack: false
    .vgpr_count:     19
    .vgpr_spill_count: 0
    .wavefront_size: 64
  - .agpr_count:     0
    .args:
      - .address_space:  global
        .offset:         0
        .size:           8
        .value_kind:     global_buffer
      - .address_space:  global
        .offset:         8
        .size:           8
        .value_kind:     global_buffer
      - .address_space:  global
        .offset:         16
        .size:           8
        .value_kind:     global_buffer
      - .address_space:  global
        .offset:         24
        .size:           8
        .value_kind:     global_buffer
      - .offset:         32
        .size:           4
        .value_kind:     by_value
      - .offset:         36
        .size:           4
        .value_kind:     by_value
      - .offset:         40
        .size:           4
        .value_kind:     by_value
      - .offset:         44
        .size:           1
        .value_kind:     by_value
      - .address_space:  global
        .offset:         48
        .size:           8
        .value_kind:     global_buffer
      - .address_space:  global
        .offset:         56
        .size:           8
        .value_kind:     global_buffer
      - .offset:         64
        .size:           4
        .value_kind:     hidden_block_count_x
      - .offset:         68
        .size:           4
        .value_kind:     hidden_block_count_y
      - .offset:         72
        .size:           4
        .value_kind:     hidden_block_count_z
      - .offset:         76
        .size:           2
        .value_kind:     hidden_group_size_x
      - .offset:         78
        .size:           2
        .value_kind:     hidden_group_size_y
      - .offset:         80
        .size:           2
        .value_kind:     hidden_group_size_z
      - .offset:         82
        .size:           2
        .value_kind:     hidden_remainder_x
      - .offset:         84
        .size:           2
        .value_kind:     hidden_remainder_y
      - .offset:         86
        .size:           2
        .value_kind:     hidden_remainder_z
      - .offset:         104
        .size:           8
        .value_kind:     hidden_global_offset_x
      - .offset:         112
        .size:           8
        .value_kind:     hidden_global_offset_y
      - .offset:         120
        .size:           8
        .value_kind:     hidden_global_offset_z
      - .offset:         128
        .size:           2
        .value_kind:     hidden_grid_dims
    .group_segment_fixed_size: 8448
    .kernarg_segment_align: 8
    .kernarg_segment_size: 320
    .language:       OpenCL C
    .language_version:
      - 2
      - 0
    .max_flat_workgroup_size: 512
    .name:           _ZN7rocprim17ROCPRIM_304000_NS6detail35device_block_merge_mergepath_kernelINS1_37wrapped_merge_sort_block_merge_configINS0_14default_configEdN2at4cuda3cub6detail10OpaqueTypeILi8EEEEEPdSC_PSA_SD_jNS1_19radix_merge_compareILb0ELb0EdNS0_19identity_decomposerEEEEEvT0_T1_T2_T3_T4_SL_jT5_PKSL_NS1_7vsmem_tE
    .private_segment_fixed_size: 0
    .sgpr_count:     33
    .sgpr_spill_count: 0
    .symbol:         _ZN7rocprim17ROCPRIM_304000_NS6detail35device_block_merge_mergepath_kernelINS1_37wrapped_merge_sort_block_merge_configINS0_14default_configEdN2at4cuda3cub6detail10OpaqueTypeILi8EEEEEPdSC_PSA_SD_jNS1_19radix_merge_compareILb0ELb0EdNS0_19identity_decomposerEEEEEvT0_T1_T2_T3_T4_SL_jT5_PKSL_NS1_7vsmem_tE.kd
    .uniform_work_group_size: 1
    .uses_dynamic_stack: false
    .vgpr_count:     21
    .vgpr_spill_count: 0
    .wavefront_size: 64
  - .agpr_count:     0
    .args:
      - .address_space:  global
        .offset:         0
        .size:           8
        .value_kind:     global_buffer
      - .address_space:  global
        .offset:         8
        .size:           8
        .value_kind:     global_buffer
      - .address_space:  global
        .offset:         16
        .size:           8
        .value_kind:     global_buffer
      - .address_space:  global
        .offset:         24
        .size:           8
        .value_kind:     global_buffer
      - .offset:         32
        .size:           4
        .value_kind:     by_value
      - .offset:         36
        .size:           4
        .value_kind:     by_value
      - .offset:         40
        .size:           1
        .value_kind:     by_value
    .group_segment_fixed_size: 0
    .kernarg_segment_align: 8
    .kernarg_segment_size: 44
    .language:       OpenCL C
    .language_version:
      - 2
      - 0
    .max_flat_workgroup_size: 256
    .name:           _ZN7rocprim17ROCPRIM_304000_NS6detail33device_block_merge_oddeven_kernelINS1_37wrapped_merge_sort_block_merge_configINS0_14default_configEdN2at4cuda3cub6detail10OpaqueTypeILi8EEEEEPdSC_PSA_SD_jNS1_19radix_merge_compareILb0ELb0EdNS0_19identity_decomposerEEEEEvT0_T1_T2_T3_T4_SL_T5_
    .private_segment_fixed_size: 0
    .sgpr_count:     27
    .sgpr_spill_count: 0
    .symbol:         _ZN7rocprim17ROCPRIM_304000_NS6detail33device_block_merge_oddeven_kernelINS1_37wrapped_merge_sort_block_merge_configINS0_14default_configEdN2at4cuda3cub6detail10OpaqueTypeILi8EEEEEPdSC_PSA_SD_jNS1_19radix_merge_compareILb0ELb0EdNS0_19identity_decomposerEEEEEvT0_T1_T2_T3_T4_SL_T5_.kd
    .uniform_work_group_size: 1
    .uses_dynamic_stack: false
    .vgpr_count:     18
    .vgpr_spill_count: 0
    .wavefront_size: 64
  - .agpr_count:     0
    .args:
      - .address_space:  global
        .offset:         0
        .size:           8
        .value_kind:     global_buffer
      - .address_space:  global
        .offset:         8
        .size:           8
        .value_kind:     global_buffer
      - .offset:         16
        .size:           8
        .value_kind:     by_value
      - .offset:         24
        .size:           8
        .value_kind:     by_value
      - .offset:         32
        .size:           1
        .value_kind:     by_value
      - .offset:         36
        .size:           4
        .value_kind:     by_value
      - .offset:         40
        .size:           4
        .value_kind:     by_value
    .group_segment_fixed_size: 32768
    .kernarg_segment_align: 8
    .kernarg_segment_size: 44
    .language:       OpenCL C
    .language_version:
      - 2
      - 0
    .max_flat_workgroup_size: 1024
    .name:           _ZN7rocprim17ROCPRIM_304000_NS6detail26onesweep_histograms_kernelINS1_34wrapped_radix_sort_onesweep_configINS0_14default_configEdN2at4cuda3cub6detail10OpaqueTypeILi8EEEEELb0EPKdmNS0_19identity_decomposerEEEvT1_PT2_SG_SG_T3_jj
    .private_segment_fixed_size: 0
    .sgpr_count:     30
    .sgpr_spill_count: 0
    .symbol:         _ZN7rocprim17ROCPRIM_304000_NS6detail26onesweep_histograms_kernelINS1_34wrapped_radix_sort_onesweep_configINS0_14default_configEdN2at4cuda3cub6detail10OpaqueTypeILi8EEEEELb0EPKdmNS0_19identity_decomposerEEEvT1_PT2_SG_SG_T3_jj.kd
    .uniform_work_group_size: 1
    .uses_dynamic_stack: false
    .vgpr_count:     25
    .vgpr_spill_count: 0
    .wavefront_size: 64
  - .agpr_count:     0
    .args:
      - .address_space:  global
        .offset:         0
        .size:           8
        .value_kind:     global_buffer
      - .address_space:  global
        .offset:         8
        .size:           8
        .value_kind:     global_buffer
      - .address_space:  global
        .offset:         16
        .size:           8
        .value_kind:     global_buffer
      - .address_space:  global
        .offset:         24
        .size:           8
        .value_kind:     global_buffer
      - .offset:         32
        .size:           4
        .value_kind:     by_value
      - .address_space:  global
        .offset:         40
        .size:           8
        .value_kind:     global_buffer
      - .address_space:  global
        .offset:         48
        .size:           8
        .value_kind:     global_buffer
      - .address_space:  global
        .offset:         56
        .size:           8
        .value_kind:     global_buffer
      - .offset:         64
        .size:           1
        .value_kind:     by_value
      - .offset:         68
        .size:           4
        .value_kind:     by_value
      - .offset:         72
        .size:           4
        .value_kind:     by_value
      - .offset:         76
        .size:           4
        .value_kind:     by_value
      - .offset:         80
        .size:           4
        .value_kind:     hidden_block_count_x
      - .offset:         84
        .size:           4
        .value_kind:     hidden_block_count_y
      - .offset:         88
        .size:           4
        .value_kind:     hidden_block_count_z
      - .offset:         92
        .size:           2
        .value_kind:     hidden_group_size_x
      - .offset:         94
        .size:           2
        .value_kind:     hidden_group_size_y
      - .offset:         96
        .size:           2
        .value_kind:     hidden_group_size_z
      - .offset:         98
        .size:           2
        .value_kind:     hidden_remainder_x
      - .offset:         100
        .size:           2
        .value_kind:     hidden_remainder_y
      - .offset:         102
        .size:           2
        .value_kind:     hidden_remainder_z
      - .offset:         120
        .size:           8
        .value_kind:     hidden_global_offset_x
      - .offset:         128
        .size:           8
        .value_kind:     hidden_global_offset_y
      - .offset:         136
        .size:           8
        .value_kind:     hidden_global_offset_z
      - .offset:         144
        .size:           2
        .value_kind:     hidden_grid_dims
    .group_segment_fixed_size: 51200
    .kernarg_segment_align: 8
    .kernarg_segment_size: 336
    .language:       OpenCL C
    .language_version:
      - 2
      - 0
    .max_flat_workgroup_size: 1024
    .name:           _ZN7rocprim17ROCPRIM_304000_NS6detail25onesweep_iteration_kernelINS1_34wrapped_radix_sort_onesweep_configINS0_14default_configEdN2at4cuda3cub6detail10OpaqueTypeILi8EEEEELb0EPKdPdPKSA_PSA_mNS0_19identity_decomposerEEEvT1_T2_T3_T4_jPT5_SO_PNS1_23onesweep_lookback_stateET6_jjj
    .private_segment_fixed_size: 0
    .sgpr_count:     58
    .sgpr_spill_count: 0
    .symbol:         _ZN7rocprim17ROCPRIM_304000_NS6detail25onesweep_iteration_kernelINS1_34wrapped_radix_sort_onesweep_configINS0_14default_configEdN2at4cuda3cub6detail10OpaqueTypeILi8EEEEELb0EPKdPdPKSA_PSA_mNS0_19identity_decomposerEEEvT1_T2_T3_T4_jPT5_SO_PNS1_23onesweep_lookback_stateET6_jjj.kd
    .uniform_work_group_size: 1
    .uses_dynamic_stack: false
    .vgpr_count:     54
    .vgpr_spill_count: 0
    .wavefront_size: 64
  - .agpr_count:     0
    .args:
      - .address_space:  global
        .offset:         0
        .size:           8
        .value_kind:     global_buffer
      - .address_space:  global
        .offset:         8
        .size:           8
        .value_kind:     global_buffer
      - .address_space:  global
        .offset:         16
        .size:           8
        .value_kind:     global_buffer
      - .address_space:  global
        .offset:         24
        .size:           8
        .value_kind:     global_buffer
      - .offset:         32
        .size:           4
        .value_kind:     by_value
      - .address_space:  global
        .offset:         40
        .size:           8
        .value_kind:     global_buffer
      - .address_space:  global
        .offset:         48
        .size:           8
        .value_kind:     global_buffer
      - .address_space:  global
        .offset:         56
        .size:           8
        .value_kind:     global_buffer
      - .offset:         64
        .size:           1
        .value_kind:     by_value
      - .offset:         68
        .size:           4
        .value_kind:     by_value
      - .offset:         72
        .size:           4
        .value_kind:     by_value
      - .offset:         76
        .size:           4
        .value_kind:     by_value
      - .offset:         80
        .size:           4
        .value_kind:     hidden_block_count_x
      - .offset:         84
        .size:           4
        .value_kind:     hidden_block_count_y
      - .offset:         88
        .size:           4
        .value_kind:     hidden_block_count_z
      - .offset:         92
        .size:           2
        .value_kind:     hidden_group_size_x
      - .offset:         94
        .size:           2
        .value_kind:     hidden_group_size_y
      - .offset:         96
        .size:           2
        .value_kind:     hidden_group_size_z
      - .offset:         98
        .size:           2
        .value_kind:     hidden_remainder_x
      - .offset:         100
        .size:           2
        .value_kind:     hidden_remainder_y
      - .offset:         102
        .size:           2
        .value_kind:     hidden_remainder_z
      - .offset:         120
        .size:           8
        .value_kind:     hidden_global_offset_x
      - .offset:         128
        .size:           8
        .value_kind:     hidden_global_offset_y
      - .offset:         136
        .size:           8
        .value_kind:     hidden_global_offset_z
      - .offset:         144
        .size:           2
        .value_kind:     hidden_grid_dims
    .group_segment_fixed_size: 51200
    .kernarg_segment_align: 8
    .kernarg_segment_size: 336
    .language:       OpenCL C
    .language_version:
      - 2
      - 0
    .max_flat_workgroup_size: 1024
    .name:           _ZN7rocprim17ROCPRIM_304000_NS6detail25onesweep_iteration_kernelINS1_34wrapped_radix_sort_onesweep_configINS0_14default_configEdN2at4cuda3cub6detail10OpaqueTypeILi8EEEEELb0EPdSC_PSA_SD_mNS0_19identity_decomposerEEEvT1_T2_T3_T4_jPT5_SK_PNS1_23onesweep_lookback_stateET6_jjj
    .private_segment_fixed_size: 0
    .sgpr_count:     58
    .sgpr_spill_count: 0
    .symbol:         _ZN7rocprim17ROCPRIM_304000_NS6detail25onesweep_iteration_kernelINS1_34wrapped_radix_sort_onesweep_configINS0_14default_configEdN2at4cuda3cub6detail10OpaqueTypeILi8EEEEELb0EPdSC_PSA_SD_mNS0_19identity_decomposerEEEvT1_T2_T3_T4_jPT5_SK_PNS1_23onesweep_lookback_stateET6_jjj.kd
    .uniform_work_group_size: 1
    .uses_dynamic_stack: false
    .vgpr_count:     54
    .vgpr_spill_count: 0
    .wavefront_size: 64
  - .agpr_count:     0
    .args:
      - .address_space:  global
        .offset:         0
        .size:           8
        .value_kind:     global_buffer
      - .address_space:  global
        .offset:         8
        .size:           8
        .value_kind:     global_buffer
      - .address_space:  global
        .offset:         16
        .size:           8
        .value_kind:     global_buffer
      - .address_space:  global
        .offset:         24
        .size:           8
        .value_kind:     global_buffer
      - .offset:         32
        .size:           4
        .value_kind:     by_value
      - .offset:         36
        .size:           1
        .value_kind:     by_value
      - .offset:         40
        .size:           4
        .value_kind:     by_value
      - .offset:         44
        .size:           4
        .value_kind:     by_value
      - .offset:         48
        .size:           4
        .value_kind:     hidden_block_count_x
      - .offset:         52
        .size:           4
        .value_kind:     hidden_block_count_y
      - .offset:         56
        .size:           4
        .value_kind:     hidden_block_count_z
      - .offset:         60
        .size:           2
        .value_kind:     hidden_group_size_x
      - .offset:         62
        .size:           2
        .value_kind:     hidden_group_size_y
      - .offset:         64
        .size:           2
        .value_kind:     hidden_group_size_z
      - .offset:         66
        .size:           2
        .value_kind:     hidden_remainder_x
      - .offset:         68
        .size:           2
        .value_kind:     hidden_remainder_y
      - .offset:         70
        .size:           2
        .value_kind:     hidden_remainder_z
      - .offset:         88
        .size:           8
        .value_kind:     hidden_global_offset_x
      - .offset:         96
        .size:           8
        .value_kind:     hidden_global_offset_y
      - .offset:         104
        .size:           8
        .value_kind:     hidden_global_offset_z
      - .offset:         112
        .size:           2
        .value_kind:     hidden_grid_dims
    .group_segment_fixed_size: 8192
    .kernarg_segment_align: 8
    .kernarg_segment_size: 304
    .language:       OpenCL C
    .language_version:
      - 2
      - 0
    .max_flat_workgroup_size: 256
    .name:           _ZN7rocprim17ROCPRIM_304000_NS6detail28radix_sort_block_sort_kernelINS1_36wrapped_radix_sort_block_sort_configINS0_13kernel_configILj256ELj4ELj4294967295EEEbN2at4cuda3cub6detail10OpaqueTypeILi8EEEEELb1EPKbPbPKSB_PSB_NS0_19identity_decomposerEEEvT1_T2_T3_T4_jT5_jj
    .private_segment_fixed_size: 0
    .sgpr_count:     48
    .sgpr_spill_count: 0
    .symbol:         _ZN7rocprim17ROCPRIM_304000_NS6detail28radix_sort_block_sort_kernelINS1_36wrapped_radix_sort_block_sort_configINS0_13kernel_configILj256ELj4ELj4294967295EEEbN2at4cuda3cub6detail10OpaqueTypeILi8EEEEELb1EPKbPbPKSB_PSB_NS0_19identity_decomposerEEEvT1_T2_T3_T4_jT5_jj.kd
    .uniform_work_group_size: 1
    .uses_dynamic_stack: false
    .vgpr_count:     48
    .vgpr_spill_count: 0
    .wavefront_size: 64
  - .agpr_count:     0
    .args:           []
    .group_segment_fixed_size: 0
    .kernarg_segment_align: 4
    .kernarg_segment_size: 0
    .language:       OpenCL C
    .language_version:
      - 2
      - 0
    .max_flat_workgroup_size: 1024
    .name:           _ZN7rocprim17ROCPRIM_304000_NS6detail39device_merge_sort_compile_time_verifierINS1_36wrapped_merge_sort_block_sort_configINS1_28merge_sort_block_sort_configILj256ELj4ELNS0_20block_sort_algorithmE0EEEbN2at4cuda3cub6detail10OpaqueTypeILi8EEEEENS1_37wrapped_merge_sort_block_merge_configINS0_14default_configEbSC_EEEEvv
    .private_segment_fixed_size: 0
    .sgpr_count:     4
    .sgpr_spill_count: 0
    .symbol:         _ZN7rocprim17ROCPRIM_304000_NS6detail39device_merge_sort_compile_time_verifierINS1_36wrapped_merge_sort_block_sort_configINS1_28merge_sort_block_sort_configILj256ELj4ELNS0_20block_sort_algorithmE0EEEbN2at4cuda3cub6detail10OpaqueTypeILi8EEEEENS1_37wrapped_merge_sort_block_merge_configINS0_14default_configEbSC_EEEEvv.kd
    .uniform_work_group_size: 1
    .uses_dynamic_stack: false
    .vgpr_count:     0
    .vgpr_spill_count: 0
    .wavefront_size: 64
  - .agpr_count:     0
    .args:
      - .address_space:  global
        .offset:         0
        .size:           8
        .value_kind:     global_buffer
      - .offset:         8
        .size:           4
        .value_kind:     by_value
      - .offset:         12
        .size:           4
        .value_kind:     by_value
      - .address_space:  global
        .offset:         16
        .size:           8
        .value_kind:     global_buffer
      - .offset:         24
        .size:           1
        .value_kind:     by_value
      - .offset:         28
        .size:           4
        .value_kind:     by_value
    .group_segment_fixed_size: 0
    .kernarg_segment_align: 8
    .kernarg_segment_size: 32
    .language:       OpenCL C
    .language_version:
      - 2
      - 0
    .max_flat_workgroup_size: 128
    .name:           _ZN7rocprim17ROCPRIM_304000_NS6detail45device_block_merge_mergepath_partition_kernelINS1_37wrapped_merge_sort_block_merge_configINS0_14default_configEbN2at4cuda3cub6detail10OpaqueTypeILi8EEEEEPbjNS1_19radix_merge_compareILb1ELb0EbNS0_19identity_decomposerEEEEEvT0_T1_jPSH_T2_SH_
    .private_segment_fixed_size: 0
    .sgpr_count:     11
    .sgpr_spill_count: 0
    .symbol:         _ZN7rocprim17ROCPRIM_304000_NS6detail45device_block_merge_mergepath_partition_kernelINS1_37wrapped_merge_sort_block_merge_configINS0_14default_configEbN2at4cuda3cub6detail10OpaqueTypeILi8EEEEEPbjNS1_19radix_merge_compareILb1ELb0EbNS0_19identity_decomposerEEEEEvT0_T1_jPSH_T2_SH_.kd
    .uniform_work_group_size: 1
    .uses_dynamic_stack: false
    .vgpr_count:     16
    .vgpr_spill_count: 0
    .wavefront_size: 64
  - .agpr_count:     0
    .args:
      - .address_space:  global
        .offset:         0
        .size:           8
        .value_kind:     global_buffer
      - .address_space:  global
        .offset:         8
        .size:           8
        .value_kind:     global_buffer
      - .address_space:  global
        .offset:         16
        .size:           8
        .value_kind:     global_buffer
      - .address_space:  global
        .offset:         24
        .size:           8
        .value_kind:     global_buffer
      - .offset:         32
        .size:           4
        .value_kind:     by_value
      - .offset:         36
        .size:           4
        .value_kind:     by_value
      - .offset:         40
        .size:           4
        .value_kind:     by_value
      - .offset:         44
        .size:           1
        .value_kind:     by_value
      - .address_space:  global
        .offset:         48
        .size:           8
        .value_kind:     global_buffer
      - .address_space:  global
        .offset:         56
        .size:           8
        .value_kind:     global_buffer
      - .offset:         64
        .size:           4
        .value_kind:     hidden_block_count_x
      - .offset:         68
        .size:           4
        .value_kind:     hidden_block_count_y
      - .offset:         72
        .size:           4
        .value_kind:     hidden_block_count_z
      - .offset:         76
        .size:           2
        .value_kind:     hidden_group_size_x
      - .offset:         78
        .size:           2
        .value_kind:     hidden_group_size_y
      - .offset:         80
        .size:           2
        .value_kind:     hidden_group_size_z
      - .offset:         82
        .size:           2
        .value_kind:     hidden_remainder_x
      - .offset:         84
        .size:           2
        .value_kind:     hidden_remainder_y
      - .offset:         86
        .size:           2
        .value_kind:     hidden_remainder_z
      - .offset:         104
        .size:           8
        .value_kind:     hidden_global_offset_x
      - .offset:         112
        .size:           8
        .value_kind:     hidden_global_offset_y
      - .offset:         120
        .size:           8
        .value_kind:     hidden_global_offset_z
      - .offset:         128
        .size:           2
        .value_kind:     hidden_grid_dims
    .group_segment_fixed_size: 8208
    .kernarg_segment_align: 8
    .kernarg_segment_size: 320
    .language:       OpenCL C
    .language_version:
      - 2
      - 0
    .max_flat_workgroup_size: 256
    .name:           _ZN7rocprim17ROCPRIM_304000_NS6detail35device_block_merge_mergepath_kernelINS1_37wrapped_merge_sort_block_merge_configINS0_14default_configEbN2at4cuda3cub6detail10OpaqueTypeILi8EEEEEPbSC_PSA_SD_jNS1_19radix_merge_compareILb1ELb0EbNS0_19identity_decomposerEEEEEvT0_T1_T2_T3_T4_SL_jT5_PKSL_NS1_7vsmem_tE
    .private_segment_fixed_size: 0
    .sgpr_count:     34
    .sgpr_spill_count: 0
    .symbol:         _ZN7rocprim17ROCPRIM_304000_NS6detail35device_block_merge_mergepath_kernelINS1_37wrapped_merge_sort_block_merge_configINS0_14default_configEbN2at4cuda3cub6detail10OpaqueTypeILi8EEEEEPbSC_PSA_SD_jNS1_19radix_merge_compareILb1ELb0EbNS0_19identity_decomposerEEEEEvT0_T1_T2_T3_T4_SL_jT5_PKSL_NS1_7vsmem_tE.kd
    .uniform_work_group_size: 1
    .uses_dynamic_stack: false
    .vgpr_count:     25
    .vgpr_spill_count: 0
    .wavefront_size: 64
  - .agpr_count:     0
    .args:
      - .address_space:  global
        .offset:         0
        .size:           8
        .value_kind:     global_buffer
      - .address_space:  global
        .offset:         8
        .size:           8
        .value_kind:     global_buffer
      - .address_space:  global
        .offset:         16
        .size:           8
        .value_kind:     global_buffer
      - .address_space:  global
        .offset:         24
        .size:           8
        .value_kind:     global_buffer
      - .offset:         32
        .size:           4
        .value_kind:     by_value
      - .offset:         36
        .size:           4
        .value_kind:     by_value
      - .offset:         40
        .size:           1
        .value_kind:     by_value
    .group_segment_fixed_size: 0
    .kernarg_segment_align: 8
    .kernarg_segment_size: 44
    .language:       OpenCL C
    .language_version:
      - 2
      - 0
    .max_flat_workgroup_size: 256
    .name:           _ZN7rocprim17ROCPRIM_304000_NS6detail33device_block_merge_oddeven_kernelINS1_37wrapped_merge_sort_block_merge_configINS0_14default_configEbN2at4cuda3cub6detail10OpaqueTypeILi8EEEEEPbSC_PSA_SD_jNS1_19radix_merge_compareILb1ELb0EbNS0_19identity_decomposerEEEEEvT0_T1_T2_T3_T4_SL_T5_
    .private_segment_fixed_size: 0
    .sgpr_count:     27
    .sgpr_spill_count: 0
    .symbol:         _ZN7rocprim17ROCPRIM_304000_NS6detail33device_block_merge_oddeven_kernelINS1_37wrapped_merge_sort_block_merge_configINS0_14default_configEbN2at4cuda3cub6detail10OpaqueTypeILi8EEEEEPbSC_PSA_SD_jNS1_19radix_merge_compareILb1ELb0EbNS0_19identity_decomposerEEEEEvT0_T1_T2_T3_T4_SL_T5_.kd
    .uniform_work_group_size: 1
    .uses_dynamic_stack: false
    .vgpr_count:     10
    .vgpr_spill_count: 0
    .wavefront_size: 64
  - .agpr_count:     0
    .args:
      - .address_space:  global
        .offset:         0
        .size:           8
        .value_kind:     global_buffer
      - .offset:         8
        .size:           8
        .value_kind:     by_value
      - .address_space:  global
        .offset:         16
        .size:           8
        .value_kind:     global_buffer
      - .offset:         24
        .size:           1
        .value_kind:     by_value
      - .offset:         32
        .size:           4
        .value_kind:     hidden_block_count_x
      - .offset:         36
        .size:           4
        .value_kind:     hidden_block_count_y
      - .offset:         40
        .size:           4
        .value_kind:     hidden_block_count_z
      - .offset:         44
        .size:           2
        .value_kind:     hidden_group_size_x
      - .offset:         46
        .size:           2
        .value_kind:     hidden_group_size_y
      - .offset:         48
        .size:           2
        .value_kind:     hidden_group_size_z
      - .offset:         50
        .size:           2
        .value_kind:     hidden_remainder_x
      - .offset:         52
        .size:           2
        .value_kind:     hidden_remainder_y
      - .offset:         54
        .size:           2
        .value_kind:     hidden_remainder_z
      - .offset:         72
        .size:           8
        .value_kind:     hidden_global_offset_x
      - .offset:         80
        .size:           8
        .value_kind:     hidden_global_offset_y
      - .offset:         88
        .size:           8
        .value_kind:     hidden_global_offset_z
      - .offset:         96
        .size:           2
        .value_kind:     hidden_grid_dims
    .group_segment_fixed_size: 0
    .kernarg_segment_align: 8
    .kernarg_segment_size: 288
    .language:       OpenCL C
    .language_version:
      - 2
      - 0
    .max_flat_workgroup_size: 64
    .name:           _ZN7rocprim17ROCPRIM_304000_NS6detail16transform_kernelINS1_24wrapped_transform_configINS0_14default_configEbEEbPbS6_NS0_8identityIbEEEEvT1_mT2_T3_
    .private_segment_fixed_size: 0
    .sgpr_count:     43
    .sgpr_spill_count: 0
    .symbol:         _ZN7rocprim17ROCPRIM_304000_NS6detail16transform_kernelINS1_24wrapped_transform_configINS0_14default_configEbEEbPbS6_NS0_8identityIbEEEEvT1_mT2_T3_.kd
    .uniform_work_group_size: 1
    .uses_dynamic_stack: false
    .vgpr_count:     21
    .vgpr_spill_count: 0
    .wavefront_size: 64
  - .agpr_count:     0
    .args:
      - .address_space:  global
        .offset:         0
        .size:           8
        .value_kind:     global_buffer
      - .offset:         8
        .size:           4
        .value_kind:     by_value
      - .offset:         12
        .size:           4
        .value_kind:     by_value
      - .address_space:  global
        .offset:         16
        .size:           8
        .value_kind:     global_buffer
      - .offset:         24
        .size:           1
        .value_kind:     by_value
      - .offset:         28
        .size:           4
        .value_kind:     by_value
    .group_segment_fixed_size: 0
    .kernarg_segment_align: 8
    .kernarg_segment_size: 32
    .language:       OpenCL C
    .language_version:
      - 2
      - 0
    .max_flat_workgroup_size: 128
    .name:           _ZN7rocprim17ROCPRIM_304000_NS6detail45device_block_merge_mergepath_partition_kernelINS1_37wrapped_merge_sort_block_merge_configINS0_14default_configEbN2at4cuda3cub6detail10OpaqueTypeILi8EEEEEPbjNS1_19radix_merge_compareILb1ELb1EbNS0_19identity_decomposerEEEEEvT0_T1_jPSH_T2_SH_
    .private_segment_fixed_size: 0
    .sgpr_count:     12
    .sgpr_spill_count: 0
    .symbol:         _ZN7rocprim17ROCPRIM_304000_NS6detail45device_block_merge_mergepath_partition_kernelINS1_37wrapped_merge_sort_block_merge_configINS0_14default_configEbN2at4cuda3cub6detail10OpaqueTypeILi8EEEEEPbjNS1_19radix_merge_compareILb1ELb1EbNS0_19identity_decomposerEEEEEvT0_T1_jPSH_T2_SH_.kd
    .uniform_work_group_size: 1
    .uses_dynamic_stack: false
    .vgpr_count:     17
    .vgpr_spill_count: 0
    .wavefront_size: 64
  - .agpr_count:     0
    .args:
      - .address_space:  global
        .offset:         0
        .size:           8
        .value_kind:     global_buffer
      - .address_space:  global
        .offset:         8
        .size:           8
        .value_kind:     global_buffer
      - .address_space:  global
        .offset:         16
        .size:           8
        .value_kind:     global_buffer
      - .address_space:  global
        .offset:         24
        .size:           8
        .value_kind:     global_buffer
      - .offset:         32
        .size:           4
        .value_kind:     by_value
      - .offset:         36
        .size:           4
        .value_kind:     by_value
      - .offset:         40
        .size:           4
        .value_kind:     by_value
      - .offset:         44
        .size:           1
        .value_kind:     by_value
      - .address_space:  global
        .offset:         48
        .size:           8
        .value_kind:     global_buffer
      - .address_space:  global
        .offset:         56
        .size:           8
        .value_kind:     global_buffer
      - .offset:         64
        .size:           4
        .value_kind:     hidden_block_count_x
      - .offset:         68
        .size:           4
        .value_kind:     hidden_block_count_y
      - .offset:         72
        .size:           4
        .value_kind:     hidden_block_count_z
      - .offset:         76
        .size:           2
        .value_kind:     hidden_group_size_x
      - .offset:         78
        .size:           2
        .value_kind:     hidden_group_size_y
      - .offset:         80
        .size:           2
        .value_kind:     hidden_group_size_z
      - .offset:         82
        .size:           2
        .value_kind:     hidden_remainder_x
      - .offset:         84
        .size:           2
        .value_kind:     hidden_remainder_y
      - .offset:         86
        .size:           2
        .value_kind:     hidden_remainder_z
      - .offset:         104
        .size:           8
        .value_kind:     hidden_global_offset_x
      - .offset:         112
        .size:           8
        .value_kind:     hidden_global_offset_y
      - .offset:         120
        .size:           8
        .value_kind:     hidden_global_offset_z
      - .offset:         128
        .size:           2
        .value_kind:     hidden_grid_dims
    .group_segment_fixed_size: 8208
    .kernarg_segment_align: 8
    .kernarg_segment_size: 320
    .language:       OpenCL C
    .language_version:
      - 2
      - 0
    .max_flat_workgroup_size: 256
    .name:           _ZN7rocprim17ROCPRIM_304000_NS6detail35device_block_merge_mergepath_kernelINS1_37wrapped_merge_sort_block_merge_configINS0_14default_configEbN2at4cuda3cub6detail10OpaqueTypeILi8EEEEEPbSC_PSA_SD_jNS1_19radix_merge_compareILb1ELb1EbNS0_19identity_decomposerEEEEEvT0_T1_T2_T3_T4_SL_jT5_PKSL_NS1_7vsmem_tE
    .private_segment_fixed_size: 0
    .sgpr_count:     34
    .sgpr_spill_count: 0
    .symbol:         _ZN7rocprim17ROCPRIM_304000_NS6detail35device_block_merge_mergepath_kernelINS1_37wrapped_merge_sort_block_merge_configINS0_14default_configEbN2at4cuda3cub6detail10OpaqueTypeILi8EEEEEPbSC_PSA_SD_jNS1_19radix_merge_compareILb1ELb1EbNS0_19identity_decomposerEEEEEvT0_T1_T2_T3_T4_SL_jT5_PKSL_NS1_7vsmem_tE.kd
    .uniform_work_group_size: 1
    .uses_dynamic_stack: false
    .vgpr_count:     25
    .vgpr_spill_count: 0
    .wavefront_size: 64
  - .agpr_count:     0
    .args:
      - .address_space:  global
        .offset:         0
        .size:           8
        .value_kind:     global_buffer
      - .address_space:  global
        .offset:         8
        .size:           8
        .value_kind:     global_buffer
      - .address_space:  global
        .offset:         16
        .size:           8
        .value_kind:     global_buffer
      - .address_space:  global
        .offset:         24
        .size:           8
        .value_kind:     global_buffer
      - .offset:         32
        .size:           4
        .value_kind:     by_value
      - .offset:         36
        .size:           4
        .value_kind:     by_value
      - .offset:         40
        .size:           1
        .value_kind:     by_value
    .group_segment_fixed_size: 0
    .kernarg_segment_align: 8
    .kernarg_segment_size: 44
    .language:       OpenCL C
    .language_version:
      - 2
      - 0
    .max_flat_workgroup_size: 256
    .name:           _ZN7rocprim17ROCPRIM_304000_NS6detail33device_block_merge_oddeven_kernelINS1_37wrapped_merge_sort_block_merge_configINS0_14default_configEbN2at4cuda3cub6detail10OpaqueTypeILi8EEEEEPbSC_PSA_SD_jNS1_19radix_merge_compareILb1ELb1EbNS0_19identity_decomposerEEEEEvT0_T1_T2_T3_T4_SL_T5_
    .private_segment_fixed_size: 0
    .sgpr_count:     28
    .sgpr_spill_count: 0
    .symbol:         _ZN7rocprim17ROCPRIM_304000_NS6detail33device_block_merge_oddeven_kernelINS1_37wrapped_merge_sort_block_merge_configINS0_14default_configEbN2at4cuda3cub6detail10OpaqueTypeILi8EEEEEPbSC_PSA_SD_jNS1_19radix_merge_compareILb1ELb1EbNS0_19identity_decomposerEEEEEvT0_T1_T2_T3_T4_SL_T5_.kd
    .uniform_work_group_size: 1
    .uses_dynamic_stack: false
    .vgpr_count:     12
    .vgpr_spill_count: 0
    .wavefront_size: 64
  - .agpr_count:     0
    .args:
      - .address_space:  global
        .offset:         0
        .size:           8
        .value_kind:     global_buffer
      - .address_space:  global
        .offset:         8
        .size:           8
        .value_kind:     global_buffer
      - .offset:         16
        .size:           8
        .value_kind:     by_value
      - .offset:         24
        .size:           8
        .value_kind:     by_value
      - .offset:         32
        .size:           1
        .value_kind:     by_value
      - .offset:         36
        .size:           4
        .value_kind:     by_value
      - .offset:         40
        .size:           4
        .value_kind:     by_value
    .group_segment_fixed_size: 4096
    .kernarg_segment_align: 8
    .kernarg_segment_size: 44
    .language:       OpenCL C
    .language_version:
      - 2
      - 0
    .max_flat_workgroup_size: 512
    .name:           _ZN7rocprim17ROCPRIM_304000_NS6detail26onesweep_histograms_kernelINS1_34wrapped_radix_sort_onesweep_configINS0_14default_configEbN2at4cuda3cub6detail10OpaqueTypeILi8EEEEELb1EPKbmNS0_19identity_decomposerEEEvT1_PT2_SG_SG_T3_jj
    .private_segment_fixed_size: 0
    .sgpr_count:     39
    .sgpr_spill_count: 0
    .symbol:         _ZN7rocprim17ROCPRIM_304000_NS6detail26onesweep_histograms_kernelINS1_34wrapped_radix_sort_onesweep_configINS0_14default_configEbN2at4cuda3cub6detail10OpaqueTypeILi8EEEEELb1EPKbmNS0_19identity_decomposerEEEvT1_PT2_SG_SG_T3_jj.kd
    .uniform_work_group_size: 1
    .uses_dynamic_stack: false
    .vgpr_count:     18
    .vgpr_spill_count: 0
    .wavefront_size: 64
  - .agpr_count:     0
    .args:
      - .address_space:  global
        .offset:         0
        .size:           8
        .value_kind:     global_buffer
    .group_segment_fixed_size: 64
    .kernarg_segment_align: 8
    .kernarg_segment_size: 8
    .language:       OpenCL C
    .language_version:
      - 2
      - 0
    .max_flat_workgroup_size: 512
    .name:           _ZN7rocprim17ROCPRIM_304000_NS6detail31onesweep_scan_histograms_kernelINS1_34wrapped_radix_sort_onesweep_configINS0_14default_configEbN2at4cuda3cub6detail10OpaqueTypeILi8EEEEEmEEvPT0_
    .private_segment_fixed_size: 0
    .sgpr_count:     14
    .sgpr_spill_count: 0
    .symbol:         _ZN7rocprim17ROCPRIM_304000_NS6detail31onesweep_scan_histograms_kernelINS1_34wrapped_radix_sort_onesweep_configINS0_14default_configEbN2at4cuda3cub6detail10OpaqueTypeILi8EEEEEmEEvPT0_.kd
    .uniform_work_group_size: 1
    .uses_dynamic_stack: false
    .vgpr_count:     14
    .vgpr_spill_count: 0
    .wavefront_size: 64
  - .agpr_count:     0
    .args:
      - .address_space:  global
        .offset:         0
        .size:           8
        .value_kind:     global_buffer
      - .offset:         8
        .size:           8
        .value_kind:     by_value
      - .address_space:  global
        .offset:         16
        .size:           8
        .value_kind:     global_buffer
      - .offset:         24
        .size:           1
        .value_kind:     by_value
      - .offset:         32
        .size:           4
        .value_kind:     hidden_block_count_x
      - .offset:         36
        .size:           4
        .value_kind:     hidden_block_count_y
      - .offset:         40
        .size:           4
        .value_kind:     hidden_block_count_z
      - .offset:         44
        .size:           2
        .value_kind:     hidden_group_size_x
      - .offset:         46
        .size:           2
        .value_kind:     hidden_group_size_y
      - .offset:         48
        .size:           2
        .value_kind:     hidden_group_size_z
      - .offset:         50
        .size:           2
        .value_kind:     hidden_remainder_x
      - .offset:         52
        .size:           2
        .value_kind:     hidden_remainder_y
      - .offset:         54
        .size:           2
        .value_kind:     hidden_remainder_z
      - .offset:         72
        .size:           8
        .value_kind:     hidden_global_offset_x
      - .offset:         80
        .size:           8
        .value_kind:     hidden_global_offset_y
      - .offset:         88
        .size:           8
        .value_kind:     hidden_global_offset_z
      - .offset:         96
        .size:           2
        .value_kind:     hidden_grid_dims
    .group_segment_fixed_size: 0
    .kernarg_segment_align: 8
    .kernarg_segment_size: 288
    .language:       OpenCL C
    .language_version:
      - 2
      - 0
    .max_flat_workgroup_size: 64
    .name:           _ZN7rocprim17ROCPRIM_304000_NS6detail16transform_kernelINS1_24wrapped_transform_configINS0_14default_configEbEEbPKbPbNS0_8identityIbEEEEvT1_mT2_T3_
    .private_segment_fixed_size: 0
    .sgpr_count:     43
    .sgpr_spill_count: 0
    .symbol:         _ZN7rocprim17ROCPRIM_304000_NS6detail16transform_kernelINS1_24wrapped_transform_configINS0_14default_configEbEEbPKbPbNS0_8identityIbEEEEvT1_mT2_T3_.kd
    .uniform_work_group_size: 1
    .uses_dynamic_stack: false
    .vgpr_count:     21
    .vgpr_spill_count: 0
    .wavefront_size: 64
  - .agpr_count:     0
    .args:
      - .address_space:  global
        .offset:         0
        .size:           8
        .value_kind:     global_buffer
      - .address_space:  global
        .offset:         8
        .size:           8
        .value_kind:     global_buffer
      - .address_space:  global
        .offset:         16
        .size:           8
        .value_kind:     global_buffer
      - .address_space:  global
        .offset:         24
        .size:           8
        .value_kind:     global_buffer
      - .offset:         32
        .size:           4
        .value_kind:     by_value
      - .address_space:  global
        .offset:         40
        .size:           8
        .value_kind:     global_buffer
      - .address_space:  global
        .offset:         48
        .size:           8
        .value_kind:     global_buffer
      - .address_space:  global
        .offset:         56
        .size:           8
        .value_kind:     global_buffer
      - .offset:         64
        .size:           1
        .value_kind:     by_value
      - .offset:         68
        .size:           4
        .value_kind:     by_value
      - .offset:         72
        .size:           4
        .value_kind:     by_value
      - .offset:         76
        .size:           4
        .value_kind:     by_value
      - .offset:         80
        .size:           4
        .value_kind:     hidden_block_count_x
      - .offset:         84
        .size:           4
        .value_kind:     hidden_block_count_y
      - .offset:         88
        .size:           4
        .value_kind:     hidden_block_count_z
      - .offset:         92
        .size:           2
        .value_kind:     hidden_group_size_x
      - .offset:         94
        .size:           2
        .value_kind:     hidden_group_size_y
      - .offset:         96
        .size:           2
        .value_kind:     hidden_group_size_z
      - .offset:         98
        .size:           2
        .value_kind:     hidden_remainder_x
      - .offset:         100
        .size:           2
        .value_kind:     hidden_remainder_y
      - .offset:         102
        .size:           2
        .value_kind:     hidden_remainder_z
      - .offset:         120
        .size:           8
        .value_kind:     hidden_global_offset_x
      - .offset:         128
        .size:           8
        .value_kind:     hidden_global_offset_y
      - .offset:         136
        .size:           8
        .value_kind:     hidden_global_offset_z
      - .offset:         144
        .size:           2
        .value_kind:     hidden_grid_dims
    .group_segment_fixed_size: 26624
    .kernarg_segment_align: 8
    .kernarg_segment_size: 336
    .language:       OpenCL C
    .language_version:
      - 2
      - 0
    .max_flat_workgroup_size: 512
    .name:           _ZN7rocprim17ROCPRIM_304000_NS6detail25onesweep_iteration_kernelINS1_34wrapped_radix_sort_onesweep_configINS0_14default_configEbN2at4cuda3cub6detail10OpaqueTypeILi8EEEEELb1EPKbPbPKSA_PSA_mNS0_19identity_decomposerEEEvT1_T2_T3_T4_jPT5_SO_PNS1_23onesweep_lookback_stateET6_jjj
    .private_segment_fixed_size: 0
    .sgpr_count:     57
    .sgpr_spill_count: 0
    .symbol:         _ZN7rocprim17ROCPRIM_304000_NS6detail25onesweep_iteration_kernelINS1_34wrapped_radix_sort_onesweep_configINS0_14default_configEbN2at4cuda3cub6detail10OpaqueTypeILi8EEEEELb1EPKbPbPKSA_PSA_mNS0_19identity_decomposerEEEvT1_T2_T3_T4_jPT5_SO_PNS1_23onesweep_lookback_stateET6_jjj.kd
    .uniform_work_group_size: 1
    .uses_dynamic_stack: false
    .vgpr_count:     40
    .vgpr_spill_count: 0
    .wavefront_size: 64
  - .agpr_count:     0
    .args:
      - .address_space:  global
        .offset:         0
        .size:           8
        .value_kind:     global_buffer
      - .address_space:  global
        .offset:         8
        .size:           8
        .value_kind:     global_buffer
      - .address_space:  global
        .offset:         16
        .size:           8
        .value_kind:     global_buffer
      - .address_space:  global
        .offset:         24
        .size:           8
        .value_kind:     global_buffer
      - .offset:         32
        .size:           4
        .value_kind:     by_value
      - .address_space:  global
        .offset:         40
        .size:           8
        .value_kind:     global_buffer
      - .address_space:  global
        .offset:         48
        .size:           8
        .value_kind:     global_buffer
      - .address_space:  global
        .offset:         56
        .size:           8
        .value_kind:     global_buffer
      - .offset:         64
        .size:           1
        .value_kind:     by_value
      - .offset:         68
        .size:           4
        .value_kind:     by_value
      - .offset:         72
        .size:           4
        .value_kind:     by_value
      - .offset:         76
        .size:           4
        .value_kind:     by_value
      - .offset:         80
        .size:           4
        .value_kind:     hidden_block_count_x
      - .offset:         84
        .size:           4
        .value_kind:     hidden_block_count_y
      - .offset:         88
        .size:           4
        .value_kind:     hidden_block_count_z
      - .offset:         92
        .size:           2
        .value_kind:     hidden_group_size_x
      - .offset:         94
        .size:           2
        .value_kind:     hidden_group_size_y
      - .offset:         96
        .size:           2
        .value_kind:     hidden_group_size_z
      - .offset:         98
        .size:           2
        .value_kind:     hidden_remainder_x
      - .offset:         100
        .size:           2
        .value_kind:     hidden_remainder_y
      - .offset:         102
        .size:           2
        .value_kind:     hidden_remainder_z
      - .offset:         120
        .size:           8
        .value_kind:     hidden_global_offset_x
      - .offset:         128
        .size:           8
        .value_kind:     hidden_global_offset_y
      - .offset:         136
        .size:           8
        .value_kind:     hidden_global_offset_z
      - .offset:         144
        .size:           2
        .value_kind:     hidden_grid_dims
    .group_segment_fixed_size: 26624
    .kernarg_segment_align: 8
    .kernarg_segment_size: 336
    .language:       OpenCL C
    .language_version:
      - 2
      - 0
    .max_flat_workgroup_size: 512
    .name:           _ZN7rocprim17ROCPRIM_304000_NS6detail25onesweep_iteration_kernelINS1_34wrapped_radix_sort_onesweep_configINS0_14default_configEbN2at4cuda3cub6detail10OpaqueTypeILi8EEEEELb1EPbSC_PSA_SD_mNS0_19identity_decomposerEEEvT1_T2_T3_T4_jPT5_SK_PNS1_23onesweep_lookback_stateET6_jjj
    .private_segment_fixed_size: 0
    .sgpr_count:     57
    .sgpr_spill_count: 0
    .symbol:         _ZN7rocprim17ROCPRIM_304000_NS6detail25onesweep_iteration_kernelINS1_34wrapped_radix_sort_onesweep_configINS0_14default_configEbN2at4cuda3cub6detail10OpaqueTypeILi8EEEEELb1EPbSC_PSA_SD_mNS0_19identity_decomposerEEEvT1_T2_T3_T4_jPT5_SK_PNS1_23onesweep_lookback_stateET6_jjj.kd
    .uniform_work_group_size: 1
    .uses_dynamic_stack: false
    .vgpr_count:     40
    .vgpr_spill_count: 0
    .wavefront_size: 64
  - .agpr_count:     0
    .args:
      - .address_space:  global
        .offset:         0
        .size:           8
        .value_kind:     global_buffer
      - .address_space:  global
        .offset:         8
        .size:           8
        .value_kind:     global_buffer
      - .address_space:  global
        .offset:         16
        .size:           8
        .value_kind:     global_buffer
      - .address_space:  global
        .offset:         24
        .size:           8
        .value_kind:     global_buffer
      - .offset:         32
        .size:           4
        .value_kind:     by_value
      - .offset:         36
        .size:           1
        .value_kind:     by_value
      - .offset:         40
        .size:           4
        .value_kind:     by_value
      - .offset:         44
        .size:           4
        .value_kind:     by_value
      - .offset:         48
        .size:           4
        .value_kind:     hidden_block_count_x
      - .offset:         52
        .size:           4
        .value_kind:     hidden_block_count_y
      - .offset:         56
        .size:           4
        .value_kind:     hidden_block_count_z
      - .offset:         60
        .size:           2
        .value_kind:     hidden_group_size_x
      - .offset:         62
        .size:           2
        .value_kind:     hidden_group_size_y
      - .offset:         64
        .size:           2
        .value_kind:     hidden_group_size_z
      - .offset:         66
        .size:           2
        .value_kind:     hidden_remainder_x
      - .offset:         68
        .size:           2
        .value_kind:     hidden_remainder_y
      - .offset:         70
        .size:           2
        .value_kind:     hidden_remainder_z
      - .offset:         88
        .size:           8
        .value_kind:     hidden_global_offset_x
      - .offset:         96
        .size:           8
        .value_kind:     hidden_global_offset_y
      - .offset:         104
        .size:           8
        .value_kind:     hidden_global_offset_z
      - .offset:         112
        .size:           2
        .value_kind:     hidden_grid_dims
    .group_segment_fixed_size: 8192
    .kernarg_segment_align: 8
    .kernarg_segment_size: 304
    .language:       OpenCL C
    .language_version:
      - 2
      - 0
    .max_flat_workgroup_size: 256
    .name:           _ZN7rocprim17ROCPRIM_304000_NS6detail28radix_sort_block_sort_kernelINS1_36wrapped_radix_sort_block_sort_configINS0_13kernel_configILj256ELj4ELj4294967295EEEbN2at4cuda3cub6detail10OpaqueTypeILi8EEEEELb0EPKbPbPKSB_PSB_NS0_19identity_decomposerEEEvT1_T2_T3_T4_jT5_jj
    .private_segment_fixed_size: 0
    .sgpr_count:     48
    .sgpr_spill_count: 0
    .symbol:         _ZN7rocprim17ROCPRIM_304000_NS6detail28radix_sort_block_sort_kernelINS1_36wrapped_radix_sort_block_sort_configINS0_13kernel_configILj256ELj4ELj4294967295EEEbN2at4cuda3cub6detail10OpaqueTypeILi8EEEEELb0EPKbPbPKSB_PSB_NS0_19identity_decomposerEEEvT1_T2_T3_T4_jT5_jj.kd
    .uniform_work_group_size: 1
    .uses_dynamic_stack: false
    .vgpr_count:     52
    .vgpr_spill_count: 0
    .wavefront_size: 64
  - .agpr_count:     0
    .args:
      - .address_space:  global
        .offset:         0
        .size:           8
        .value_kind:     global_buffer
      - .offset:         8
        .size:           4
        .value_kind:     by_value
      - .offset:         12
        .size:           4
        .value_kind:     by_value
      - .address_space:  global
        .offset:         16
        .size:           8
        .value_kind:     global_buffer
      - .offset:         24
        .size:           1
        .value_kind:     by_value
      - .offset:         28
        .size:           4
        .value_kind:     by_value
    .group_segment_fixed_size: 0
    .kernarg_segment_align: 8
    .kernarg_segment_size: 32
    .language:       OpenCL C
    .language_version:
      - 2
      - 0
    .max_flat_workgroup_size: 128
    .name:           _ZN7rocprim17ROCPRIM_304000_NS6detail45device_block_merge_mergepath_partition_kernelINS1_37wrapped_merge_sort_block_merge_configINS0_14default_configEbN2at4cuda3cub6detail10OpaqueTypeILi8EEEEEPbjNS1_19radix_merge_compareILb0ELb0EbNS0_19identity_decomposerEEEEEvT0_T1_jPSH_T2_SH_
    .private_segment_fixed_size: 0
    .sgpr_count:     11
    .sgpr_spill_count: 0
    .symbol:         _ZN7rocprim17ROCPRIM_304000_NS6detail45device_block_merge_mergepath_partition_kernelINS1_37wrapped_merge_sort_block_merge_configINS0_14default_configEbN2at4cuda3cub6detail10OpaqueTypeILi8EEEEEPbjNS1_19radix_merge_compareILb0ELb0EbNS0_19identity_decomposerEEEEEvT0_T1_jPSH_T2_SH_.kd
    .uniform_work_group_size: 1
    .uses_dynamic_stack: false
    .vgpr_count:     16
    .vgpr_spill_count: 0
    .wavefront_size: 64
  - .agpr_count:     0
    .args:
      - .address_space:  global
        .offset:         0
        .size:           8
        .value_kind:     global_buffer
      - .address_space:  global
        .offset:         8
        .size:           8
        .value_kind:     global_buffer
      - .address_space:  global
        .offset:         16
        .size:           8
        .value_kind:     global_buffer
      - .address_space:  global
        .offset:         24
        .size:           8
        .value_kind:     global_buffer
      - .offset:         32
        .size:           4
        .value_kind:     by_value
      - .offset:         36
        .size:           4
        .value_kind:     by_value
      - .offset:         40
        .size:           4
        .value_kind:     by_value
      - .offset:         44
        .size:           1
        .value_kind:     by_value
      - .address_space:  global
        .offset:         48
        .size:           8
        .value_kind:     global_buffer
      - .address_space:  global
        .offset:         56
        .size:           8
        .value_kind:     global_buffer
      - .offset:         64
        .size:           4
        .value_kind:     hidden_block_count_x
      - .offset:         68
        .size:           4
        .value_kind:     hidden_block_count_y
      - .offset:         72
        .size:           4
        .value_kind:     hidden_block_count_z
      - .offset:         76
        .size:           2
        .value_kind:     hidden_group_size_x
      - .offset:         78
        .size:           2
        .value_kind:     hidden_group_size_y
      - .offset:         80
        .size:           2
        .value_kind:     hidden_group_size_z
      - .offset:         82
        .size:           2
        .value_kind:     hidden_remainder_x
      - .offset:         84
        .size:           2
        .value_kind:     hidden_remainder_y
      - .offset:         86
        .size:           2
        .value_kind:     hidden_remainder_z
      - .offset:         104
        .size:           8
        .value_kind:     hidden_global_offset_x
      - .offset:         112
        .size:           8
        .value_kind:     hidden_global_offset_y
      - .offset:         120
        .size:           8
        .value_kind:     hidden_global_offset_z
      - .offset:         128
        .size:           2
        .value_kind:     hidden_grid_dims
    .group_segment_fixed_size: 8208
    .kernarg_segment_align: 8
    .kernarg_segment_size: 320
    .language:       OpenCL C
    .language_version:
      - 2
      - 0
    .max_flat_workgroup_size: 256
    .name:           _ZN7rocprim17ROCPRIM_304000_NS6detail35device_block_merge_mergepath_kernelINS1_37wrapped_merge_sort_block_merge_configINS0_14default_configEbN2at4cuda3cub6detail10OpaqueTypeILi8EEEEEPbSC_PSA_SD_jNS1_19radix_merge_compareILb0ELb0EbNS0_19identity_decomposerEEEEEvT0_T1_T2_T3_T4_SL_jT5_PKSL_NS1_7vsmem_tE
    .private_segment_fixed_size: 0
    .sgpr_count:     34
    .sgpr_spill_count: 0
    .symbol:         _ZN7rocprim17ROCPRIM_304000_NS6detail35device_block_merge_mergepath_kernelINS1_37wrapped_merge_sort_block_merge_configINS0_14default_configEbN2at4cuda3cub6detail10OpaqueTypeILi8EEEEEPbSC_PSA_SD_jNS1_19radix_merge_compareILb0ELb0EbNS0_19identity_decomposerEEEEEvT0_T1_T2_T3_T4_SL_jT5_PKSL_NS1_7vsmem_tE.kd
    .uniform_work_group_size: 1
    .uses_dynamic_stack: false
    .vgpr_count:     25
    .vgpr_spill_count: 0
    .wavefront_size: 64
  - .agpr_count:     0
    .args:
      - .address_space:  global
        .offset:         0
        .size:           8
        .value_kind:     global_buffer
      - .address_space:  global
        .offset:         8
        .size:           8
        .value_kind:     global_buffer
      - .address_space:  global
        .offset:         16
        .size:           8
        .value_kind:     global_buffer
      - .address_space:  global
        .offset:         24
        .size:           8
        .value_kind:     global_buffer
      - .offset:         32
        .size:           4
        .value_kind:     by_value
      - .offset:         36
        .size:           4
        .value_kind:     by_value
      - .offset:         40
        .size:           1
        .value_kind:     by_value
    .group_segment_fixed_size: 0
    .kernarg_segment_align: 8
    .kernarg_segment_size: 44
    .language:       OpenCL C
    .language_version:
      - 2
      - 0
    .max_flat_workgroup_size: 256
    .name:           _ZN7rocprim17ROCPRIM_304000_NS6detail33device_block_merge_oddeven_kernelINS1_37wrapped_merge_sort_block_merge_configINS0_14default_configEbN2at4cuda3cub6detail10OpaqueTypeILi8EEEEEPbSC_PSA_SD_jNS1_19radix_merge_compareILb0ELb0EbNS0_19identity_decomposerEEEEEvT0_T1_T2_T3_T4_SL_T5_
    .private_segment_fixed_size: 0
    .sgpr_count:     27
    .sgpr_spill_count: 0
    .symbol:         _ZN7rocprim17ROCPRIM_304000_NS6detail33device_block_merge_oddeven_kernelINS1_37wrapped_merge_sort_block_merge_configINS0_14default_configEbN2at4cuda3cub6detail10OpaqueTypeILi8EEEEEPbSC_PSA_SD_jNS1_19radix_merge_compareILb0ELb0EbNS0_19identity_decomposerEEEEEvT0_T1_T2_T3_T4_SL_T5_.kd
    .uniform_work_group_size: 1
    .uses_dynamic_stack: false
    .vgpr_count:     10
    .vgpr_spill_count: 0
    .wavefront_size: 64
  - .agpr_count:     0
    .args:
      - .address_space:  global
        .offset:         0
        .size:           8
        .value_kind:     global_buffer
      - .offset:         8
        .size:           4
        .value_kind:     by_value
      - .offset:         12
        .size:           4
        .value_kind:     by_value
      - .address_space:  global
        .offset:         16
        .size:           8
        .value_kind:     global_buffer
      - .offset:         24
        .size:           1
        .value_kind:     by_value
      - .offset:         28
        .size:           4
        .value_kind:     by_value
    .group_segment_fixed_size: 0
    .kernarg_segment_align: 8
    .kernarg_segment_size: 32
    .language:       OpenCL C
    .language_version:
      - 2
      - 0
    .max_flat_workgroup_size: 128
    .name:           _ZN7rocprim17ROCPRIM_304000_NS6detail45device_block_merge_mergepath_partition_kernelINS1_37wrapped_merge_sort_block_merge_configINS0_14default_configEbN2at4cuda3cub6detail10OpaqueTypeILi8EEEEEPbjNS1_19radix_merge_compareILb0ELb1EbNS0_19identity_decomposerEEEEEvT0_T1_jPSH_T2_SH_
    .private_segment_fixed_size: 0
    .sgpr_count:     12
    .sgpr_spill_count: 0
    .symbol:         _ZN7rocprim17ROCPRIM_304000_NS6detail45device_block_merge_mergepath_partition_kernelINS1_37wrapped_merge_sort_block_merge_configINS0_14default_configEbN2at4cuda3cub6detail10OpaqueTypeILi8EEEEEPbjNS1_19radix_merge_compareILb0ELb1EbNS0_19identity_decomposerEEEEEvT0_T1_jPSH_T2_SH_.kd
    .uniform_work_group_size: 1
    .uses_dynamic_stack: false
    .vgpr_count:     17
    .vgpr_spill_count: 0
    .wavefront_size: 64
  - .agpr_count:     0
    .args:
      - .address_space:  global
        .offset:         0
        .size:           8
        .value_kind:     global_buffer
      - .address_space:  global
        .offset:         8
        .size:           8
        .value_kind:     global_buffer
      - .address_space:  global
        .offset:         16
        .size:           8
        .value_kind:     global_buffer
      - .address_space:  global
        .offset:         24
        .size:           8
        .value_kind:     global_buffer
      - .offset:         32
        .size:           4
        .value_kind:     by_value
      - .offset:         36
        .size:           4
        .value_kind:     by_value
      - .offset:         40
        .size:           4
        .value_kind:     by_value
      - .offset:         44
        .size:           1
        .value_kind:     by_value
      - .address_space:  global
        .offset:         48
        .size:           8
        .value_kind:     global_buffer
      - .address_space:  global
        .offset:         56
        .size:           8
        .value_kind:     global_buffer
      - .offset:         64
        .size:           4
        .value_kind:     hidden_block_count_x
      - .offset:         68
        .size:           4
        .value_kind:     hidden_block_count_y
      - .offset:         72
        .size:           4
        .value_kind:     hidden_block_count_z
      - .offset:         76
        .size:           2
        .value_kind:     hidden_group_size_x
      - .offset:         78
        .size:           2
        .value_kind:     hidden_group_size_y
      - .offset:         80
        .size:           2
        .value_kind:     hidden_group_size_z
      - .offset:         82
        .size:           2
        .value_kind:     hidden_remainder_x
      - .offset:         84
        .size:           2
        .value_kind:     hidden_remainder_y
      - .offset:         86
        .size:           2
        .value_kind:     hidden_remainder_z
      - .offset:         104
        .size:           8
        .value_kind:     hidden_global_offset_x
      - .offset:         112
        .size:           8
        .value_kind:     hidden_global_offset_y
      - .offset:         120
        .size:           8
        .value_kind:     hidden_global_offset_z
      - .offset:         128
        .size:           2
        .value_kind:     hidden_grid_dims
    .group_segment_fixed_size: 8208
    .kernarg_segment_align: 8
    .kernarg_segment_size: 320
    .language:       OpenCL C
    .language_version:
      - 2
      - 0
    .max_flat_workgroup_size: 256
    .name:           _ZN7rocprim17ROCPRIM_304000_NS6detail35device_block_merge_mergepath_kernelINS1_37wrapped_merge_sort_block_merge_configINS0_14default_configEbN2at4cuda3cub6detail10OpaqueTypeILi8EEEEEPbSC_PSA_SD_jNS1_19radix_merge_compareILb0ELb1EbNS0_19identity_decomposerEEEEEvT0_T1_T2_T3_T4_SL_jT5_PKSL_NS1_7vsmem_tE
    .private_segment_fixed_size: 0
    .sgpr_count:     34
    .sgpr_spill_count: 0
    .symbol:         _ZN7rocprim17ROCPRIM_304000_NS6detail35device_block_merge_mergepath_kernelINS1_37wrapped_merge_sort_block_merge_configINS0_14default_configEbN2at4cuda3cub6detail10OpaqueTypeILi8EEEEEPbSC_PSA_SD_jNS1_19radix_merge_compareILb0ELb1EbNS0_19identity_decomposerEEEEEvT0_T1_T2_T3_T4_SL_jT5_PKSL_NS1_7vsmem_tE.kd
    .uniform_work_group_size: 1
    .uses_dynamic_stack: false
    .vgpr_count:     25
    .vgpr_spill_count: 0
    .wavefront_size: 64
  - .agpr_count:     0
    .args:
      - .address_space:  global
        .offset:         0
        .size:           8
        .value_kind:     global_buffer
      - .address_space:  global
        .offset:         8
        .size:           8
        .value_kind:     global_buffer
      - .address_space:  global
        .offset:         16
        .size:           8
        .value_kind:     global_buffer
      - .address_space:  global
        .offset:         24
        .size:           8
        .value_kind:     global_buffer
      - .offset:         32
        .size:           4
        .value_kind:     by_value
      - .offset:         36
        .size:           4
        .value_kind:     by_value
      - .offset:         40
        .size:           1
        .value_kind:     by_value
    .group_segment_fixed_size: 0
    .kernarg_segment_align: 8
    .kernarg_segment_size: 44
    .language:       OpenCL C
    .language_version:
      - 2
      - 0
    .max_flat_workgroup_size: 256
    .name:           _ZN7rocprim17ROCPRIM_304000_NS6detail33device_block_merge_oddeven_kernelINS1_37wrapped_merge_sort_block_merge_configINS0_14default_configEbN2at4cuda3cub6detail10OpaqueTypeILi8EEEEEPbSC_PSA_SD_jNS1_19radix_merge_compareILb0ELb1EbNS0_19identity_decomposerEEEEEvT0_T1_T2_T3_T4_SL_T5_
    .private_segment_fixed_size: 0
    .sgpr_count:     28
    .sgpr_spill_count: 0
    .symbol:         _ZN7rocprim17ROCPRIM_304000_NS6detail33device_block_merge_oddeven_kernelINS1_37wrapped_merge_sort_block_merge_configINS0_14default_configEbN2at4cuda3cub6detail10OpaqueTypeILi8EEEEEPbSC_PSA_SD_jNS1_19radix_merge_compareILb0ELb1EbNS0_19identity_decomposerEEEEEvT0_T1_T2_T3_T4_SL_T5_.kd
    .uniform_work_group_size: 1
    .uses_dynamic_stack: false
    .vgpr_count:     12
    .vgpr_spill_count: 0
    .wavefront_size: 64
  - .agpr_count:     0
    .args:
      - .address_space:  global
        .offset:         0
        .size:           8
        .value_kind:     global_buffer
      - .address_space:  global
        .offset:         8
        .size:           8
        .value_kind:     global_buffer
      - .offset:         16
        .size:           8
        .value_kind:     by_value
      - .offset:         24
        .size:           8
        .value_kind:     by_value
      - .offset:         32
        .size:           1
        .value_kind:     by_value
      - .offset:         36
        .size:           4
        .value_kind:     by_value
      - .offset:         40
        .size:           4
        .value_kind:     by_value
    .group_segment_fixed_size: 4096
    .kernarg_segment_align: 8
    .kernarg_segment_size: 44
    .language:       OpenCL C
    .language_version:
      - 2
      - 0
    .max_flat_workgroup_size: 512
    .name:           _ZN7rocprim17ROCPRIM_304000_NS6detail26onesweep_histograms_kernelINS1_34wrapped_radix_sort_onesweep_configINS0_14default_configEbN2at4cuda3cub6detail10OpaqueTypeILi8EEEEELb0EPKbmNS0_19identity_decomposerEEEvT1_PT2_SG_SG_T3_jj
    .private_segment_fixed_size: 0
    .sgpr_count:     30
    .sgpr_spill_count: 0
    .symbol:         _ZN7rocprim17ROCPRIM_304000_NS6detail26onesweep_histograms_kernelINS1_34wrapped_radix_sort_onesweep_configINS0_14default_configEbN2at4cuda3cub6detail10OpaqueTypeILi8EEEEELb0EPKbmNS0_19identity_decomposerEEEvT1_PT2_SG_SG_T3_jj.kd
    .uniform_work_group_size: 1
    .uses_dynamic_stack: false
    .vgpr_count:     18
    .vgpr_spill_count: 0
    .wavefront_size: 64
  - .agpr_count:     0
    .args:
      - .address_space:  global
        .offset:         0
        .size:           8
        .value_kind:     global_buffer
      - .address_space:  global
        .offset:         8
        .size:           8
        .value_kind:     global_buffer
      - .address_space:  global
        .offset:         16
        .size:           8
        .value_kind:     global_buffer
      - .address_space:  global
        .offset:         24
        .size:           8
        .value_kind:     global_buffer
      - .offset:         32
        .size:           4
        .value_kind:     by_value
      - .address_space:  global
        .offset:         40
        .size:           8
        .value_kind:     global_buffer
      - .address_space:  global
        .offset:         48
        .size:           8
        .value_kind:     global_buffer
      - .address_space:  global
        .offset:         56
        .size:           8
        .value_kind:     global_buffer
      - .offset:         64
        .size:           1
        .value_kind:     by_value
      - .offset:         68
        .size:           4
        .value_kind:     by_value
      - .offset:         72
        .size:           4
        .value_kind:     by_value
      - .offset:         76
        .size:           4
        .value_kind:     by_value
      - .offset:         80
        .size:           4
        .value_kind:     hidden_block_count_x
      - .offset:         84
        .size:           4
        .value_kind:     hidden_block_count_y
      - .offset:         88
        .size:           4
        .value_kind:     hidden_block_count_z
      - .offset:         92
        .size:           2
        .value_kind:     hidden_group_size_x
      - .offset:         94
        .size:           2
        .value_kind:     hidden_group_size_y
      - .offset:         96
        .size:           2
        .value_kind:     hidden_group_size_z
      - .offset:         98
        .size:           2
        .value_kind:     hidden_remainder_x
      - .offset:         100
        .size:           2
        .value_kind:     hidden_remainder_y
      - .offset:         102
        .size:           2
        .value_kind:     hidden_remainder_z
      - .offset:         120
        .size:           8
        .value_kind:     hidden_global_offset_x
      - .offset:         128
        .size:           8
        .value_kind:     hidden_global_offset_y
      - .offset:         136
        .size:           8
        .value_kind:     hidden_global_offset_z
      - .offset:         144
        .size:           2
        .value_kind:     hidden_grid_dims
    .group_segment_fixed_size: 26624
    .kernarg_segment_align: 8
    .kernarg_segment_size: 336
    .language:       OpenCL C
    .language_version:
      - 2
      - 0
    .max_flat_workgroup_size: 512
    .name:           _ZN7rocprim17ROCPRIM_304000_NS6detail25onesweep_iteration_kernelINS1_34wrapped_radix_sort_onesweep_configINS0_14default_configEbN2at4cuda3cub6detail10OpaqueTypeILi8EEEEELb0EPKbPbPKSA_PSA_mNS0_19identity_decomposerEEEvT1_T2_T3_T4_jPT5_SO_PNS1_23onesweep_lookback_stateET6_jjj
    .private_segment_fixed_size: 0
    .sgpr_count:     56
    .sgpr_spill_count: 0
    .symbol:         _ZN7rocprim17ROCPRIM_304000_NS6detail25onesweep_iteration_kernelINS1_34wrapped_radix_sort_onesweep_configINS0_14default_configEbN2at4cuda3cub6detail10OpaqueTypeILi8EEEEELb0EPKbPbPKSA_PSA_mNS0_19identity_decomposerEEEvT1_T2_T3_T4_jPT5_SO_PNS1_23onesweep_lookback_stateET6_jjj.kd
    .uniform_work_group_size: 1
    .uses_dynamic_stack: false
    .vgpr_count:     43
    .vgpr_spill_count: 0
    .wavefront_size: 64
  - .agpr_count:     0
    .args:
      - .address_space:  global
        .offset:         0
        .size:           8
        .value_kind:     global_buffer
      - .address_space:  global
        .offset:         8
        .size:           8
        .value_kind:     global_buffer
      - .address_space:  global
        .offset:         16
        .size:           8
        .value_kind:     global_buffer
      - .address_space:  global
        .offset:         24
        .size:           8
        .value_kind:     global_buffer
      - .offset:         32
        .size:           4
        .value_kind:     by_value
      - .address_space:  global
        .offset:         40
        .size:           8
        .value_kind:     global_buffer
      - .address_space:  global
        .offset:         48
        .size:           8
        .value_kind:     global_buffer
      - .address_space:  global
        .offset:         56
        .size:           8
        .value_kind:     global_buffer
      - .offset:         64
        .size:           1
        .value_kind:     by_value
      - .offset:         68
        .size:           4
        .value_kind:     by_value
      - .offset:         72
        .size:           4
        .value_kind:     by_value
      - .offset:         76
        .size:           4
        .value_kind:     by_value
      - .offset:         80
        .size:           4
        .value_kind:     hidden_block_count_x
      - .offset:         84
        .size:           4
        .value_kind:     hidden_block_count_y
      - .offset:         88
        .size:           4
        .value_kind:     hidden_block_count_z
      - .offset:         92
        .size:           2
        .value_kind:     hidden_group_size_x
      - .offset:         94
        .size:           2
        .value_kind:     hidden_group_size_y
      - .offset:         96
        .size:           2
        .value_kind:     hidden_group_size_z
      - .offset:         98
        .size:           2
        .value_kind:     hidden_remainder_x
      - .offset:         100
        .size:           2
        .value_kind:     hidden_remainder_y
      - .offset:         102
        .size:           2
        .value_kind:     hidden_remainder_z
      - .offset:         120
        .size:           8
        .value_kind:     hidden_global_offset_x
      - .offset:         128
        .size:           8
        .value_kind:     hidden_global_offset_y
      - .offset:         136
        .size:           8
        .value_kind:     hidden_global_offset_z
      - .offset:         144
        .size:           2
        .value_kind:     hidden_grid_dims
    .group_segment_fixed_size: 26624
    .kernarg_segment_align: 8
    .kernarg_segment_size: 336
    .language:       OpenCL C
    .language_version:
      - 2
      - 0
    .max_flat_workgroup_size: 512
    .name:           _ZN7rocprim17ROCPRIM_304000_NS6detail25onesweep_iteration_kernelINS1_34wrapped_radix_sort_onesweep_configINS0_14default_configEbN2at4cuda3cub6detail10OpaqueTypeILi8EEEEELb0EPbSC_PSA_SD_mNS0_19identity_decomposerEEEvT1_T2_T3_T4_jPT5_SK_PNS1_23onesweep_lookback_stateET6_jjj
    .private_segment_fixed_size: 0
    .sgpr_count:     56
    .sgpr_spill_count: 0
    .symbol:         _ZN7rocprim17ROCPRIM_304000_NS6detail25onesweep_iteration_kernelINS1_34wrapped_radix_sort_onesweep_configINS0_14default_configEbN2at4cuda3cub6detail10OpaqueTypeILi8EEEEELb0EPbSC_PSA_SD_mNS0_19identity_decomposerEEEvT1_T2_T3_T4_jPT5_SK_PNS1_23onesweep_lookback_stateET6_jjj.kd
    .uniform_work_group_size: 1
    .uses_dynamic_stack: false
    .vgpr_count:     43
    .vgpr_spill_count: 0
    .wavefront_size: 64
  - .agpr_count:     0
    .args:
      - .address_space:  global
        .offset:         0
        .size:           8
        .value_kind:     global_buffer
      - .address_space:  global
        .offset:         8
        .size:           8
        .value_kind:     global_buffer
      - .address_space:  global
        .offset:         16
        .size:           8
        .value_kind:     global_buffer
      - .address_space:  global
        .offset:         24
        .size:           8
        .value_kind:     global_buffer
      - .offset:         32
        .size:           4
        .value_kind:     by_value
      - .offset:         36
        .size:           1
        .value_kind:     by_value
      - .offset:         40
        .size:           4
        .value_kind:     by_value
      - .offset:         44
        .size:           4
        .value_kind:     by_value
      - .offset:         48
        .size:           4
        .value_kind:     hidden_block_count_x
      - .offset:         52
        .size:           4
        .value_kind:     hidden_block_count_y
      - .offset:         56
        .size:           4
        .value_kind:     hidden_block_count_z
      - .offset:         60
        .size:           2
        .value_kind:     hidden_group_size_x
      - .offset:         62
        .size:           2
        .value_kind:     hidden_group_size_y
      - .offset:         64
        .size:           2
        .value_kind:     hidden_group_size_z
      - .offset:         66
        .size:           2
        .value_kind:     hidden_remainder_x
      - .offset:         68
        .size:           2
        .value_kind:     hidden_remainder_y
      - .offset:         70
        .size:           2
        .value_kind:     hidden_remainder_z
      - .offset:         88
        .size:           8
        .value_kind:     hidden_global_offset_x
      - .offset:         96
        .size:           8
        .value_kind:     hidden_global_offset_y
      - .offset:         104
        .size:           8
        .value_kind:     hidden_global_offset_z
      - .offset:         112
        .size:           2
        .value_kind:     hidden_grid_dims
    .group_segment_fixed_size: 8192
    .kernarg_segment_align: 8
    .kernarg_segment_size: 304
    .language:       OpenCL C
    .language_version:
      - 2
      - 0
    .max_flat_workgroup_size: 256
    .name:           _ZN7rocprim17ROCPRIM_304000_NS6detail28radix_sort_block_sort_kernelINS1_36wrapped_radix_sort_block_sort_configINS0_13kernel_configILj256ELj4ELj4294967295EEE6__halfN2at4cuda3cub6detail10OpaqueTypeILi8EEEEELb1EPKS6_PS6_PKSC_PSC_NS0_19identity_decomposerEEEvT1_T2_T3_T4_jT5_jj
    .private_segment_fixed_size: 0
    .sgpr_count:     52
    .sgpr_spill_count: 0
    .symbol:         _ZN7rocprim17ROCPRIM_304000_NS6detail28radix_sort_block_sort_kernelINS1_36wrapped_radix_sort_block_sort_configINS0_13kernel_configILj256ELj4ELj4294967295EEE6__halfN2at4cuda3cub6detail10OpaqueTypeILi8EEEEELb1EPKS6_PS6_PKSC_PSC_NS0_19identity_decomposerEEEvT1_T2_T3_T4_jT5_jj.kd
    .uniform_work_group_size: 1
    .uses_dynamic_stack: false
    .vgpr_count:     53
    .vgpr_spill_count: 0
    .wavefront_size: 64
  - .agpr_count:     0
    .args:           []
    .group_segment_fixed_size: 0
    .kernarg_segment_align: 4
    .kernarg_segment_size: 0
    .language:       OpenCL C
    .language_version:
      - 2
      - 0
    .max_flat_workgroup_size: 1024
    .name:           _ZN7rocprim17ROCPRIM_304000_NS6detail39device_merge_sort_compile_time_verifierINS1_36wrapped_merge_sort_block_sort_configINS1_28merge_sort_block_sort_configILj256ELj4ELNS0_20block_sort_algorithmE0EEE6__halfN2at4cuda3cub6detail10OpaqueTypeILi8EEEEENS1_37wrapped_merge_sort_block_merge_configINS0_14default_configES7_SD_EEEEvv
    .private_segment_fixed_size: 0
    .sgpr_count:     4
    .sgpr_spill_count: 0
    .symbol:         _ZN7rocprim17ROCPRIM_304000_NS6detail39device_merge_sort_compile_time_verifierINS1_36wrapped_merge_sort_block_sort_configINS1_28merge_sort_block_sort_configILj256ELj4ELNS0_20block_sort_algorithmE0EEE6__halfN2at4cuda3cub6detail10OpaqueTypeILi8EEEEENS1_37wrapped_merge_sort_block_merge_configINS0_14default_configES7_SD_EEEEvv.kd
    .uniform_work_group_size: 1
    .uses_dynamic_stack: false
    .vgpr_count:     0
    .vgpr_spill_count: 0
    .wavefront_size: 64
  - .agpr_count:     0
    .args:
      - .address_space:  global
        .offset:         0
        .size:           8
        .value_kind:     global_buffer
      - .offset:         8
        .size:           4
        .value_kind:     by_value
      - .offset:         12
        .size:           4
        .value_kind:     by_value
      - .address_space:  global
        .offset:         16
        .size:           8
        .value_kind:     global_buffer
      - .offset:         24
        .size:           1
        .value_kind:     by_value
      - .offset:         28
        .size:           4
        .value_kind:     by_value
    .group_segment_fixed_size: 0
    .kernarg_segment_align: 8
    .kernarg_segment_size: 32
    .language:       OpenCL C
    .language_version:
      - 2
      - 0
    .max_flat_workgroup_size: 128
    .name:           _ZN7rocprim17ROCPRIM_304000_NS6detail45device_block_merge_mergepath_partition_kernelINS1_37wrapped_merge_sort_block_merge_configINS0_14default_configE6__halfN2at4cuda3cub6detail10OpaqueTypeILi8EEEEEPS5_jNS1_19radix_merge_compareILb1ELb0ES5_NS0_19identity_decomposerEEEEEvT0_T1_jPSI_T2_SI_
    .private_segment_fixed_size: 0
    .sgpr_count:     11
    .sgpr_spill_count: 0
    .symbol:         _ZN7rocprim17ROCPRIM_304000_NS6detail45device_block_merge_mergepath_partition_kernelINS1_37wrapped_merge_sort_block_merge_configINS0_14default_configE6__halfN2at4cuda3cub6detail10OpaqueTypeILi8EEEEEPS5_jNS1_19radix_merge_compareILb1ELb0ES5_NS0_19identity_decomposerEEEEEvT0_T1_jPSI_T2_SI_.kd
    .uniform_work_group_size: 1
    .uses_dynamic_stack: false
    .vgpr_count:     16
    .vgpr_spill_count: 0
    .wavefront_size: 64
  - .agpr_count:     0
    .args:
      - .address_space:  global
        .offset:         0
        .size:           8
        .value_kind:     global_buffer
      - .address_space:  global
        .offset:         8
        .size:           8
        .value_kind:     global_buffer
      - .address_space:  global
        .offset:         16
        .size:           8
        .value_kind:     global_buffer
      - .address_space:  global
        .offset:         24
        .size:           8
        .value_kind:     global_buffer
      - .offset:         32
        .size:           4
        .value_kind:     by_value
      - .offset:         36
        .size:           4
        .value_kind:     by_value
      - .offset:         40
        .size:           4
        .value_kind:     by_value
      - .offset:         44
        .size:           1
        .value_kind:     by_value
      - .address_space:  global
        .offset:         48
        .size:           8
        .value_kind:     global_buffer
      - .address_space:  global
        .offset:         56
        .size:           8
        .value_kind:     global_buffer
      - .offset:         64
        .size:           4
        .value_kind:     hidden_block_count_x
      - .offset:         68
        .size:           4
        .value_kind:     hidden_block_count_y
      - .offset:         72
        .size:           4
        .value_kind:     hidden_block_count_z
      - .offset:         76
        .size:           2
        .value_kind:     hidden_group_size_x
      - .offset:         78
        .size:           2
        .value_kind:     hidden_group_size_y
      - .offset:         80
        .size:           2
        .value_kind:     hidden_group_size_z
      - .offset:         82
        .size:           2
        .value_kind:     hidden_remainder_x
      - .offset:         84
        .size:           2
        .value_kind:     hidden_remainder_y
      - .offset:         86
        .size:           2
        .value_kind:     hidden_remainder_z
      - .offset:         104
        .size:           8
        .value_kind:     hidden_global_offset_x
      - .offset:         112
        .size:           8
        .value_kind:     hidden_global_offset_y
      - .offset:         120
        .size:           8
        .value_kind:     hidden_global_offset_z
      - .offset:         128
        .size:           2
        .value_kind:     hidden_grid_dims
    .group_segment_fixed_size: 8208
    .kernarg_segment_align: 8
    .kernarg_segment_size: 320
    .language:       OpenCL C
    .language_version:
      - 2
      - 0
    .max_flat_workgroup_size: 256
    .name:           _ZN7rocprim17ROCPRIM_304000_NS6detail35device_block_merge_mergepath_kernelINS1_37wrapped_merge_sort_block_merge_configINS0_14default_configE6__halfN2at4cuda3cub6detail10OpaqueTypeILi8EEEEEPS5_SD_PSB_SE_jNS1_19radix_merge_compareILb1ELb0ES5_NS0_19identity_decomposerEEEEEvT0_T1_T2_T3_T4_SM_jT5_PKSM_NS1_7vsmem_tE
    .private_segment_fixed_size: 0
    .sgpr_count:     34
    .sgpr_spill_count: 0
    .symbol:         _ZN7rocprim17ROCPRIM_304000_NS6detail35device_block_merge_mergepath_kernelINS1_37wrapped_merge_sort_block_merge_configINS0_14default_configE6__halfN2at4cuda3cub6detail10OpaqueTypeILi8EEEEEPS5_SD_PSB_SE_jNS1_19radix_merge_compareILb1ELb0ES5_NS0_19identity_decomposerEEEEEvT0_T1_T2_T3_T4_SM_jT5_PKSM_NS1_7vsmem_tE.kd
    .uniform_work_group_size: 1
    .uses_dynamic_stack: false
    .vgpr_count:     26
    .vgpr_spill_count: 0
    .wavefront_size: 64
  - .agpr_count:     0
    .args:
      - .address_space:  global
        .offset:         0
        .size:           8
        .value_kind:     global_buffer
      - .address_space:  global
        .offset:         8
        .size:           8
        .value_kind:     global_buffer
      - .address_space:  global
        .offset:         16
        .size:           8
        .value_kind:     global_buffer
      - .address_space:  global
        .offset:         24
        .size:           8
        .value_kind:     global_buffer
      - .offset:         32
        .size:           4
        .value_kind:     by_value
      - .offset:         36
        .size:           4
        .value_kind:     by_value
      - .offset:         40
        .size:           1
        .value_kind:     by_value
    .group_segment_fixed_size: 0
    .kernarg_segment_align: 8
    .kernarg_segment_size: 44
    .language:       OpenCL C
    .language_version:
      - 2
      - 0
    .max_flat_workgroup_size: 256
    .name:           _ZN7rocprim17ROCPRIM_304000_NS6detail33device_block_merge_oddeven_kernelINS1_37wrapped_merge_sort_block_merge_configINS0_14default_configE6__halfN2at4cuda3cub6detail10OpaqueTypeILi8EEEEEPS5_SD_PSB_SE_jNS1_19radix_merge_compareILb1ELb0ES5_NS0_19identity_decomposerEEEEEvT0_T1_T2_T3_T4_SM_T5_
    .private_segment_fixed_size: 0
    .sgpr_count:     27
    .sgpr_spill_count: 0
    .symbol:         _ZN7rocprim17ROCPRIM_304000_NS6detail33device_block_merge_oddeven_kernelINS1_37wrapped_merge_sort_block_merge_configINS0_14default_configE6__halfN2at4cuda3cub6detail10OpaqueTypeILi8EEEEEPS5_SD_PSB_SE_jNS1_19radix_merge_compareILb1ELb0ES5_NS0_19identity_decomposerEEEEEvT0_T1_T2_T3_T4_SM_T5_.kd
    .uniform_work_group_size: 1
    .uses_dynamic_stack: false
    .vgpr_count:     12
    .vgpr_spill_count: 0
    .wavefront_size: 64
  - .agpr_count:     0
    .args:
      - .address_space:  global
        .offset:         0
        .size:           8
        .value_kind:     global_buffer
      - .offset:         8
        .size:           8
        .value_kind:     by_value
      - .address_space:  global
        .offset:         16
        .size:           8
        .value_kind:     global_buffer
      - .offset:         24
        .size:           1
        .value_kind:     by_value
      - .offset:         32
        .size:           4
        .value_kind:     hidden_block_count_x
      - .offset:         36
        .size:           4
        .value_kind:     hidden_block_count_y
      - .offset:         40
        .size:           4
        .value_kind:     hidden_block_count_z
      - .offset:         44
        .size:           2
        .value_kind:     hidden_group_size_x
      - .offset:         46
        .size:           2
        .value_kind:     hidden_group_size_y
      - .offset:         48
        .size:           2
        .value_kind:     hidden_group_size_z
      - .offset:         50
        .size:           2
        .value_kind:     hidden_remainder_x
      - .offset:         52
        .size:           2
        .value_kind:     hidden_remainder_y
      - .offset:         54
        .size:           2
        .value_kind:     hidden_remainder_z
      - .offset:         72
        .size:           8
        .value_kind:     hidden_global_offset_x
      - .offset:         80
        .size:           8
        .value_kind:     hidden_global_offset_y
      - .offset:         88
        .size:           8
        .value_kind:     hidden_global_offset_z
      - .offset:         96
        .size:           2
        .value_kind:     hidden_grid_dims
    .group_segment_fixed_size: 0
    .kernarg_segment_align: 8
    .kernarg_segment_size: 288
    .language:       OpenCL C
    .language_version:
      - 2
      - 0
    .max_flat_workgroup_size: 64
    .name:           _ZN7rocprim17ROCPRIM_304000_NS6detail16transform_kernelINS1_24wrapped_transform_configINS0_14default_configE6__halfEES5_PS5_S7_NS0_8identityIS5_EEEEvT1_mT2_T3_
    .private_segment_fixed_size: 0
    .sgpr_count:     24
    .sgpr_spill_count: 0
    .symbol:         _ZN7rocprim17ROCPRIM_304000_NS6detail16transform_kernelINS1_24wrapped_transform_configINS0_14default_configE6__halfEES5_PS5_S7_NS0_8identityIS5_EEEEvT1_mT2_T3_.kd
    .uniform_work_group_size: 1
    .uses_dynamic_stack: false
    .vgpr_count:     13
    .vgpr_spill_count: 0
    .wavefront_size: 64
  - .agpr_count:     0
    .args:
      - .address_space:  global
        .offset:         0
        .size:           8
        .value_kind:     global_buffer
      - .address_space:  global
        .offset:         8
        .size:           8
        .value_kind:     global_buffer
      - .offset:         16
        .size:           8
        .value_kind:     by_value
      - .offset:         24
        .size:           8
        .value_kind:     by_value
      - .offset:         32
        .size:           1
        .value_kind:     by_value
      - .offset:         36
        .size:           4
        .value_kind:     by_value
      - .offset:         40
        .size:           4
        .value_kind:     by_value
    .group_segment_fixed_size: 8192
    .kernarg_segment_align: 8
    .kernarg_segment_size: 44
    .language:       OpenCL C
    .language_version:
      - 2
      - 0
    .max_flat_workgroup_size: 256
    .name:           _ZN7rocprim17ROCPRIM_304000_NS6detail26onesweep_histograms_kernelINS1_34wrapped_radix_sort_onesweep_configINS0_14default_configE6__halfN2at4cuda3cub6detail10OpaqueTypeILi8EEEEELb1EPKS5_mNS0_19identity_decomposerEEEvT1_PT2_SH_SH_T3_jj
    .private_segment_fixed_size: 0
    .sgpr_count:     44
    .sgpr_spill_count: 0
    .symbol:         _ZN7rocprim17ROCPRIM_304000_NS6detail26onesweep_histograms_kernelINS1_34wrapped_radix_sort_onesweep_configINS0_14default_configE6__halfN2at4cuda3cub6detail10OpaqueTypeILi8EEEEELb1EPKS5_mNS0_19identity_decomposerEEEvT1_PT2_SH_SH_T3_jj.kd
    .uniform_work_group_size: 1
    .uses_dynamic_stack: false
    .vgpr_count:     24
    .vgpr_spill_count: 0
    .wavefront_size: 64
  - .agpr_count:     0
    .args:
      - .address_space:  global
        .offset:         0
        .size:           8
        .value_kind:     global_buffer
    .group_segment_fixed_size: 32
    .kernarg_segment_align: 8
    .kernarg_segment_size: 8
    .language:       OpenCL C
    .language_version:
      - 2
      - 0
    .max_flat_workgroup_size: 256
    .name:           _ZN7rocprim17ROCPRIM_304000_NS6detail31onesweep_scan_histograms_kernelINS1_34wrapped_radix_sort_onesweep_configINS0_14default_configE6__halfN2at4cuda3cub6detail10OpaqueTypeILi8EEEEEmEEvPT0_
    .private_segment_fixed_size: 0
    .sgpr_count:     14
    .sgpr_spill_count: 0
    .symbol:         _ZN7rocprim17ROCPRIM_304000_NS6detail31onesweep_scan_histograms_kernelINS1_34wrapped_radix_sort_onesweep_configINS0_14default_configE6__halfN2at4cuda3cub6detail10OpaqueTypeILi8EEEEEmEEvPT0_.kd
    .uniform_work_group_size: 1
    .uses_dynamic_stack: false
    .vgpr_count:     13
    .vgpr_spill_count: 0
    .wavefront_size: 64
  - .agpr_count:     0
    .args:
      - .address_space:  global
        .offset:         0
        .size:           8
        .value_kind:     global_buffer
      - .offset:         8
        .size:           8
        .value_kind:     by_value
      - .address_space:  global
        .offset:         16
        .size:           8
        .value_kind:     global_buffer
      - .offset:         24
        .size:           1
        .value_kind:     by_value
      - .offset:         32
        .size:           4
        .value_kind:     hidden_block_count_x
      - .offset:         36
        .size:           4
        .value_kind:     hidden_block_count_y
      - .offset:         40
        .size:           4
        .value_kind:     hidden_block_count_z
      - .offset:         44
        .size:           2
        .value_kind:     hidden_group_size_x
      - .offset:         46
        .size:           2
        .value_kind:     hidden_group_size_y
      - .offset:         48
        .size:           2
        .value_kind:     hidden_group_size_z
      - .offset:         50
        .size:           2
        .value_kind:     hidden_remainder_x
      - .offset:         52
        .size:           2
        .value_kind:     hidden_remainder_y
      - .offset:         54
        .size:           2
        .value_kind:     hidden_remainder_z
      - .offset:         72
        .size:           8
        .value_kind:     hidden_global_offset_x
      - .offset:         80
        .size:           8
        .value_kind:     hidden_global_offset_y
      - .offset:         88
        .size:           8
        .value_kind:     hidden_global_offset_z
      - .offset:         96
        .size:           2
        .value_kind:     hidden_grid_dims
    .group_segment_fixed_size: 0
    .kernarg_segment_align: 8
    .kernarg_segment_size: 288
    .language:       OpenCL C
    .language_version:
      - 2
      - 0
    .max_flat_workgroup_size: 64
    .name:           _ZN7rocprim17ROCPRIM_304000_NS6detail16transform_kernelINS1_24wrapped_transform_configINS0_14default_configE6__halfEES5_PKS5_PS5_NS0_8identityIS5_EEEEvT1_mT2_T3_
    .private_segment_fixed_size: 0
    .sgpr_count:     24
    .sgpr_spill_count: 0
    .symbol:         _ZN7rocprim17ROCPRIM_304000_NS6detail16transform_kernelINS1_24wrapped_transform_configINS0_14default_configE6__halfEES5_PKS5_PS5_NS0_8identityIS5_EEEEvT1_mT2_T3_.kd
    .uniform_work_group_size: 1
    .uses_dynamic_stack: false
    .vgpr_count:     13
    .vgpr_spill_count: 0
    .wavefront_size: 64
  - .agpr_count:     0
    .args:
      - .address_space:  global
        .offset:         0
        .size:           8
        .value_kind:     global_buffer
      - .address_space:  global
        .offset:         8
        .size:           8
        .value_kind:     global_buffer
      - .address_space:  global
        .offset:         16
        .size:           8
        .value_kind:     global_buffer
      - .address_space:  global
        .offset:         24
        .size:           8
        .value_kind:     global_buffer
      - .offset:         32
        .size:           4
        .value_kind:     by_value
      - .address_space:  global
        .offset:         40
        .size:           8
        .value_kind:     global_buffer
      - .address_space:  global
        .offset:         48
        .size:           8
        .value_kind:     global_buffer
      - .address_space:  global
        .offset:         56
        .size:           8
        .value_kind:     global_buffer
      - .offset:         64
        .size:           1
        .value_kind:     by_value
      - .offset:         68
        .size:           4
        .value_kind:     by_value
      - .offset:         72
        .size:           4
        .value_kind:     by_value
      - .offset:         76
        .size:           4
        .value_kind:     by_value
      - .offset:         80
        .size:           4
        .value_kind:     hidden_block_count_x
      - .offset:         84
        .size:           4
        .value_kind:     hidden_block_count_y
      - .offset:         88
        .size:           4
        .value_kind:     hidden_block_count_z
      - .offset:         92
        .size:           2
        .value_kind:     hidden_group_size_x
      - .offset:         94
        .size:           2
        .value_kind:     hidden_group_size_y
      - .offset:         96
        .size:           2
        .value_kind:     hidden_group_size_z
      - .offset:         98
        .size:           2
        .value_kind:     hidden_remainder_x
      - .offset:         100
        .size:           2
        .value_kind:     hidden_remainder_y
      - .offset:         102
        .size:           2
        .value_kind:     hidden_remainder_z
      - .offset:         120
        .size:           8
        .value_kind:     hidden_global_offset_x
      - .offset:         128
        .size:           8
        .value_kind:     hidden_global_offset_y
      - .offset:         136
        .size:           8
        .value_kind:     hidden_global_offset_z
      - .offset:         144
        .size:           2
        .value_kind:     hidden_grid_dims
    .group_segment_fixed_size: 26624
    .kernarg_segment_align: 8
    .kernarg_segment_size: 336
    .language:       OpenCL C
    .language_version:
      - 2
      - 0
    .max_flat_workgroup_size: 256
    .name:           _ZN7rocprim17ROCPRIM_304000_NS6detail25onesweep_iteration_kernelINS1_34wrapped_radix_sort_onesweep_configINS0_14default_configE6__halfN2at4cuda3cub6detail10OpaqueTypeILi8EEEEELb1EPKS5_PS5_PKSB_PSB_mNS0_19identity_decomposerEEEvT1_T2_T3_T4_jPT5_SP_PNS1_23onesweep_lookback_stateET6_jjj
    .private_segment_fixed_size: 0
    .sgpr_count:     79
    .sgpr_spill_count: 0
    .symbol:         _ZN7rocprim17ROCPRIM_304000_NS6detail25onesweep_iteration_kernelINS1_34wrapped_radix_sort_onesweep_configINS0_14default_configE6__halfN2at4cuda3cub6detail10OpaqueTypeILi8EEEEELb1EPKS5_PS5_PKSB_PSB_mNS0_19identity_decomposerEEEvT1_T2_T3_T4_jPT5_SP_PNS1_23onesweep_lookback_stateET6_jjj.kd
    .uniform_work_group_size: 1
    .uses_dynamic_stack: false
    .vgpr_count:     67
    .vgpr_spill_count: 0
    .wavefront_size: 64
  - .agpr_count:     0
    .args:
      - .address_space:  global
        .offset:         0
        .size:           8
        .value_kind:     global_buffer
      - .address_space:  global
        .offset:         8
        .size:           8
        .value_kind:     global_buffer
      - .address_space:  global
        .offset:         16
        .size:           8
        .value_kind:     global_buffer
      - .address_space:  global
        .offset:         24
        .size:           8
        .value_kind:     global_buffer
      - .offset:         32
        .size:           4
        .value_kind:     by_value
      - .address_space:  global
        .offset:         40
        .size:           8
        .value_kind:     global_buffer
      - .address_space:  global
        .offset:         48
        .size:           8
        .value_kind:     global_buffer
      - .address_space:  global
        .offset:         56
        .size:           8
        .value_kind:     global_buffer
      - .offset:         64
        .size:           1
        .value_kind:     by_value
      - .offset:         68
        .size:           4
        .value_kind:     by_value
      - .offset:         72
        .size:           4
        .value_kind:     by_value
      - .offset:         76
        .size:           4
        .value_kind:     by_value
      - .offset:         80
        .size:           4
        .value_kind:     hidden_block_count_x
      - .offset:         84
        .size:           4
        .value_kind:     hidden_block_count_y
      - .offset:         88
        .size:           4
        .value_kind:     hidden_block_count_z
      - .offset:         92
        .size:           2
        .value_kind:     hidden_group_size_x
      - .offset:         94
        .size:           2
        .value_kind:     hidden_group_size_y
      - .offset:         96
        .size:           2
        .value_kind:     hidden_group_size_z
      - .offset:         98
        .size:           2
        .value_kind:     hidden_remainder_x
      - .offset:         100
        .size:           2
        .value_kind:     hidden_remainder_y
      - .offset:         102
        .size:           2
        .value_kind:     hidden_remainder_z
      - .offset:         120
        .size:           8
        .value_kind:     hidden_global_offset_x
      - .offset:         128
        .size:           8
        .value_kind:     hidden_global_offset_y
      - .offset:         136
        .size:           8
        .value_kind:     hidden_global_offset_z
      - .offset:         144
        .size:           2
        .value_kind:     hidden_grid_dims
    .group_segment_fixed_size: 26624
    .kernarg_segment_align: 8
    .kernarg_segment_size: 336
    .language:       OpenCL C
    .language_version:
      - 2
      - 0
    .max_flat_workgroup_size: 256
    .name:           _ZN7rocprim17ROCPRIM_304000_NS6detail25onesweep_iteration_kernelINS1_34wrapped_radix_sort_onesweep_configINS0_14default_configE6__halfN2at4cuda3cub6detail10OpaqueTypeILi8EEEEELb1EPS5_SD_PSB_SE_mNS0_19identity_decomposerEEEvT1_T2_T3_T4_jPT5_SL_PNS1_23onesweep_lookback_stateET6_jjj
    .private_segment_fixed_size: 0
    .sgpr_count:     79
    .sgpr_spill_count: 0
    .symbol:         _ZN7rocprim17ROCPRIM_304000_NS6detail25onesweep_iteration_kernelINS1_34wrapped_radix_sort_onesweep_configINS0_14default_configE6__halfN2at4cuda3cub6detail10OpaqueTypeILi8EEEEELb1EPS5_SD_PSB_SE_mNS0_19identity_decomposerEEEvT1_T2_T3_T4_jPT5_SL_PNS1_23onesweep_lookback_stateET6_jjj.kd
    .uniform_work_group_size: 1
    .uses_dynamic_stack: false
    .vgpr_count:     67
    .vgpr_spill_count: 0
    .wavefront_size: 64
  - .agpr_count:     0
    .args:
      - .address_space:  global
        .offset:         0
        .size:           8
        .value_kind:     global_buffer
      - .address_space:  global
        .offset:         8
        .size:           8
        .value_kind:     global_buffer
      - .address_space:  global
        .offset:         16
        .size:           8
        .value_kind:     global_buffer
      - .address_space:  global
        .offset:         24
        .size:           8
        .value_kind:     global_buffer
      - .offset:         32
        .size:           4
        .value_kind:     by_value
      - .offset:         36
        .size:           1
        .value_kind:     by_value
      - .offset:         40
        .size:           4
        .value_kind:     by_value
      - .offset:         44
        .size:           4
        .value_kind:     by_value
      - .offset:         48
        .size:           4
        .value_kind:     hidden_block_count_x
      - .offset:         52
        .size:           4
        .value_kind:     hidden_block_count_y
      - .offset:         56
        .size:           4
        .value_kind:     hidden_block_count_z
      - .offset:         60
        .size:           2
        .value_kind:     hidden_group_size_x
      - .offset:         62
        .size:           2
        .value_kind:     hidden_group_size_y
      - .offset:         64
        .size:           2
        .value_kind:     hidden_group_size_z
      - .offset:         66
        .size:           2
        .value_kind:     hidden_remainder_x
      - .offset:         68
        .size:           2
        .value_kind:     hidden_remainder_y
      - .offset:         70
        .size:           2
        .value_kind:     hidden_remainder_z
      - .offset:         88
        .size:           8
        .value_kind:     hidden_global_offset_x
      - .offset:         96
        .size:           8
        .value_kind:     hidden_global_offset_y
      - .offset:         104
        .size:           8
        .value_kind:     hidden_global_offset_z
      - .offset:         112
        .size:           2
        .value_kind:     hidden_grid_dims
    .group_segment_fixed_size: 8192
    .kernarg_segment_align: 8
    .kernarg_segment_size: 304
    .language:       OpenCL C
    .language_version:
      - 2
      - 0
    .max_flat_workgroup_size: 256
    .name:           _ZN7rocprim17ROCPRIM_304000_NS6detail28radix_sort_block_sort_kernelINS1_36wrapped_radix_sort_block_sort_configINS0_13kernel_configILj256ELj4ELj4294967295EEE6__halfN2at4cuda3cub6detail10OpaqueTypeILi8EEEEELb0EPKS6_PS6_PKSC_PSC_NS0_19identity_decomposerEEEvT1_T2_T3_T4_jT5_jj
    .private_segment_fixed_size: 0
    .sgpr_count:     52
    .sgpr_spill_count: 0
    .symbol:         _ZN7rocprim17ROCPRIM_304000_NS6detail28radix_sort_block_sort_kernelINS1_36wrapped_radix_sort_block_sort_configINS0_13kernel_configILj256ELj4ELj4294967295EEE6__halfN2at4cuda3cub6detail10OpaqueTypeILi8EEEEELb0EPKS6_PS6_PKSC_PSC_NS0_19identity_decomposerEEEvT1_T2_T3_T4_jT5_jj.kd
    .uniform_work_group_size: 1
    .uses_dynamic_stack: false
    .vgpr_count:     53
    .vgpr_spill_count: 0
    .wavefront_size: 64
  - .agpr_count:     0
    .args:
      - .address_space:  global
        .offset:         0
        .size:           8
        .value_kind:     global_buffer
      - .offset:         8
        .size:           4
        .value_kind:     by_value
      - .offset:         12
        .size:           4
        .value_kind:     by_value
      - .address_space:  global
        .offset:         16
        .size:           8
        .value_kind:     global_buffer
      - .offset:         24
        .size:           1
        .value_kind:     by_value
      - .offset:         28
        .size:           4
        .value_kind:     by_value
    .group_segment_fixed_size: 0
    .kernarg_segment_align: 8
    .kernarg_segment_size: 32
    .language:       OpenCL C
    .language_version:
      - 2
      - 0
    .max_flat_workgroup_size: 128
    .name:           _ZN7rocprim17ROCPRIM_304000_NS6detail45device_block_merge_mergepath_partition_kernelINS1_37wrapped_merge_sort_block_merge_configINS0_14default_configE6__halfN2at4cuda3cub6detail10OpaqueTypeILi8EEEEEPS5_jNS1_19radix_merge_compareILb0ELb0ES5_NS0_19identity_decomposerEEEEEvT0_T1_jPSI_T2_SI_
    .private_segment_fixed_size: 0
    .sgpr_count:     11
    .sgpr_spill_count: 0
    .symbol:         _ZN7rocprim17ROCPRIM_304000_NS6detail45device_block_merge_mergepath_partition_kernelINS1_37wrapped_merge_sort_block_merge_configINS0_14default_configE6__halfN2at4cuda3cub6detail10OpaqueTypeILi8EEEEEPS5_jNS1_19radix_merge_compareILb0ELb0ES5_NS0_19identity_decomposerEEEEEvT0_T1_jPSI_T2_SI_.kd
    .uniform_work_group_size: 1
    .uses_dynamic_stack: false
    .vgpr_count:     16
    .vgpr_spill_count: 0
    .wavefront_size: 64
  - .agpr_count:     0
    .args:
      - .address_space:  global
        .offset:         0
        .size:           8
        .value_kind:     global_buffer
      - .address_space:  global
        .offset:         8
        .size:           8
        .value_kind:     global_buffer
      - .address_space:  global
        .offset:         16
        .size:           8
        .value_kind:     global_buffer
      - .address_space:  global
        .offset:         24
        .size:           8
        .value_kind:     global_buffer
      - .offset:         32
        .size:           4
        .value_kind:     by_value
      - .offset:         36
        .size:           4
        .value_kind:     by_value
      - .offset:         40
        .size:           4
        .value_kind:     by_value
      - .offset:         44
        .size:           1
        .value_kind:     by_value
      - .address_space:  global
        .offset:         48
        .size:           8
        .value_kind:     global_buffer
      - .address_space:  global
        .offset:         56
        .size:           8
        .value_kind:     global_buffer
      - .offset:         64
        .size:           4
        .value_kind:     hidden_block_count_x
      - .offset:         68
        .size:           4
        .value_kind:     hidden_block_count_y
      - .offset:         72
        .size:           4
        .value_kind:     hidden_block_count_z
      - .offset:         76
        .size:           2
        .value_kind:     hidden_group_size_x
      - .offset:         78
        .size:           2
        .value_kind:     hidden_group_size_y
      - .offset:         80
        .size:           2
        .value_kind:     hidden_group_size_z
      - .offset:         82
        .size:           2
        .value_kind:     hidden_remainder_x
      - .offset:         84
        .size:           2
        .value_kind:     hidden_remainder_y
      - .offset:         86
        .size:           2
        .value_kind:     hidden_remainder_z
      - .offset:         104
        .size:           8
        .value_kind:     hidden_global_offset_x
      - .offset:         112
        .size:           8
        .value_kind:     hidden_global_offset_y
      - .offset:         120
        .size:           8
        .value_kind:     hidden_global_offset_z
      - .offset:         128
        .size:           2
        .value_kind:     hidden_grid_dims
    .group_segment_fixed_size: 8208
    .kernarg_segment_align: 8
    .kernarg_segment_size: 320
    .language:       OpenCL C
    .language_version:
      - 2
      - 0
    .max_flat_workgroup_size: 256
    .name:           _ZN7rocprim17ROCPRIM_304000_NS6detail35device_block_merge_mergepath_kernelINS1_37wrapped_merge_sort_block_merge_configINS0_14default_configE6__halfN2at4cuda3cub6detail10OpaqueTypeILi8EEEEEPS5_SD_PSB_SE_jNS1_19radix_merge_compareILb0ELb0ES5_NS0_19identity_decomposerEEEEEvT0_T1_T2_T3_T4_SM_jT5_PKSM_NS1_7vsmem_tE
    .private_segment_fixed_size: 0
    .sgpr_count:     34
    .sgpr_spill_count: 0
    .symbol:         _ZN7rocprim17ROCPRIM_304000_NS6detail35device_block_merge_mergepath_kernelINS1_37wrapped_merge_sort_block_merge_configINS0_14default_configE6__halfN2at4cuda3cub6detail10OpaqueTypeILi8EEEEEPS5_SD_PSB_SE_jNS1_19radix_merge_compareILb0ELb0ES5_NS0_19identity_decomposerEEEEEvT0_T1_T2_T3_T4_SM_jT5_PKSM_NS1_7vsmem_tE.kd
    .uniform_work_group_size: 1
    .uses_dynamic_stack: false
    .vgpr_count:     26
    .vgpr_spill_count: 0
    .wavefront_size: 64
  - .agpr_count:     0
    .args:
      - .address_space:  global
        .offset:         0
        .size:           8
        .value_kind:     global_buffer
      - .address_space:  global
        .offset:         8
        .size:           8
        .value_kind:     global_buffer
      - .address_space:  global
        .offset:         16
        .size:           8
        .value_kind:     global_buffer
      - .address_space:  global
        .offset:         24
        .size:           8
        .value_kind:     global_buffer
      - .offset:         32
        .size:           4
        .value_kind:     by_value
      - .offset:         36
        .size:           4
        .value_kind:     by_value
      - .offset:         40
        .size:           1
        .value_kind:     by_value
    .group_segment_fixed_size: 0
    .kernarg_segment_align: 8
    .kernarg_segment_size: 44
    .language:       OpenCL C
    .language_version:
      - 2
      - 0
    .max_flat_workgroup_size: 256
    .name:           _ZN7rocprim17ROCPRIM_304000_NS6detail33device_block_merge_oddeven_kernelINS1_37wrapped_merge_sort_block_merge_configINS0_14default_configE6__halfN2at4cuda3cub6detail10OpaqueTypeILi8EEEEEPS5_SD_PSB_SE_jNS1_19radix_merge_compareILb0ELb0ES5_NS0_19identity_decomposerEEEEEvT0_T1_T2_T3_T4_SM_T5_
    .private_segment_fixed_size: 0
    .sgpr_count:     27
    .sgpr_spill_count: 0
    .symbol:         _ZN7rocprim17ROCPRIM_304000_NS6detail33device_block_merge_oddeven_kernelINS1_37wrapped_merge_sort_block_merge_configINS0_14default_configE6__halfN2at4cuda3cub6detail10OpaqueTypeILi8EEEEEPS5_SD_PSB_SE_jNS1_19radix_merge_compareILb0ELb0ES5_NS0_19identity_decomposerEEEEEvT0_T1_T2_T3_T4_SM_T5_.kd
    .uniform_work_group_size: 1
    .uses_dynamic_stack: false
    .vgpr_count:     12
    .vgpr_spill_count: 0
    .wavefront_size: 64
  - .agpr_count:     0
    .args:
      - .address_space:  global
        .offset:         0
        .size:           8
        .value_kind:     global_buffer
      - .address_space:  global
        .offset:         8
        .size:           8
        .value_kind:     global_buffer
      - .offset:         16
        .size:           8
        .value_kind:     by_value
      - .offset:         24
        .size:           8
        .value_kind:     by_value
      - .offset:         32
        .size:           1
        .value_kind:     by_value
      - .offset:         36
        .size:           4
        .value_kind:     by_value
      - .offset:         40
        .size:           4
        .value_kind:     by_value
    .group_segment_fixed_size: 8192
    .kernarg_segment_align: 8
    .kernarg_segment_size: 44
    .language:       OpenCL C
    .language_version:
      - 2
      - 0
    .max_flat_workgroup_size: 256
    .name:           _ZN7rocprim17ROCPRIM_304000_NS6detail26onesweep_histograms_kernelINS1_34wrapped_radix_sort_onesweep_configINS0_14default_configE6__halfN2at4cuda3cub6detail10OpaqueTypeILi8EEEEELb0EPKS5_mNS0_19identity_decomposerEEEvT1_PT2_SH_SH_T3_jj
    .private_segment_fixed_size: 0
    .sgpr_count:     44
    .sgpr_spill_count: 0
    .symbol:         _ZN7rocprim17ROCPRIM_304000_NS6detail26onesweep_histograms_kernelINS1_34wrapped_radix_sort_onesweep_configINS0_14default_configE6__halfN2at4cuda3cub6detail10OpaqueTypeILi8EEEEELb0EPKS5_mNS0_19identity_decomposerEEEvT1_PT2_SH_SH_T3_jj.kd
    .uniform_work_group_size: 1
    .uses_dynamic_stack: false
    .vgpr_count:     24
    .vgpr_spill_count: 0
    .wavefront_size: 64
  - .agpr_count:     0
    .args:
      - .address_space:  global
        .offset:         0
        .size:           8
        .value_kind:     global_buffer
      - .address_space:  global
        .offset:         8
        .size:           8
        .value_kind:     global_buffer
      - .address_space:  global
        .offset:         16
        .size:           8
        .value_kind:     global_buffer
      - .address_space:  global
        .offset:         24
        .size:           8
        .value_kind:     global_buffer
      - .offset:         32
        .size:           4
        .value_kind:     by_value
      - .address_space:  global
        .offset:         40
        .size:           8
        .value_kind:     global_buffer
      - .address_space:  global
        .offset:         48
        .size:           8
        .value_kind:     global_buffer
      - .address_space:  global
        .offset:         56
        .size:           8
        .value_kind:     global_buffer
      - .offset:         64
        .size:           1
        .value_kind:     by_value
      - .offset:         68
        .size:           4
        .value_kind:     by_value
      - .offset:         72
        .size:           4
        .value_kind:     by_value
      - .offset:         76
        .size:           4
        .value_kind:     by_value
      - .offset:         80
        .size:           4
        .value_kind:     hidden_block_count_x
      - .offset:         84
        .size:           4
        .value_kind:     hidden_block_count_y
      - .offset:         88
        .size:           4
        .value_kind:     hidden_block_count_z
      - .offset:         92
        .size:           2
        .value_kind:     hidden_group_size_x
      - .offset:         94
        .size:           2
        .value_kind:     hidden_group_size_y
      - .offset:         96
        .size:           2
        .value_kind:     hidden_group_size_z
      - .offset:         98
        .size:           2
        .value_kind:     hidden_remainder_x
      - .offset:         100
        .size:           2
        .value_kind:     hidden_remainder_y
      - .offset:         102
        .size:           2
        .value_kind:     hidden_remainder_z
      - .offset:         120
        .size:           8
        .value_kind:     hidden_global_offset_x
      - .offset:         128
        .size:           8
        .value_kind:     hidden_global_offset_y
      - .offset:         136
        .size:           8
        .value_kind:     hidden_global_offset_z
      - .offset:         144
        .size:           2
        .value_kind:     hidden_grid_dims
    .group_segment_fixed_size: 26624
    .kernarg_segment_align: 8
    .kernarg_segment_size: 336
    .language:       OpenCL C
    .language_version:
      - 2
      - 0
    .max_flat_workgroup_size: 256
    .name:           _ZN7rocprim17ROCPRIM_304000_NS6detail25onesweep_iteration_kernelINS1_34wrapped_radix_sort_onesweep_configINS0_14default_configE6__halfN2at4cuda3cub6detail10OpaqueTypeILi8EEEEELb0EPKS5_PS5_PKSB_PSB_mNS0_19identity_decomposerEEEvT1_T2_T3_T4_jPT5_SP_PNS1_23onesweep_lookback_stateET6_jjj
    .private_segment_fixed_size: 0
    .sgpr_count:     79
    .sgpr_spill_count: 0
    .symbol:         _ZN7rocprim17ROCPRIM_304000_NS6detail25onesweep_iteration_kernelINS1_34wrapped_radix_sort_onesweep_configINS0_14default_configE6__halfN2at4cuda3cub6detail10OpaqueTypeILi8EEEEELb0EPKS5_PS5_PKSB_PSB_mNS0_19identity_decomposerEEEvT1_T2_T3_T4_jPT5_SP_PNS1_23onesweep_lookback_stateET6_jjj.kd
    .uniform_work_group_size: 1
    .uses_dynamic_stack: false
    .vgpr_count:     67
    .vgpr_spill_count: 0
    .wavefront_size: 64
  - .agpr_count:     0
    .args:
      - .address_space:  global
        .offset:         0
        .size:           8
        .value_kind:     global_buffer
      - .address_space:  global
        .offset:         8
        .size:           8
        .value_kind:     global_buffer
      - .address_space:  global
        .offset:         16
        .size:           8
        .value_kind:     global_buffer
      - .address_space:  global
        .offset:         24
        .size:           8
        .value_kind:     global_buffer
      - .offset:         32
        .size:           4
        .value_kind:     by_value
      - .address_space:  global
        .offset:         40
        .size:           8
        .value_kind:     global_buffer
      - .address_space:  global
        .offset:         48
        .size:           8
        .value_kind:     global_buffer
      - .address_space:  global
        .offset:         56
        .size:           8
        .value_kind:     global_buffer
      - .offset:         64
        .size:           1
        .value_kind:     by_value
      - .offset:         68
        .size:           4
        .value_kind:     by_value
      - .offset:         72
        .size:           4
        .value_kind:     by_value
      - .offset:         76
        .size:           4
        .value_kind:     by_value
      - .offset:         80
        .size:           4
        .value_kind:     hidden_block_count_x
      - .offset:         84
        .size:           4
        .value_kind:     hidden_block_count_y
      - .offset:         88
        .size:           4
        .value_kind:     hidden_block_count_z
      - .offset:         92
        .size:           2
        .value_kind:     hidden_group_size_x
      - .offset:         94
        .size:           2
        .value_kind:     hidden_group_size_y
      - .offset:         96
        .size:           2
        .value_kind:     hidden_group_size_z
      - .offset:         98
        .size:           2
        .value_kind:     hidden_remainder_x
      - .offset:         100
        .size:           2
        .value_kind:     hidden_remainder_y
      - .offset:         102
        .size:           2
        .value_kind:     hidden_remainder_z
      - .offset:         120
        .size:           8
        .value_kind:     hidden_global_offset_x
      - .offset:         128
        .size:           8
        .value_kind:     hidden_global_offset_y
      - .offset:         136
        .size:           8
        .value_kind:     hidden_global_offset_z
      - .offset:         144
        .size:           2
        .value_kind:     hidden_grid_dims
    .group_segment_fixed_size: 26624
    .kernarg_segment_align: 8
    .kernarg_segment_size: 336
    .language:       OpenCL C
    .language_version:
      - 2
      - 0
    .max_flat_workgroup_size: 256
    .name:           _ZN7rocprim17ROCPRIM_304000_NS6detail25onesweep_iteration_kernelINS1_34wrapped_radix_sort_onesweep_configINS0_14default_configE6__halfN2at4cuda3cub6detail10OpaqueTypeILi8EEEEELb0EPS5_SD_PSB_SE_mNS0_19identity_decomposerEEEvT1_T2_T3_T4_jPT5_SL_PNS1_23onesweep_lookback_stateET6_jjj
    .private_segment_fixed_size: 0
    .sgpr_count:     79
    .sgpr_spill_count: 0
    .symbol:         _ZN7rocprim17ROCPRIM_304000_NS6detail25onesweep_iteration_kernelINS1_34wrapped_radix_sort_onesweep_configINS0_14default_configE6__halfN2at4cuda3cub6detail10OpaqueTypeILi8EEEEELb0EPS5_SD_PSB_SE_mNS0_19identity_decomposerEEEvT1_T2_T3_T4_jPT5_SL_PNS1_23onesweep_lookback_stateET6_jjj.kd
    .uniform_work_group_size: 1
    .uses_dynamic_stack: false
    .vgpr_count:     67
    .vgpr_spill_count: 0
    .wavefront_size: 64
amdhsa.target:   amdgcn-amd-amdhsa--gfx90a
amdhsa.version:
  - 1
  - 2
...

	.end_amdgpu_metadata
